;; amdgpu-corpus repo=ROCm/rocSPARSE kind=compiled arch=gfx1100 opt=O3
	.text
	.amdgcn_target "amdgcn-amd-amdhsa--gfx1100"
	.amdhsa_code_object_version 6
	.section	.text._ZN9rocsparseL31bsrmm_large_blockdim_kernel_extILj8ELj8ELj2EiiffffEEvb20rocsparse_direction_T3_S2_llNS_24const_host_device_scalarIT7_EEPKT2_PKS2_PKT4_S2_PKT5_llS5_PT6_ll16rocsparse_order_21rocsparse_index_base_b,"axG",@progbits,_ZN9rocsparseL31bsrmm_large_blockdim_kernel_extILj8ELj8ELj2EiiffffEEvb20rocsparse_direction_T3_S2_llNS_24const_host_device_scalarIT7_EEPKT2_PKS2_PKT4_S2_PKT5_llS5_PT6_ll16rocsparse_order_21rocsparse_index_base_b,comdat
	.globl	_ZN9rocsparseL31bsrmm_large_blockdim_kernel_extILj8ELj8ELj2EiiffffEEvb20rocsparse_direction_T3_S2_llNS_24const_host_device_scalarIT7_EEPKT2_PKS2_PKT4_S2_PKT5_llS5_PT6_ll16rocsparse_order_21rocsparse_index_base_b ; -- Begin function _ZN9rocsparseL31bsrmm_large_blockdim_kernel_extILj8ELj8ELj2EiiffffEEvb20rocsparse_direction_T3_S2_llNS_24const_host_device_scalarIT7_EEPKT2_PKS2_PKT4_S2_PKT5_llS5_PT6_ll16rocsparse_order_21rocsparse_index_base_b
	.p2align	8
	.type	_ZN9rocsparseL31bsrmm_large_blockdim_kernel_extILj8ELj8ELj2EiiffffEEvb20rocsparse_direction_T3_S2_llNS_24const_host_device_scalarIT7_EEPKT2_PKS2_PKT4_S2_PKT5_llS5_PT6_ll16rocsparse_order_21rocsparse_index_base_b,@function
_ZN9rocsparseL31bsrmm_large_blockdim_kernel_extILj8ELj8ELj2EiiffffEEvb20rocsparse_direction_T3_S2_llNS_24const_host_device_scalarIT7_EEPKT2_PKS2_PKT4_S2_PKT5_llS5_PT6_ll16rocsparse_order_21rocsparse_index_base_b: ; @_ZN9rocsparseL31bsrmm_large_blockdim_kernel_extILj8ELj8ELj2EiiffffEEvb20rocsparse_direction_T3_S2_llNS_24const_host_device_scalarIT7_EEPKT2_PKS2_PKT4_S2_PKT5_llS5_PT6_ll16rocsparse_order_21rocsparse_index_base_b
; %bb.0:
	s_clause 0x2
	s_load_b128 s[16:19], s[0:1], 0x80
	s_load_b64 s[6:7], s[0:1], 0x20
	s_load_b64 s[12:13], s[0:1], 0x60
	s_mov_b32 s2, s15
	s_waitcnt lgkmcnt(0)
	s_bitcmp1_b32 s18, 0
	s_cselect_b32 s3, -1, 0
	s_delay_alu instid0(SALU_CYCLE_1)
	s_and_b32 vcc_lo, exec_lo, s3
	s_xor_b32 s3, s3, -1
	s_cbranch_vccnz .LBB0_2
; %bb.1:
	s_load_b32 s6, s[6:7], 0x0
.LBB0_2:
	s_and_not1_b32 vcc_lo, exec_lo, s3
	s_cbranch_vccnz .LBB0_4
; %bb.3:
	s_load_b32 s12, s[12:13], 0x0
.LBB0_4:
	s_waitcnt lgkmcnt(0)
	v_cmp_eq_f32_e64 s3, s6, 0
	v_cmp_eq_f32_e64 s4, s12, 1.0
	s_mov_b32 s18, 0
	s_delay_alu instid0(VALU_DEP_1) | instskip(NEXT) | instid1(SALU_CYCLE_1)
	s_and_b32 s3, s3, s4
	s_and_b32 vcc_lo, exec_lo, s3
	s_cbranch_vccnz .LBB0_57
; %bb.5:
	s_clause 0x1
	s_load_b128 s[8:11], s[0:1], 0x0
	s_load_b64 s[4:5], s[0:1], 0x28
	s_waitcnt lgkmcnt(0)
	s_cmp_lt_i32 s14, s10
	s_cselect_b32 s7, -1, 0
	s_cmp_ge_i32 s14, s10
	s_cbranch_scc1 .LBB0_7
; %bb.6:
	s_ashr_i32 s15, s14, 31
	s_delay_alu instid0(SALU_CYCLE_1) | instskip(NEXT) | instid1(SALU_CYCLE_1)
	s_lshl_b64 s[18:19], s[14:15], 2
	s_add_u32 s18, s4, s18
	s_addc_u32 s19, s5, s19
	s_load_b32 s3, s[18:19], 0x0
	s_waitcnt lgkmcnt(0)
	s_sub_i32 s18, s3, s17
.LBB0_7:
	s_mov_b32 s20, 0
	s_and_not1_b32 vcc_lo, exec_lo, s7
	s_mov_b32 s13, 0
	s_cbranch_vccnz .LBB0_9
; %bb.8:
	s_ashr_i32 s15, s14, 31
	s_delay_alu instid0(SALU_CYCLE_1) | instskip(NEXT) | instid1(SALU_CYCLE_1)
	s_lshl_b64 s[22:23], s[14:15], 2
	s_add_u32 s4, s4, s22
	s_addc_u32 s5, s5, s23
	s_load_b32 s3, s[4:5], 0x4
	s_waitcnt lgkmcnt(0)
	s_sub_i32 s13, s3, s17
.LBB0_9:
	s_clause 0x1
	s_load_b32 s10, s[0:1], 0x40
	s_load_b64 s[28:29], s[0:1], 0x68
	v_bfe_u32 v8, v0, 10, 10
	s_mov_b32 s21, s20
	v_and_b32_e32 v6, 0x3ff, v0
	v_dual_mov_b32 v2, s20 :: v_dual_mov_b32 v3, s21
	s_delay_alu instid0(VALU_DEP_3) | instskip(SKIP_1) | instid1(VALU_DEP_1)
	v_lshl_add_u32 v4, s2, 4, v8
	s_cmp_ge_i32 s18, s13
	v_add_nc_u32_e32 v0, 8, v4
	v_cmp_gt_i32_e64 s3, s11, v4
	s_delay_alu instid0(VALU_DEP_2)
	v_cmp_gt_i32_e64 s4, s11, v0
	s_waitcnt lgkmcnt(0)
	v_cmp_gt_i32_e64 s2, s10, v6
	s_cbranch_scc1 .LBB0_37
; %bb.10:
	s_clause 0x1
	s_load_b128 s[20:23], s[0:1], 0x48
	s_load_b128 s[24:27], s[0:1], 0x30
	s_mov_b32 s34, 0
	v_ashrrev_i32_e32 v5, 31, v4
	v_ashrrev_i32_e32 v1, 31, v0
	s_mov_b32 s35, s34
	v_lshlrev_b32_e32 v7, 3, v8
	v_cmp_gt_i32_e32 vcc_lo, s10, v8
	v_mad_u64_u32 v[9:10], null, v6, s10, v[8:9]
	s_mul_i32 s33, s10, s10
	s_delay_alu instid0(VALU_DEP_3)
	v_mad_u64_u32 v[2:3], null, v8, s10, v[6:7]
	s_and_b32 s15, s2, vcc_lo
	s_bitcmp1_b32 s8, 0
	v_lshl_add_u32 v3, v6, 3, v8
	s_cselect_b32 s5, -1, 0
	s_cmp_eq_u32 s9, 0
	v_add_lshl_u32 v17, v7, v6, 2
	s_cselect_b32 vcc_lo, -1, 0
	s_waitcnt lgkmcnt(0)
	v_mul_lo_u32 v14, v4, s23
	v_mul_lo_u32 v15, v5, s22
	v_mad_u64_u32 v[10:11], null, v4, s22, 0
	v_mul_lo_u32 v18, v0, s23
	v_mul_lo_u32 v19, v1, s22
	v_mad_u64_u32 v[12:13], null, v0, s22, 0
	v_cndmask_b32_e32 v7, v2, v9, vcc_lo
	s_add_i32 s9, s10, -1
	v_add3_u32 v11, v11, v14, v15
	s_and_b32 s8, s10, 7
	s_cmp_gt_u32 s9, 6
	v_lshl_add_u32 v16, v3, 2, 0x200
	s_delay_alu instid0(VALU_DEP_4)
	v_add3_u32 v13, v13, v18, v19
	v_lshlrev_b32_e32 v18, 5, v8
	v_mov_b32_e32 v2, s34
	v_lshlrev_b64 v[8:9], 2, v[10:11]
	v_lshlrev_b64 v[10:11], 2, v[4:5]
	;; [unrolled: 1-line block ×4, first 2 shown]
	s_cselect_b32 s9, -1, 0
	s_and_b32 s30, s10, -8
	v_lshl_add_u32 v19, v6, 5, 0x200
	v_dual_mov_b32 v3, s35 :: v_dual_add_nc_u32 v20, 0x100, v18
	s_cmp_lg_u32 s8, 0
	s_cselect_b32 s31, -1, 0
	s_branch .LBB0_13
.LBB0_11:                               ;   in Loop: Header=BB0_13 Depth=1
	s_or_b32 exec_lo, exec_lo, s34
.LBB0_12:                               ;   in Loop: Header=BB0_13 Depth=1
	s_delay_alu instid0(SALU_CYCLE_1) | instskip(SKIP_1) | instid1(SALU_CYCLE_1)
	s_or_b32 exec_lo, exec_lo, s19
	s_add_i32 s18, s18, 1
	s_cmp_ge_i32 s18, s13
	s_barrier
	buffer_gl0_inv
	s_cbranch_scc1 .LBB0_37
.LBB0_13:                               ; =>This Loop Header: Depth=1
                                        ;     Child Loop BB0_24 Depth 2
                                        ;     Child Loop BB0_28 Depth 2
	;; [unrolled: 1-line block ×4, first 2 shown]
	s_and_saveexec_b32 s34, s2
	s_cbranch_execz .LBB0_18
; %bb.14:                               ;   in Loop: Header=BB0_13 Depth=1
	s_ashr_i32 s19, s18, 31
	s_delay_alu instid0(SALU_CYCLE_1) | instskip(NEXT) | instid1(SALU_CYCLE_1)
	s_lshl_b64 s[36:37], s[18:19], 2
	s_add_u32 s36, s24, s36
	s_addc_u32 s37, s25, s37
	s_load_b32 s19, s[36:37], 0x0
	s_waitcnt lgkmcnt(0)
	s_sub_i32 s19, s19, s17
	s_delay_alu instid0(SALU_CYCLE_1) | instskip(NEXT) | instid1(VALU_DEP_1)
	v_mad_u64_u32 v[21:22], null, s19, s10, v[6:7]
	v_ashrrev_i32_e32 v22, 31, v21
	v_mul_lo_u32 v1, v21, s23
	v_mad_u64_u32 v[23:24], null, v21, s22, 0
	s_delay_alu instid0(VALU_DEP_3) | instskip(SKIP_1) | instid1(VALU_DEP_2)
	v_mul_lo_u32 v5, v22, s22
	v_lshlrev_b64 v[21:22], 2, v[21:22]
	v_add3_u32 v24, v24, v1, v5
	s_delay_alu instid0(VALU_DEP_1) | instskip(NEXT) | instid1(VALU_DEP_1)
	v_lshlrev_b64 v[23:24], 2, v[23:24]
	v_add_co_u32 v1, vcc_lo, s20, v23
	s_delay_alu instid0(VALU_DEP_2)
	v_add_co_ci_u32_e32 v5, vcc_lo, s21, v24, vcc_lo
	v_add_co_u32 v21, vcc_lo, s20, v21
	v_add_co_ci_u32_e32 v22, vcc_lo, s21, v22, vcc_lo
	s_and_saveexec_b32 s19, s3
	s_cbranch_execz .LBB0_16
; %bb.15:                               ;   in Loop: Header=BB0_13 Depth=1
	s_delay_alu instid0(VALU_DEP_2) | instskip(NEXT) | instid1(VALU_DEP_2)
	v_add_co_u32 v23, vcc_lo, v21, v8
	v_add_co_ci_u32_e32 v24, vcc_lo, v22, v9, vcc_lo
	v_add_co_u32 v25, vcc_lo, v1, v10
	v_add_co_ci_u32_e32 v26, vcc_lo, v5, v11, vcc_lo
	s_delay_alu instid0(VALU_DEP_2) | instskip(NEXT) | instid1(VALU_DEP_2)
	v_cndmask_b32_e64 v23, v25, v23, s5
	v_cndmask_b32_e64 v24, v26, v24, s5
	global_load_b32 v23, v[23:24], off
	s_waitcnt vmcnt(0)
	ds_store_b32 v17, v23
.LBB0_16:                               ;   in Loop: Header=BB0_13 Depth=1
	s_or_b32 exec_lo, exec_lo, s19
	s_delay_alu instid0(SALU_CYCLE_1)
	s_and_b32 exec_lo, exec_lo, s4
	s_cbranch_execz .LBB0_18
; %bb.17:                               ;   in Loop: Header=BB0_13 Depth=1
	v_add_co_u32 v21, vcc_lo, v21, v12
	v_add_co_ci_u32_e32 v22, vcc_lo, v22, v13, vcc_lo
	v_add_co_u32 v1, vcc_lo, v1, v14
	v_add_co_ci_u32_e32 v5, vcc_lo, v5, v15, vcc_lo
	s_delay_alu instid0(VALU_DEP_2) | instskip(NEXT) | instid1(VALU_DEP_2)
	v_cndmask_b32_e64 v21, v1, v21, s5
	v_cndmask_b32_e64 v22, v5, v22, s5
	global_load_b32 v1, v[21:22], off
	s_waitcnt vmcnt(0)
	ds_store_b32 v17, v1 offset:256
.LBB0_18:                               ;   in Loop: Header=BB0_13 Depth=1
	s_or_b32 exec_lo, exec_lo, s34
	s_and_saveexec_b32 s19, s15
	s_cbranch_execz .LBB0_20
; %bb.19:                               ;   in Loop: Header=BB0_13 Depth=1
	v_mad_u64_u32 v[21:22], null, s33, s18, v[7:8]
	s_delay_alu instid0(VALU_DEP_1) | instskip(NEXT) | instid1(VALU_DEP_1)
	v_ashrrev_i32_e32 v22, 31, v21
	v_lshlrev_b64 v[21:22], 2, v[21:22]
	s_delay_alu instid0(VALU_DEP_1) | instskip(NEXT) | instid1(VALU_DEP_2)
	v_add_co_u32 v21, vcc_lo, s26, v21
	v_add_co_ci_u32_e32 v22, vcc_lo, s27, v22, vcc_lo
	global_load_b32 v1, v[21:22], off
	s_waitcnt vmcnt(0)
	ds_store_b32 v16, v1
.LBB0_20:                               ;   in Loop: Header=BB0_13 Depth=1
	s_or_b32 exec_lo, exec_lo, s19
	s_waitcnt lgkmcnt(0)
	s_barrier
	buffer_gl0_inv
	s_and_saveexec_b32 s19, s2
	s_cbranch_execz .LBB0_12
; %bb.21:                               ;   in Loop: Header=BB0_13 Depth=1
	s_and_saveexec_b32 s34, s3
	s_cbranch_execz .LBB0_29
; %bb.22:                               ;   in Loop: Header=BB0_13 Depth=1
	s_and_not1_b32 vcc_lo, exec_lo, s9
	s_cbranch_vccnz .LBB0_26
; %bb.23:                               ;   in Loop: Header=BB0_13 Depth=1
	v_mov_b32_e32 v1, v19
	v_mov_b32_e32 v5, v18
	s_mov_b32 s35, 0
	.p2align	6
.LBB0_24:                               ;   Parent Loop BB0_13 Depth=1
                                        ; =>  This Inner Loop Header: Depth=2
	ds_load_b128 v[21:24], v5
	ds_load_b128 v[25:28], v1
	ds_load_b128 v[29:32], v1 offset:16
	ds_load_b128 v[33:36], v5 offset:16
	s_add_i32 s35, s35, 8
	v_add_nc_u32_e32 v5, 32, v5
	s_cmp_lg_u32 s30, s35
	v_add_nc_u32_e32 v1, 32, v1
	s_waitcnt lgkmcnt(2)
	v_fma_f32 v2, v25, v21, v2
	s_delay_alu instid0(VALU_DEP_1) | instskip(NEXT) | instid1(VALU_DEP_1)
	v_fmac_f32_e32 v2, v26, v22
	v_fmac_f32_e32 v2, v27, v23
	s_delay_alu instid0(VALU_DEP_1) | instskip(SKIP_1) | instid1(VALU_DEP_1)
	v_fmac_f32_e32 v2, v28, v24
	s_waitcnt lgkmcnt(0)
	v_fmac_f32_e32 v2, v29, v33
	s_delay_alu instid0(VALU_DEP_1) | instskip(NEXT) | instid1(VALU_DEP_1)
	v_fmac_f32_e32 v2, v30, v34
	v_fmac_f32_e32 v2, v31, v35
	s_delay_alu instid0(VALU_DEP_1)
	v_fmac_f32_e32 v2, v32, v36
	s_cbranch_scc1 .LBB0_24
; %bb.25:                               ;   in Loop: Header=BB0_13 Depth=1
	s_mov_b32 s35, s30
	s_and_not1_b32 vcc_lo, exec_lo, s31
	s_cbranch_vccz .LBB0_27
	s_branch .LBB0_29
.LBB0_26:                               ;   in Loop: Header=BB0_13 Depth=1
	s_mov_b32 s35, 0
	s_and_not1_b32 vcc_lo, exec_lo, s31
	s_cbranch_vccnz .LBB0_29
.LBB0_27:                               ;   in Loop: Header=BB0_13 Depth=1
	s_lshl_b32 s35, s35, 2
	s_delay_alu instid0(SALU_CYCLE_1)
	v_add_nc_u32_e32 v1, s35, v18
	v_add_nc_u32_e32 v5, s35, v19
	s_mov_b32 s35, s8
.LBB0_28:                               ;   Parent Loop BB0_13 Depth=1
                                        ; =>  This Inner Loop Header: Depth=2
	ds_load_b32 v21, v5
	ds_load_b32 v22, v1
	v_add_nc_u32_e32 v1, 4, v1
	v_add_nc_u32_e32 v5, 4, v5
	s_add_i32 s35, s35, -1
	s_delay_alu instid0(SALU_CYCLE_1)
	s_cmp_lg_u32 s35, 0
	s_waitcnt lgkmcnt(0)
	v_fma_f32 v2, v21, v22, v2
	s_cbranch_scc1 .LBB0_28
.LBB0_29:                               ;   in Loop: Header=BB0_13 Depth=1
	s_or_b32 exec_lo, exec_lo, s34
	s_and_saveexec_b32 s34, s4
	s_cbranch_execz .LBB0_11
; %bb.30:                               ;   in Loop: Header=BB0_13 Depth=1
	s_and_not1_b32 vcc_lo, exec_lo, s9
	s_cbranch_vccnz .LBB0_34
; %bb.31:                               ;   in Loop: Header=BB0_13 Depth=1
	v_mov_b32_e32 v1, v19
	v_mov_b32_e32 v5, v20
	s_mov_b32 s35, 0
	.p2align	6
.LBB0_32:                               ;   Parent Loop BB0_13 Depth=1
                                        ; =>  This Inner Loop Header: Depth=2
	ds_load_b128 v[21:24], v5
	ds_load_b128 v[25:28], v1
	ds_load_b128 v[29:32], v1 offset:16
	ds_load_b128 v[33:36], v5 offset:16
	v_add_nc_u32_e32 v5, 32, v5
	v_add_nc_u32_e32 v1, 32, v1
	s_add_i32 s35, s35, 8
	s_delay_alu instid0(SALU_CYCLE_1) | instskip(SKIP_2) | instid1(VALU_DEP_1)
	s_cmp_lg_u32 s30, s35
	s_waitcnt lgkmcnt(2)
	v_fma_f32 v3, v25, v21, v3
	v_fmac_f32_e32 v3, v26, v22
	s_delay_alu instid0(VALU_DEP_1) | instskip(NEXT) | instid1(VALU_DEP_1)
	v_fmac_f32_e32 v3, v27, v23
	v_fmac_f32_e32 v3, v28, v24
	s_waitcnt lgkmcnt(0)
	s_delay_alu instid0(VALU_DEP_1) | instskip(NEXT) | instid1(VALU_DEP_1)
	v_fmac_f32_e32 v3, v29, v33
	v_fmac_f32_e32 v3, v30, v34
	s_delay_alu instid0(VALU_DEP_1) | instskip(NEXT) | instid1(VALU_DEP_1)
	v_fmac_f32_e32 v3, v31, v35
	v_fmac_f32_e32 v3, v32, v36
	s_cbranch_scc1 .LBB0_32
; %bb.33:                               ;   in Loop: Header=BB0_13 Depth=1
	s_mov_b32 s35, s30
	s_and_not1_b32 vcc_lo, exec_lo, s31
	s_cbranch_vccz .LBB0_35
	s_branch .LBB0_11
.LBB0_34:                               ;   in Loop: Header=BB0_13 Depth=1
	s_mov_b32 s35, 0
	s_and_not1_b32 vcc_lo, exec_lo, s31
	s_cbranch_vccnz .LBB0_11
.LBB0_35:                               ;   in Loop: Header=BB0_13 Depth=1
	s_lshl_b32 s35, s35, 2
	s_delay_alu instid0(SALU_CYCLE_1)
	v_add_nc_u32_e32 v1, s35, v20
	v_add_nc_u32_e32 v5, s35, v19
	s_mov_b32 s35, s8
.LBB0_36:                               ;   Parent Loop BB0_13 Depth=1
                                        ; =>  This Inner Loop Header: Depth=2
	ds_load_b32 v21, v5
	ds_load_b32 v22, v1
	v_add_nc_u32_e32 v1, 4, v1
	v_add_nc_u32_e32 v5, 4, v5
	s_add_i32 s35, s35, -1
	s_delay_alu instid0(SALU_CYCLE_1)
	s_cmp_lg_u32 s35, 0
	s_waitcnt lgkmcnt(0)
	v_fma_f32 v3, v21, v22, v3
	s_cbranch_scc1 .LBB0_36
	s_branch .LBB0_11
.LBB0_37:
	s_delay_alu instid0(VALU_DEP_1) | instskip(NEXT) | instid1(SALU_CYCLE_1)
	s_and_b32 s2, s7, s2
	s_and_saveexec_b32 s3, s2
	s_cbranch_execz .LBB0_57
; %bb.38:
	s_load_b64 s[2:3], s[0:1], 0x70
	v_mad_u64_u32 v[7:8], null, s14, s10, v[6:7]
	v_cmp_neq_f32_e64 s4, s12, 0
	s_cmp_lg_u32 s16, 1
	s_mov_b32 s0, exec_lo
	s_cselect_b32 s1, -1, 0
	s_delay_alu instid0(VALU_DEP_2) | instskip(SKIP_1) | instid1(VALU_DEP_1)
	v_ashrrev_i32_e32 v8, 31, v7
	s_waitcnt lgkmcnt(0)
	v_mul_lo_u32 v1, v8, s2
	v_mul_lo_u32 v9, v7, s3
	v_mad_u64_u32 v[5:6], null, v7, s2, 0
	v_lshlrev_b64 v[7:8], 2, v[7:8]
	s_delay_alu instid0(VALU_DEP_2) | instskip(NEXT) | instid1(VALU_DEP_1)
	v_add3_u32 v6, v6, v9, v1
	v_lshlrev_b64 v[9:10], 2, v[5:6]
	s_delay_alu instid0(VALU_DEP_3) | instskip(NEXT) | instid1(VALU_DEP_4)
	v_add_co_u32 v6, vcc_lo, s28, v7
	v_add_co_ci_u32_e32 v7, vcc_lo, s29, v8, vcc_lo
	s_delay_alu instid0(VALU_DEP_3) | instskip(NEXT) | instid1(VALU_DEP_4)
	v_add_co_u32 v8, vcc_lo, s28, v9
	v_add_co_ci_u32_e32 v9, vcc_lo, s29, v10, vcc_lo
	v_cmpx_gt_i32_e64 s11, v4
	s_cbranch_execz .LBB0_50
; %bb.39:
	v_ashrrev_i32_e32 v5, 31, v4
	s_and_b32 vcc_lo, exec_lo, s4
	s_cbranch_vccz .LBB0_45
; %bb.40:
	s_and_b32 vcc_lo, exec_lo, s1
	s_mov_b32 s5, -1
	s_cbranch_vccz .LBB0_42
; %bb.41:
	v_lshlrev_b64 v[10:11], 2, v[4:5]
	v_mul_f32_e32 v12, s6, v2
	s_mov_b32 s5, 0
	s_delay_alu instid0(VALU_DEP_2) | instskip(NEXT) | instid1(VALU_DEP_3)
	v_add_co_u32 v10, vcc_lo, v8, v10
	v_add_co_ci_u32_e32 v11, vcc_lo, v9, v11, vcc_lo
	global_load_b32 v1, v[10:11], off
	s_waitcnt vmcnt(0)
	v_fmac_f32_e32 v12, s12, v1
	global_store_b32 v[10:11], v12, off
.LBB0_42:
	s_and_not1_b32 vcc_lo, exec_lo, s5
	s_cbranch_vccnz .LBB0_44
; %bb.43:
	v_mul_lo_u32 v1, v5, s2
	v_mul_lo_u32 v12, v4, s3
	v_mad_u64_u32 v[10:11], null, v4, s2, 0
	s_delay_alu instid0(VALU_DEP_1) | instskip(SKIP_1) | instid1(VALU_DEP_2)
	v_add3_u32 v11, v11, v12, v1
	v_mul_f32_e32 v12, s6, v2
	v_lshlrev_b64 v[10:11], 2, v[10:11]
	s_delay_alu instid0(VALU_DEP_1) | instskip(NEXT) | instid1(VALU_DEP_2)
	v_add_co_u32 v10, vcc_lo, v6, v10
	v_add_co_ci_u32_e32 v11, vcc_lo, v7, v11, vcc_lo
	global_load_b32 v1, v[10:11], off
	s_waitcnt vmcnt(0)
	v_fmac_f32_e32 v12, s12, v1
	global_store_b32 v[10:11], v12, off
.LBB0_44:
	s_cbranch_execz .LBB0_46
	s_branch .LBB0_50
.LBB0_45:
.LBB0_46:
	v_mul_f32_e32 v1, s6, v2
	s_and_b32 vcc_lo, exec_lo, s1
	s_mov_b32 s5, -1
	s_cbranch_vccz .LBB0_48
; %bb.47:
	v_lshlrev_b64 v[10:11], 2, v[4:5]
	s_mov_b32 s5, 0
	s_delay_alu instid0(VALU_DEP_1) | instskip(NEXT) | instid1(VALU_DEP_2)
	v_add_co_u32 v10, vcc_lo, v8, v10
	v_add_co_ci_u32_e32 v11, vcc_lo, v9, v11, vcc_lo
	global_store_b32 v[10:11], v1, off
.LBB0_48:
	s_and_not1_b32 vcc_lo, exec_lo, s5
	s_cbranch_vccnz .LBB0_50
; %bb.49:
	v_mul_lo_u32 v2, v5, s2
	v_mul_lo_u32 v5, v4, s3
	v_mad_u64_u32 v[10:11], null, v4, s2, 0
	s_delay_alu instid0(VALU_DEP_1) | instskip(NEXT) | instid1(VALU_DEP_1)
	v_add3_u32 v11, v11, v5, v2
	v_lshlrev_b64 v[4:5], 2, v[10:11]
	s_delay_alu instid0(VALU_DEP_1) | instskip(NEXT) | instid1(VALU_DEP_2)
	v_add_co_u32 v4, vcc_lo, v6, v4
	v_add_co_ci_u32_e32 v5, vcc_lo, v7, v5, vcc_lo
	global_store_b32 v[4:5], v1, off
.LBB0_50:
	s_or_b32 exec_lo, exec_lo, s0
	v_cmp_gt_i32_e32 vcc_lo, s11, v0
	s_and_b32 exec_lo, exec_lo, vcc_lo
	s_cbranch_execz .LBB0_57
; %bb.51:
	v_cndmask_b32_e64 v2, 0, 1, s1
	v_ashrrev_i32_e32 v1, 31, v0
	s_and_not1_b32 vcc_lo, exec_lo, s4
	s_delay_alu instid0(VALU_DEP_2)
	v_cmp_ne_u32_e64 s0, 1, v2
	s_cbranch_vccnz .LBB0_58
; %bb.52:
	s_delay_alu instid0(VALU_DEP_1)
	s_and_b32 vcc_lo, exec_lo, s0
	s_mov_b32 s0, -1
	s_cbranch_vccnz .LBB0_54
; %bb.53:
	v_lshlrev_b64 v[4:5], 2, v[0:1]
	v_mul_f32_e32 v10, s6, v3
	s_mov_b32 s0, 0
	s_delay_alu instid0(VALU_DEP_2) | instskip(NEXT) | instid1(VALU_DEP_3)
	v_add_co_u32 v4, vcc_lo, v8, v4
	v_add_co_ci_u32_e32 v5, vcc_lo, v9, v5, vcc_lo
	global_load_b32 v2, v[4:5], off
	s_waitcnt vmcnt(0)
	v_fmac_f32_e32 v10, s12, v2
	global_store_b32 v[4:5], v10, off
.LBB0_54:
	s_and_not1_b32 vcc_lo, exec_lo, s0
	s_cbranch_vccnz .LBB0_56
; %bb.55:
	v_mul_lo_u32 v2, v1, s2
	v_mul_lo_u32 v10, v0, s3
	v_mad_u64_u32 v[4:5], null, v0, s2, 0
	s_delay_alu instid0(VALU_DEP_1) | instskip(SKIP_1) | instid1(VALU_DEP_2)
	v_add3_u32 v5, v5, v10, v2
	v_mul_f32_e32 v10, s6, v3
	v_lshlrev_b64 v[4:5], 2, v[4:5]
	s_delay_alu instid0(VALU_DEP_1) | instskip(NEXT) | instid1(VALU_DEP_2)
	v_add_co_u32 v4, vcc_lo, v6, v4
	v_add_co_ci_u32_e32 v5, vcc_lo, v7, v5, vcc_lo
	global_load_b32 v2, v[4:5], off
	s_waitcnt vmcnt(0)
	v_fmac_f32_e32 v10, s12, v2
	global_store_b32 v[4:5], v10, off
.LBB0_56:
	s_cbranch_execz .LBB0_59
.LBB0_57:
	s_nop 0
	s_sendmsg sendmsg(MSG_DEALLOC_VGPRS)
	s_endpgm
.LBB0_58:
.LBB0_59:
	v_mul_f32_e32 v2, s6, v3
	s_and_not1_b32 vcc_lo, exec_lo, s1
	s_mov_b32 s0, -1
	s_cbranch_vccnz .LBB0_61
; %bb.60:
	v_lshlrev_b64 v[3:4], 2, v[0:1]
	s_mov_b32 s0, 0
	s_delay_alu instid0(VALU_DEP_1) | instskip(NEXT) | instid1(VALU_DEP_2)
	v_add_co_u32 v3, vcc_lo, v8, v3
	v_add_co_ci_u32_e32 v4, vcc_lo, v9, v4, vcc_lo
	global_store_b32 v[3:4], v2, off
.LBB0_61:
	s_and_not1_b32 vcc_lo, exec_lo, s0
	s_cbranch_vccnz .LBB0_57
; %bb.62:
	v_mul_lo_u32 v1, v1, s2
	v_mul_lo_u32 v5, v0, s3
	v_mad_u64_u32 v[3:4], null, v0, s2, 0
	s_delay_alu instid0(VALU_DEP_1) | instskip(NEXT) | instid1(VALU_DEP_1)
	v_add3_u32 v4, v4, v5, v1
	v_lshlrev_b64 v[0:1], 2, v[3:4]
	s_delay_alu instid0(VALU_DEP_1) | instskip(NEXT) | instid1(VALU_DEP_2)
	v_add_co_u32 v0, vcc_lo, v6, v0
	v_add_co_ci_u32_e32 v1, vcc_lo, v7, v1, vcc_lo
	global_store_b32 v[0:1], v2, off
	s_nop 0
	s_sendmsg sendmsg(MSG_DEALLOC_VGPRS)
	s_endpgm
	.section	.rodata,"a",@progbits
	.p2align	6, 0x0
	.amdhsa_kernel _ZN9rocsparseL31bsrmm_large_blockdim_kernel_extILj8ELj8ELj2EiiffffEEvb20rocsparse_direction_T3_S2_llNS_24const_host_device_scalarIT7_EEPKT2_PKS2_PKT4_S2_PKT5_llS5_PT6_ll16rocsparse_order_21rocsparse_index_base_b
		.amdhsa_group_segment_fixed_size 768
		.amdhsa_private_segment_fixed_size 0
		.amdhsa_kernarg_size 140
		.amdhsa_user_sgpr_count 14
		.amdhsa_user_sgpr_dispatch_ptr 0
		.amdhsa_user_sgpr_queue_ptr 0
		.amdhsa_user_sgpr_kernarg_segment_ptr 1
		.amdhsa_user_sgpr_dispatch_id 0
		.amdhsa_user_sgpr_private_segment_size 0
		.amdhsa_wavefront_size32 1
		.amdhsa_uses_dynamic_stack 0
		.amdhsa_enable_private_segment 0
		.amdhsa_system_sgpr_workgroup_id_x 1
		.amdhsa_system_sgpr_workgroup_id_y 1
		.amdhsa_system_sgpr_workgroup_id_z 0
		.amdhsa_system_sgpr_workgroup_info 0
		.amdhsa_system_vgpr_workitem_id 1
		.amdhsa_next_free_vgpr 37
		.amdhsa_next_free_sgpr 38
		.amdhsa_reserve_vcc 1
		.amdhsa_float_round_mode_32 0
		.amdhsa_float_round_mode_16_64 0
		.amdhsa_float_denorm_mode_32 3
		.amdhsa_float_denorm_mode_16_64 3
		.amdhsa_dx10_clamp 1
		.amdhsa_ieee_mode 1
		.amdhsa_fp16_overflow 0
		.amdhsa_workgroup_processor_mode 1
		.amdhsa_memory_ordered 1
		.amdhsa_forward_progress 0
		.amdhsa_shared_vgpr_count 0
		.amdhsa_exception_fp_ieee_invalid_op 0
		.amdhsa_exception_fp_denorm_src 0
		.amdhsa_exception_fp_ieee_div_zero 0
		.amdhsa_exception_fp_ieee_overflow 0
		.amdhsa_exception_fp_ieee_underflow 0
		.amdhsa_exception_fp_ieee_inexact 0
		.amdhsa_exception_int_div_zero 0
	.end_amdhsa_kernel
	.section	.text._ZN9rocsparseL31bsrmm_large_blockdim_kernel_extILj8ELj8ELj2EiiffffEEvb20rocsparse_direction_T3_S2_llNS_24const_host_device_scalarIT7_EEPKT2_PKS2_PKT4_S2_PKT5_llS5_PT6_ll16rocsparse_order_21rocsparse_index_base_b,"axG",@progbits,_ZN9rocsparseL31bsrmm_large_blockdim_kernel_extILj8ELj8ELj2EiiffffEEvb20rocsparse_direction_T3_S2_llNS_24const_host_device_scalarIT7_EEPKT2_PKS2_PKT4_S2_PKT5_llS5_PT6_ll16rocsparse_order_21rocsparse_index_base_b,comdat
.Lfunc_end0:
	.size	_ZN9rocsparseL31bsrmm_large_blockdim_kernel_extILj8ELj8ELj2EiiffffEEvb20rocsparse_direction_T3_S2_llNS_24const_host_device_scalarIT7_EEPKT2_PKS2_PKT4_S2_PKT5_llS5_PT6_ll16rocsparse_order_21rocsparse_index_base_b, .Lfunc_end0-_ZN9rocsparseL31bsrmm_large_blockdim_kernel_extILj8ELj8ELj2EiiffffEEvb20rocsparse_direction_T3_S2_llNS_24const_host_device_scalarIT7_EEPKT2_PKS2_PKT4_S2_PKT5_llS5_PT6_ll16rocsparse_order_21rocsparse_index_base_b
                                        ; -- End function
	.section	.AMDGPU.csdata,"",@progbits
; Kernel info:
; codeLenInByte = 2412
; NumSgprs: 40
; NumVgprs: 37
; ScratchSize: 0
; MemoryBound: 0
; FloatMode: 240
; IeeeMode: 1
; LDSByteSize: 768 bytes/workgroup (compile time only)
; SGPRBlocks: 4
; VGPRBlocks: 4
; NumSGPRsForWavesPerEU: 40
; NumVGPRsForWavesPerEU: 37
; Occupancy: 16
; WaveLimiterHint : 1
; COMPUTE_PGM_RSRC2:SCRATCH_EN: 0
; COMPUTE_PGM_RSRC2:USER_SGPR: 14
; COMPUTE_PGM_RSRC2:TRAP_HANDLER: 0
; COMPUTE_PGM_RSRC2:TGID_X_EN: 1
; COMPUTE_PGM_RSRC2:TGID_Y_EN: 1
; COMPUTE_PGM_RSRC2:TGID_Z_EN: 0
; COMPUTE_PGM_RSRC2:TIDIG_COMP_CNT: 1
	.section	.text._ZN9rocsparseL31bsrmm_large_blockdim_kernel_extILj4ELj16ELj2EiiffffEEvb20rocsparse_direction_T3_S2_llNS_24const_host_device_scalarIT7_EEPKT2_PKS2_PKT4_S2_PKT5_llS5_PT6_ll16rocsparse_order_21rocsparse_index_base_b,"axG",@progbits,_ZN9rocsparseL31bsrmm_large_blockdim_kernel_extILj4ELj16ELj2EiiffffEEvb20rocsparse_direction_T3_S2_llNS_24const_host_device_scalarIT7_EEPKT2_PKS2_PKT4_S2_PKT5_llS5_PT6_ll16rocsparse_order_21rocsparse_index_base_b,comdat
	.globl	_ZN9rocsparseL31bsrmm_large_blockdim_kernel_extILj4ELj16ELj2EiiffffEEvb20rocsparse_direction_T3_S2_llNS_24const_host_device_scalarIT7_EEPKT2_PKS2_PKT4_S2_PKT5_llS5_PT6_ll16rocsparse_order_21rocsparse_index_base_b ; -- Begin function _ZN9rocsparseL31bsrmm_large_blockdim_kernel_extILj4ELj16ELj2EiiffffEEvb20rocsparse_direction_T3_S2_llNS_24const_host_device_scalarIT7_EEPKT2_PKS2_PKT4_S2_PKT5_llS5_PT6_ll16rocsparse_order_21rocsparse_index_base_b
	.p2align	8
	.type	_ZN9rocsparseL31bsrmm_large_blockdim_kernel_extILj4ELj16ELj2EiiffffEEvb20rocsparse_direction_T3_S2_llNS_24const_host_device_scalarIT7_EEPKT2_PKS2_PKT4_S2_PKT5_llS5_PT6_ll16rocsparse_order_21rocsparse_index_base_b,@function
_ZN9rocsparseL31bsrmm_large_blockdim_kernel_extILj4ELj16ELj2EiiffffEEvb20rocsparse_direction_T3_S2_llNS_24const_host_device_scalarIT7_EEPKT2_PKS2_PKT4_S2_PKT5_llS5_PT6_ll16rocsparse_order_21rocsparse_index_base_b: ; @_ZN9rocsparseL31bsrmm_large_blockdim_kernel_extILj4ELj16ELj2EiiffffEEvb20rocsparse_direction_T3_S2_llNS_24const_host_device_scalarIT7_EEPKT2_PKS2_PKT4_S2_PKT5_llS5_PT6_ll16rocsparse_order_21rocsparse_index_base_b
; %bb.0:
	s_clause 0x2
	s_load_b128 s[16:19], s[0:1], 0x80
	s_load_b64 s[6:7], s[0:1], 0x20
	s_load_b64 s[12:13], s[0:1], 0x60
	s_mov_b32 s2, s15
	s_waitcnt lgkmcnt(0)
	s_bitcmp1_b32 s18, 0
	s_cselect_b32 s3, -1, 0
	s_delay_alu instid0(SALU_CYCLE_1)
	s_and_b32 vcc_lo, exec_lo, s3
	s_xor_b32 s3, s3, -1
	s_cbranch_vccnz .LBB1_2
; %bb.1:
	s_load_b32 s6, s[6:7], 0x0
.LBB1_2:
	s_and_not1_b32 vcc_lo, exec_lo, s3
	s_cbranch_vccnz .LBB1_4
; %bb.3:
	s_load_b32 s12, s[12:13], 0x0
.LBB1_4:
	s_waitcnt lgkmcnt(0)
	v_cmp_eq_f32_e64 s3, s6, 0
	v_cmp_eq_f32_e64 s4, s12, 1.0
	s_mov_b32 s18, 0
	s_delay_alu instid0(VALU_DEP_1) | instskip(NEXT) | instid1(SALU_CYCLE_1)
	s_and_b32 s3, s3, s4
	s_and_b32 vcc_lo, exec_lo, s3
	s_cbranch_vccnz .LBB1_57
; %bb.5:
	s_clause 0x1
	s_load_b128 s[8:11], s[0:1], 0x0
	s_load_b64 s[4:5], s[0:1], 0x28
	s_waitcnt lgkmcnt(0)
	s_cmp_lt_i32 s14, s10
	s_cselect_b32 s7, -1, 0
	s_cmp_ge_i32 s14, s10
	s_cbranch_scc1 .LBB1_7
; %bb.6:
	s_ashr_i32 s15, s14, 31
	s_delay_alu instid0(SALU_CYCLE_1) | instskip(NEXT) | instid1(SALU_CYCLE_1)
	s_lshl_b64 s[18:19], s[14:15], 2
	s_add_u32 s18, s4, s18
	s_addc_u32 s19, s5, s19
	s_load_b32 s3, s[18:19], 0x0
	s_waitcnt lgkmcnt(0)
	s_sub_i32 s18, s3, s17
.LBB1_7:
	s_mov_b32 s20, 0
	s_and_not1_b32 vcc_lo, exec_lo, s7
	s_mov_b32 s13, 0
	s_cbranch_vccnz .LBB1_9
; %bb.8:
	s_ashr_i32 s15, s14, 31
	s_delay_alu instid0(SALU_CYCLE_1) | instskip(NEXT) | instid1(SALU_CYCLE_1)
	s_lshl_b64 s[22:23], s[14:15], 2
	s_add_u32 s4, s4, s22
	s_addc_u32 s5, s5, s23
	s_load_b32 s3, s[4:5], 0x4
	s_waitcnt lgkmcnt(0)
	s_sub_i32 s13, s3, s17
.LBB1_9:
	s_clause 0x1
	s_load_b32 s10, s[0:1], 0x40
	s_load_b64 s[28:29], s[0:1], 0x68
	v_bfe_u32 v8, v0, 10, 10
	s_mov_b32 s21, s20
	v_and_b32_e32 v6, 0x3ff, v0
	v_dual_mov_b32 v2, s20 :: v_dual_mov_b32 v3, s21
	s_delay_alu instid0(VALU_DEP_3) | instskip(SKIP_1) | instid1(VALU_DEP_1)
	v_lshl_add_u32 v4, s2, 5, v8
	s_cmp_ge_i32 s18, s13
	v_add_nc_u32_e32 v0, 16, v4
	v_cmp_gt_i32_e64 s3, s11, v4
	s_delay_alu instid0(VALU_DEP_2)
	v_cmp_gt_i32_e64 s4, s11, v0
	s_waitcnt lgkmcnt(0)
	v_cmp_gt_i32_e64 s2, s10, v6
	s_cbranch_scc1 .LBB1_37
; %bb.10:
	s_clause 0x1
	s_load_b128 s[20:23], s[0:1], 0x48
	s_load_b128 s[24:27], s[0:1], 0x30
	s_mov_b32 s34, 0
	v_ashrrev_i32_e32 v5, 31, v4
	v_ashrrev_i32_e32 v1, 31, v0
	s_mov_b32 s35, s34
	v_lshlrev_b32_e32 v7, 2, v8
	v_cmp_gt_i32_e32 vcc_lo, s10, v8
	v_mad_u64_u32 v[9:10], null, v6, s10, v[8:9]
	s_mul_i32 s33, s10, s10
	s_delay_alu instid0(VALU_DEP_3)
	v_mad_u64_u32 v[2:3], null, v8, s10, v[6:7]
	s_and_b32 s15, s2, vcc_lo
	s_bitcmp1_b32 s8, 0
	v_lshl_add_u32 v3, v6, 2, v8
	s_cselect_b32 s5, -1, 0
	s_cmp_eq_u32 s9, 0
	v_add_lshl_u32 v17, v7, v6, 2
	s_cselect_b32 vcc_lo, -1, 0
	s_waitcnt lgkmcnt(0)
	v_mul_lo_u32 v14, v4, s23
	v_mul_lo_u32 v15, v5, s22
	v_mad_u64_u32 v[10:11], null, v4, s22, 0
	v_mul_lo_u32 v18, v0, s23
	v_mul_lo_u32 v19, v1, s22
	v_mad_u64_u32 v[12:13], null, v0, s22, 0
	v_cndmask_b32_e32 v7, v2, v9, vcc_lo
	s_add_i32 s9, s10, -1
	v_add3_u32 v11, v11, v14, v15
	s_and_b32 s8, s10, 7
	s_cmp_gt_u32 s9, 6
	v_lshl_add_u32 v16, v3, 2, 0x200
	s_delay_alu instid0(VALU_DEP_4)
	v_add3_u32 v13, v13, v18, v19
	v_lshlrev_b32_e32 v18, 4, v8
	v_mov_b32_e32 v2, s34
	v_lshlrev_b64 v[8:9], 2, v[10:11]
	v_lshlrev_b64 v[10:11], 2, v[4:5]
	;; [unrolled: 1-line block ×4, first 2 shown]
	s_cselect_b32 s9, -1, 0
	s_and_b32 s30, s10, -8
	v_lshl_add_u32 v19, v6, 4, 0x200
	v_dual_mov_b32 v3, s35 :: v_dual_add_nc_u32 v20, 0x100, v18
	s_cmp_lg_u32 s8, 0
	s_cselect_b32 s31, -1, 0
	s_branch .LBB1_13
.LBB1_11:                               ;   in Loop: Header=BB1_13 Depth=1
	s_or_b32 exec_lo, exec_lo, s34
.LBB1_12:                               ;   in Loop: Header=BB1_13 Depth=1
	s_delay_alu instid0(SALU_CYCLE_1) | instskip(SKIP_1) | instid1(SALU_CYCLE_1)
	s_or_b32 exec_lo, exec_lo, s19
	s_add_i32 s18, s18, 1
	s_cmp_ge_i32 s18, s13
	s_barrier
	buffer_gl0_inv
	s_cbranch_scc1 .LBB1_37
.LBB1_13:                               ; =>This Loop Header: Depth=1
                                        ;     Child Loop BB1_24 Depth 2
                                        ;     Child Loop BB1_28 Depth 2
	;; [unrolled: 1-line block ×4, first 2 shown]
	s_and_saveexec_b32 s34, s2
	s_cbranch_execz .LBB1_18
; %bb.14:                               ;   in Loop: Header=BB1_13 Depth=1
	s_ashr_i32 s19, s18, 31
	s_delay_alu instid0(SALU_CYCLE_1) | instskip(NEXT) | instid1(SALU_CYCLE_1)
	s_lshl_b64 s[36:37], s[18:19], 2
	s_add_u32 s36, s24, s36
	s_addc_u32 s37, s25, s37
	s_load_b32 s19, s[36:37], 0x0
	s_waitcnt lgkmcnt(0)
	s_sub_i32 s19, s19, s17
	s_delay_alu instid0(SALU_CYCLE_1) | instskip(NEXT) | instid1(VALU_DEP_1)
	v_mad_u64_u32 v[21:22], null, s19, s10, v[6:7]
	v_ashrrev_i32_e32 v22, 31, v21
	v_mul_lo_u32 v1, v21, s23
	v_mad_u64_u32 v[23:24], null, v21, s22, 0
	s_delay_alu instid0(VALU_DEP_3) | instskip(SKIP_1) | instid1(VALU_DEP_2)
	v_mul_lo_u32 v5, v22, s22
	v_lshlrev_b64 v[21:22], 2, v[21:22]
	v_add3_u32 v24, v24, v1, v5
	s_delay_alu instid0(VALU_DEP_1) | instskip(NEXT) | instid1(VALU_DEP_1)
	v_lshlrev_b64 v[23:24], 2, v[23:24]
	v_add_co_u32 v1, vcc_lo, s20, v23
	s_delay_alu instid0(VALU_DEP_2)
	v_add_co_ci_u32_e32 v5, vcc_lo, s21, v24, vcc_lo
	v_add_co_u32 v21, vcc_lo, s20, v21
	v_add_co_ci_u32_e32 v22, vcc_lo, s21, v22, vcc_lo
	s_and_saveexec_b32 s19, s3
	s_cbranch_execz .LBB1_16
; %bb.15:                               ;   in Loop: Header=BB1_13 Depth=1
	s_delay_alu instid0(VALU_DEP_2) | instskip(NEXT) | instid1(VALU_DEP_2)
	v_add_co_u32 v23, vcc_lo, v21, v8
	v_add_co_ci_u32_e32 v24, vcc_lo, v22, v9, vcc_lo
	v_add_co_u32 v25, vcc_lo, v1, v10
	v_add_co_ci_u32_e32 v26, vcc_lo, v5, v11, vcc_lo
	s_delay_alu instid0(VALU_DEP_2) | instskip(NEXT) | instid1(VALU_DEP_2)
	v_cndmask_b32_e64 v23, v25, v23, s5
	v_cndmask_b32_e64 v24, v26, v24, s5
	global_load_b32 v23, v[23:24], off
	s_waitcnt vmcnt(0)
	ds_store_b32 v17, v23
.LBB1_16:                               ;   in Loop: Header=BB1_13 Depth=1
	s_or_b32 exec_lo, exec_lo, s19
	s_delay_alu instid0(SALU_CYCLE_1)
	s_and_b32 exec_lo, exec_lo, s4
	s_cbranch_execz .LBB1_18
; %bb.17:                               ;   in Loop: Header=BB1_13 Depth=1
	v_add_co_u32 v21, vcc_lo, v21, v12
	v_add_co_ci_u32_e32 v22, vcc_lo, v22, v13, vcc_lo
	v_add_co_u32 v1, vcc_lo, v1, v14
	v_add_co_ci_u32_e32 v5, vcc_lo, v5, v15, vcc_lo
	s_delay_alu instid0(VALU_DEP_2) | instskip(NEXT) | instid1(VALU_DEP_2)
	v_cndmask_b32_e64 v21, v1, v21, s5
	v_cndmask_b32_e64 v22, v5, v22, s5
	global_load_b32 v1, v[21:22], off
	s_waitcnt vmcnt(0)
	ds_store_b32 v17, v1 offset:256
.LBB1_18:                               ;   in Loop: Header=BB1_13 Depth=1
	s_or_b32 exec_lo, exec_lo, s34
	s_and_saveexec_b32 s19, s15
	s_cbranch_execz .LBB1_20
; %bb.19:                               ;   in Loop: Header=BB1_13 Depth=1
	v_mad_u64_u32 v[21:22], null, s33, s18, v[7:8]
	s_delay_alu instid0(VALU_DEP_1) | instskip(NEXT) | instid1(VALU_DEP_1)
	v_ashrrev_i32_e32 v22, 31, v21
	v_lshlrev_b64 v[21:22], 2, v[21:22]
	s_delay_alu instid0(VALU_DEP_1) | instskip(NEXT) | instid1(VALU_DEP_2)
	v_add_co_u32 v21, vcc_lo, s26, v21
	v_add_co_ci_u32_e32 v22, vcc_lo, s27, v22, vcc_lo
	global_load_b32 v1, v[21:22], off
	s_waitcnt vmcnt(0)
	ds_store_b32 v16, v1
.LBB1_20:                               ;   in Loop: Header=BB1_13 Depth=1
	s_or_b32 exec_lo, exec_lo, s19
	s_waitcnt lgkmcnt(0)
	s_barrier
	buffer_gl0_inv
	s_and_saveexec_b32 s19, s2
	s_cbranch_execz .LBB1_12
; %bb.21:                               ;   in Loop: Header=BB1_13 Depth=1
	s_and_saveexec_b32 s34, s3
	s_cbranch_execz .LBB1_29
; %bb.22:                               ;   in Loop: Header=BB1_13 Depth=1
	s_and_not1_b32 vcc_lo, exec_lo, s9
	s_cbranch_vccnz .LBB1_26
; %bb.23:                               ;   in Loop: Header=BB1_13 Depth=1
	v_mov_b32_e32 v1, v19
	v_mov_b32_e32 v5, v18
	s_mov_b32 s35, 0
	.p2align	6
.LBB1_24:                               ;   Parent Loop BB1_13 Depth=1
                                        ; =>  This Inner Loop Header: Depth=2
	ds_load_b128 v[21:24], v5
	ds_load_b128 v[25:28], v1
	ds_load_b128 v[29:32], v1 offset:16
	ds_load_b128 v[33:36], v5 offset:16
	s_add_i32 s35, s35, 8
	v_add_nc_u32_e32 v5, 32, v5
	s_cmp_lg_u32 s30, s35
	v_add_nc_u32_e32 v1, 32, v1
	s_waitcnt lgkmcnt(2)
	v_fma_f32 v2, v25, v21, v2
	s_delay_alu instid0(VALU_DEP_1) | instskip(NEXT) | instid1(VALU_DEP_1)
	v_fmac_f32_e32 v2, v26, v22
	v_fmac_f32_e32 v2, v27, v23
	s_delay_alu instid0(VALU_DEP_1) | instskip(SKIP_1) | instid1(VALU_DEP_1)
	v_fmac_f32_e32 v2, v28, v24
	s_waitcnt lgkmcnt(0)
	v_fmac_f32_e32 v2, v29, v33
	s_delay_alu instid0(VALU_DEP_1) | instskip(NEXT) | instid1(VALU_DEP_1)
	v_fmac_f32_e32 v2, v30, v34
	v_fmac_f32_e32 v2, v31, v35
	s_delay_alu instid0(VALU_DEP_1)
	v_fmac_f32_e32 v2, v32, v36
	s_cbranch_scc1 .LBB1_24
; %bb.25:                               ;   in Loop: Header=BB1_13 Depth=1
	s_mov_b32 s35, s30
	s_and_not1_b32 vcc_lo, exec_lo, s31
	s_cbranch_vccz .LBB1_27
	s_branch .LBB1_29
.LBB1_26:                               ;   in Loop: Header=BB1_13 Depth=1
	s_mov_b32 s35, 0
	s_and_not1_b32 vcc_lo, exec_lo, s31
	s_cbranch_vccnz .LBB1_29
.LBB1_27:                               ;   in Loop: Header=BB1_13 Depth=1
	s_lshl_b32 s35, s35, 2
	s_delay_alu instid0(SALU_CYCLE_1)
	v_add_nc_u32_e32 v1, s35, v18
	v_add_nc_u32_e32 v5, s35, v19
	s_mov_b32 s35, s8
.LBB1_28:                               ;   Parent Loop BB1_13 Depth=1
                                        ; =>  This Inner Loop Header: Depth=2
	ds_load_b32 v21, v5
	ds_load_b32 v22, v1
	v_add_nc_u32_e32 v1, 4, v1
	v_add_nc_u32_e32 v5, 4, v5
	s_add_i32 s35, s35, -1
	s_delay_alu instid0(SALU_CYCLE_1)
	s_cmp_lg_u32 s35, 0
	s_waitcnt lgkmcnt(0)
	v_fma_f32 v2, v21, v22, v2
	s_cbranch_scc1 .LBB1_28
.LBB1_29:                               ;   in Loop: Header=BB1_13 Depth=1
	s_or_b32 exec_lo, exec_lo, s34
	s_and_saveexec_b32 s34, s4
	s_cbranch_execz .LBB1_11
; %bb.30:                               ;   in Loop: Header=BB1_13 Depth=1
	s_and_not1_b32 vcc_lo, exec_lo, s9
	s_cbranch_vccnz .LBB1_34
; %bb.31:                               ;   in Loop: Header=BB1_13 Depth=1
	v_mov_b32_e32 v1, v19
	v_mov_b32_e32 v5, v20
	s_mov_b32 s35, 0
	.p2align	6
.LBB1_32:                               ;   Parent Loop BB1_13 Depth=1
                                        ; =>  This Inner Loop Header: Depth=2
	ds_load_b128 v[21:24], v5
	ds_load_b128 v[25:28], v1
	ds_load_b128 v[29:32], v1 offset:16
	ds_load_b128 v[33:36], v5 offset:16
	v_add_nc_u32_e32 v5, 32, v5
	v_add_nc_u32_e32 v1, 32, v1
	s_add_i32 s35, s35, 8
	s_delay_alu instid0(SALU_CYCLE_1) | instskip(SKIP_2) | instid1(VALU_DEP_1)
	s_cmp_lg_u32 s30, s35
	s_waitcnt lgkmcnt(2)
	v_fma_f32 v3, v25, v21, v3
	v_fmac_f32_e32 v3, v26, v22
	s_delay_alu instid0(VALU_DEP_1) | instskip(NEXT) | instid1(VALU_DEP_1)
	v_fmac_f32_e32 v3, v27, v23
	v_fmac_f32_e32 v3, v28, v24
	s_waitcnt lgkmcnt(0)
	s_delay_alu instid0(VALU_DEP_1) | instskip(NEXT) | instid1(VALU_DEP_1)
	v_fmac_f32_e32 v3, v29, v33
	v_fmac_f32_e32 v3, v30, v34
	s_delay_alu instid0(VALU_DEP_1) | instskip(NEXT) | instid1(VALU_DEP_1)
	v_fmac_f32_e32 v3, v31, v35
	v_fmac_f32_e32 v3, v32, v36
	s_cbranch_scc1 .LBB1_32
; %bb.33:                               ;   in Loop: Header=BB1_13 Depth=1
	s_mov_b32 s35, s30
	s_and_not1_b32 vcc_lo, exec_lo, s31
	s_cbranch_vccz .LBB1_35
	s_branch .LBB1_11
.LBB1_34:                               ;   in Loop: Header=BB1_13 Depth=1
	s_mov_b32 s35, 0
	s_and_not1_b32 vcc_lo, exec_lo, s31
	s_cbranch_vccnz .LBB1_11
.LBB1_35:                               ;   in Loop: Header=BB1_13 Depth=1
	s_lshl_b32 s35, s35, 2
	s_delay_alu instid0(SALU_CYCLE_1)
	v_add_nc_u32_e32 v1, s35, v20
	v_add_nc_u32_e32 v5, s35, v19
	s_mov_b32 s35, s8
.LBB1_36:                               ;   Parent Loop BB1_13 Depth=1
                                        ; =>  This Inner Loop Header: Depth=2
	ds_load_b32 v21, v5
	ds_load_b32 v22, v1
	v_add_nc_u32_e32 v1, 4, v1
	v_add_nc_u32_e32 v5, 4, v5
	s_add_i32 s35, s35, -1
	s_delay_alu instid0(SALU_CYCLE_1)
	s_cmp_lg_u32 s35, 0
	s_waitcnt lgkmcnt(0)
	v_fma_f32 v3, v21, v22, v3
	s_cbranch_scc1 .LBB1_36
	s_branch .LBB1_11
.LBB1_37:
	s_delay_alu instid0(VALU_DEP_1) | instskip(NEXT) | instid1(SALU_CYCLE_1)
	s_and_b32 s2, s7, s2
	s_and_saveexec_b32 s3, s2
	s_cbranch_execz .LBB1_57
; %bb.38:
	s_load_b64 s[2:3], s[0:1], 0x70
	v_mad_u64_u32 v[7:8], null, s14, s10, v[6:7]
	v_cmp_neq_f32_e64 s4, s12, 0
	s_cmp_lg_u32 s16, 1
	s_mov_b32 s0, exec_lo
	s_cselect_b32 s1, -1, 0
	s_delay_alu instid0(VALU_DEP_2) | instskip(SKIP_1) | instid1(VALU_DEP_1)
	v_ashrrev_i32_e32 v8, 31, v7
	s_waitcnt lgkmcnt(0)
	v_mul_lo_u32 v1, v8, s2
	v_mul_lo_u32 v9, v7, s3
	v_mad_u64_u32 v[5:6], null, v7, s2, 0
	v_lshlrev_b64 v[7:8], 2, v[7:8]
	s_delay_alu instid0(VALU_DEP_2) | instskip(NEXT) | instid1(VALU_DEP_1)
	v_add3_u32 v6, v6, v9, v1
	v_lshlrev_b64 v[9:10], 2, v[5:6]
	s_delay_alu instid0(VALU_DEP_3) | instskip(NEXT) | instid1(VALU_DEP_4)
	v_add_co_u32 v6, vcc_lo, s28, v7
	v_add_co_ci_u32_e32 v7, vcc_lo, s29, v8, vcc_lo
	s_delay_alu instid0(VALU_DEP_3) | instskip(NEXT) | instid1(VALU_DEP_4)
	v_add_co_u32 v8, vcc_lo, s28, v9
	v_add_co_ci_u32_e32 v9, vcc_lo, s29, v10, vcc_lo
	v_cmpx_gt_i32_e64 s11, v4
	s_cbranch_execz .LBB1_50
; %bb.39:
	v_ashrrev_i32_e32 v5, 31, v4
	s_and_b32 vcc_lo, exec_lo, s4
	s_cbranch_vccz .LBB1_45
; %bb.40:
	s_and_b32 vcc_lo, exec_lo, s1
	s_mov_b32 s5, -1
	s_cbranch_vccz .LBB1_42
; %bb.41:
	v_lshlrev_b64 v[10:11], 2, v[4:5]
	v_mul_f32_e32 v12, s6, v2
	s_mov_b32 s5, 0
	s_delay_alu instid0(VALU_DEP_2) | instskip(NEXT) | instid1(VALU_DEP_3)
	v_add_co_u32 v10, vcc_lo, v8, v10
	v_add_co_ci_u32_e32 v11, vcc_lo, v9, v11, vcc_lo
	global_load_b32 v1, v[10:11], off
	s_waitcnt vmcnt(0)
	v_fmac_f32_e32 v12, s12, v1
	global_store_b32 v[10:11], v12, off
.LBB1_42:
	s_and_not1_b32 vcc_lo, exec_lo, s5
	s_cbranch_vccnz .LBB1_44
; %bb.43:
	v_mul_lo_u32 v1, v5, s2
	v_mul_lo_u32 v12, v4, s3
	v_mad_u64_u32 v[10:11], null, v4, s2, 0
	s_delay_alu instid0(VALU_DEP_1) | instskip(SKIP_1) | instid1(VALU_DEP_2)
	v_add3_u32 v11, v11, v12, v1
	v_mul_f32_e32 v12, s6, v2
	v_lshlrev_b64 v[10:11], 2, v[10:11]
	s_delay_alu instid0(VALU_DEP_1) | instskip(NEXT) | instid1(VALU_DEP_2)
	v_add_co_u32 v10, vcc_lo, v6, v10
	v_add_co_ci_u32_e32 v11, vcc_lo, v7, v11, vcc_lo
	global_load_b32 v1, v[10:11], off
	s_waitcnt vmcnt(0)
	v_fmac_f32_e32 v12, s12, v1
	global_store_b32 v[10:11], v12, off
.LBB1_44:
	s_cbranch_execz .LBB1_46
	s_branch .LBB1_50
.LBB1_45:
.LBB1_46:
	v_mul_f32_e32 v1, s6, v2
	s_and_b32 vcc_lo, exec_lo, s1
	s_mov_b32 s5, -1
	s_cbranch_vccz .LBB1_48
; %bb.47:
	v_lshlrev_b64 v[10:11], 2, v[4:5]
	s_mov_b32 s5, 0
	s_delay_alu instid0(VALU_DEP_1) | instskip(NEXT) | instid1(VALU_DEP_2)
	v_add_co_u32 v10, vcc_lo, v8, v10
	v_add_co_ci_u32_e32 v11, vcc_lo, v9, v11, vcc_lo
	global_store_b32 v[10:11], v1, off
.LBB1_48:
	s_and_not1_b32 vcc_lo, exec_lo, s5
	s_cbranch_vccnz .LBB1_50
; %bb.49:
	v_mul_lo_u32 v2, v5, s2
	v_mul_lo_u32 v5, v4, s3
	v_mad_u64_u32 v[10:11], null, v4, s2, 0
	s_delay_alu instid0(VALU_DEP_1) | instskip(NEXT) | instid1(VALU_DEP_1)
	v_add3_u32 v11, v11, v5, v2
	v_lshlrev_b64 v[4:5], 2, v[10:11]
	s_delay_alu instid0(VALU_DEP_1) | instskip(NEXT) | instid1(VALU_DEP_2)
	v_add_co_u32 v4, vcc_lo, v6, v4
	v_add_co_ci_u32_e32 v5, vcc_lo, v7, v5, vcc_lo
	global_store_b32 v[4:5], v1, off
.LBB1_50:
	s_or_b32 exec_lo, exec_lo, s0
	v_cmp_gt_i32_e32 vcc_lo, s11, v0
	s_and_b32 exec_lo, exec_lo, vcc_lo
	s_cbranch_execz .LBB1_57
; %bb.51:
	v_cndmask_b32_e64 v2, 0, 1, s1
	v_ashrrev_i32_e32 v1, 31, v0
	s_and_not1_b32 vcc_lo, exec_lo, s4
	s_delay_alu instid0(VALU_DEP_2)
	v_cmp_ne_u32_e64 s0, 1, v2
	s_cbranch_vccnz .LBB1_58
; %bb.52:
	s_delay_alu instid0(VALU_DEP_1)
	s_and_b32 vcc_lo, exec_lo, s0
	s_mov_b32 s0, -1
	s_cbranch_vccnz .LBB1_54
; %bb.53:
	v_lshlrev_b64 v[4:5], 2, v[0:1]
	v_mul_f32_e32 v10, s6, v3
	s_mov_b32 s0, 0
	s_delay_alu instid0(VALU_DEP_2) | instskip(NEXT) | instid1(VALU_DEP_3)
	v_add_co_u32 v4, vcc_lo, v8, v4
	v_add_co_ci_u32_e32 v5, vcc_lo, v9, v5, vcc_lo
	global_load_b32 v2, v[4:5], off
	s_waitcnt vmcnt(0)
	v_fmac_f32_e32 v10, s12, v2
	global_store_b32 v[4:5], v10, off
.LBB1_54:
	s_and_not1_b32 vcc_lo, exec_lo, s0
	s_cbranch_vccnz .LBB1_56
; %bb.55:
	v_mul_lo_u32 v2, v1, s2
	v_mul_lo_u32 v10, v0, s3
	v_mad_u64_u32 v[4:5], null, v0, s2, 0
	s_delay_alu instid0(VALU_DEP_1) | instskip(SKIP_1) | instid1(VALU_DEP_2)
	v_add3_u32 v5, v5, v10, v2
	v_mul_f32_e32 v10, s6, v3
	v_lshlrev_b64 v[4:5], 2, v[4:5]
	s_delay_alu instid0(VALU_DEP_1) | instskip(NEXT) | instid1(VALU_DEP_2)
	v_add_co_u32 v4, vcc_lo, v6, v4
	v_add_co_ci_u32_e32 v5, vcc_lo, v7, v5, vcc_lo
	global_load_b32 v2, v[4:5], off
	s_waitcnt vmcnt(0)
	v_fmac_f32_e32 v10, s12, v2
	global_store_b32 v[4:5], v10, off
.LBB1_56:
	s_cbranch_execz .LBB1_59
.LBB1_57:
	s_nop 0
	s_sendmsg sendmsg(MSG_DEALLOC_VGPRS)
	s_endpgm
.LBB1_58:
.LBB1_59:
	v_mul_f32_e32 v2, s6, v3
	s_and_not1_b32 vcc_lo, exec_lo, s1
	s_mov_b32 s0, -1
	s_cbranch_vccnz .LBB1_61
; %bb.60:
	v_lshlrev_b64 v[3:4], 2, v[0:1]
	s_mov_b32 s0, 0
	s_delay_alu instid0(VALU_DEP_1) | instskip(NEXT) | instid1(VALU_DEP_2)
	v_add_co_u32 v3, vcc_lo, v8, v3
	v_add_co_ci_u32_e32 v4, vcc_lo, v9, v4, vcc_lo
	global_store_b32 v[3:4], v2, off
.LBB1_61:
	s_and_not1_b32 vcc_lo, exec_lo, s0
	s_cbranch_vccnz .LBB1_57
; %bb.62:
	v_mul_lo_u32 v1, v1, s2
	v_mul_lo_u32 v5, v0, s3
	v_mad_u64_u32 v[3:4], null, v0, s2, 0
	s_delay_alu instid0(VALU_DEP_1) | instskip(NEXT) | instid1(VALU_DEP_1)
	v_add3_u32 v4, v4, v5, v1
	v_lshlrev_b64 v[0:1], 2, v[3:4]
	s_delay_alu instid0(VALU_DEP_1) | instskip(NEXT) | instid1(VALU_DEP_2)
	v_add_co_u32 v0, vcc_lo, v6, v0
	v_add_co_ci_u32_e32 v1, vcc_lo, v7, v1, vcc_lo
	global_store_b32 v[0:1], v2, off
	s_nop 0
	s_sendmsg sendmsg(MSG_DEALLOC_VGPRS)
	s_endpgm
	.section	.rodata,"a",@progbits
	.p2align	6, 0x0
	.amdhsa_kernel _ZN9rocsparseL31bsrmm_large_blockdim_kernel_extILj4ELj16ELj2EiiffffEEvb20rocsparse_direction_T3_S2_llNS_24const_host_device_scalarIT7_EEPKT2_PKS2_PKT4_S2_PKT5_llS5_PT6_ll16rocsparse_order_21rocsparse_index_base_b
		.amdhsa_group_segment_fixed_size 576
		.amdhsa_private_segment_fixed_size 0
		.amdhsa_kernarg_size 140
		.amdhsa_user_sgpr_count 14
		.amdhsa_user_sgpr_dispatch_ptr 0
		.amdhsa_user_sgpr_queue_ptr 0
		.amdhsa_user_sgpr_kernarg_segment_ptr 1
		.amdhsa_user_sgpr_dispatch_id 0
		.amdhsa_user_sgpr_private_segment_size 0
		.amdhsa_wavefront_size32 1
		.amdhsa_uses_dynamic_stack 0
		.amdhsa_enable_private_segment 0
		.amdhsa_system_sgpr_workgroup_id_x 1
		.amdhsa_system_sgpr_workgroup_id_y 1
		.amdhsa_system_sgpr_workgroup_id_z 0
		.amdhsa_system_sgpr_workgroup_info 0
		.amdhsa_system_vgpr_workitem_id 1
		.amdhsa_next_free_vgpr 37
		.amdhsa_next_free_sgpr 38
		.amdhsa_reserve_vcc 1
		.amdhsa_float_round_mode_32 0
		.amdhsa_float_round_mode_16_64 0
		.amdhsa_float_denorm_mode_32 3
		.amdhsa_float_denorm_mode_16_64 3
		.amdhsa_dx10_clamp 1
		.amdhsa_ieee_mode 1
		.amdhsa_fp16_overflow 0
		.amdhsa_workgroup_processor_mode 1
		.amdhsa_memory_ordered 1
		.amdhsa_forward_progress 0
		.amdhsa_shared_vgpr_count 0
		.amdhsa_exception_fp_ieee_invalid_op 0
		.amdhsa_exception_fp_denorm_src 0
		.amdhsa_exception_fp_ieee_div_zero 0
		.amdhsa_exception_fp_ieee_overflow 0
		.amdhsa_exception_fp_ieee_underflow 0
		.amdhsa_exception_fp_ieee_inexact 0
		.amdhsa_exception_int_div_zero 0
	.end_amdhsa_kernel
	.section	.text._ZN9rocsparseL31bsrmm_large_blockdim_kernel_extILj4ELj16ELj2EiiffffEEvb20rocsparse_direction_T3_S2_llNS_24const_host_device_scalarIT7_EEPKT2_PKS2_PKT4_S2_PKT5_llS5_PT6_ll16rocsparse_order_21rocsparse_index_base_b,"axG",@progbits,_ZN9rocsparseL31bsrmm_large_blockdim_kernel_extILj4ELj16ELj2EiiffffEEvb20rocsparse_direction_T3_S2_llNS_24const_host_device_scalarIT7_EEPKT2_PKS2_PKT4_S2_PKT5_llS5_PT6_ll16rocsparse_order_21rocsparse_index_base_b,comdat
.Lfunc_end1:
	.size	_ZN9rocsparseL31bsrmm_large_blockdim_kernel_extILj4ELj16ELj2EiiffffEEvb20rocsparse_direction_T3_S2_llNS_24const_host_device_scalarIT7_EEPKT2_PKS2_PKT4_S2_PKT5_llS5_PT6_ll16rocsparse_order_21rocsparse_index_base_b, .Lfunc_end1-_ZN9rocsparseL31bsrmm_large_blockdim_kernel_extILj4ELj16ELj2EiiffffEEvb20rocsparse_direction_T3_S2_llNS_24const_host_device_scalarIT7_EEPKT2_PKS2_PKT4_S2_PKT5_llS5_PT6_ll16rocsparse_order_21rocsparse_index_base_b
                                        ; -- End function
	.section	.AMDGPU.csdata,"",@progbits
; Kernel info:
; codeLenInByte = 2412
; NumSgprs: 40
; NumVgprs: 37
; ScratchSize: 0
; MemoryBound: 0
; FloatMode: 240
; IeeeMode: 1
; LDSByteSize: 576 bytes/workgroup (compile time only)
; SGPRBlocks: 4
; VGPRBlocks: 4
; NumSGPRsForWavesPerEU: 40
; NumVGPRsForWavesPerEU: 37
; Occupancy: 16
; WaveLimiterHint : 1
; COMPUTE_PGM_RSRC2:SCRATCH_EN: 0
; COMPUTE_PGM_RSRC2:USER_SGPR: 14
; COMPUTE_PGM_RSRC2:TRAP_HANDLER: 0
; COMPUTE_PGM_RSRC2:TGID_X_EN: 1
; COMPUTE_PGM_RSRC2:TGID_Y_EN: 1
; COMPUTE_PGM_RSRC2:TGID_Z_EN: 0
; COMPUTE_PGM_RSRC2:TIDIG_COMP_CNT: 1
	.section	.text._ZN9rocsparseL31bsrmm_large_blockdim_kernel_extILj16ELj16ELj2EiiffffEEvb20rocsparse_direction_T3_S2_llNS_24const_host_device_scalarIT7_EEPKT2_PKS2_PKT4_S2_PKT5_llS5_PT6_ll16rocsparse_order_21rocsparse_index_base_b,"axG",@progbits,_ZN9rocsparseL31bsrmm_large_blockdim_kernel_extILj16ELj16ELj2EiiffffEEvb20rocsparse_direction_T3_S2_llNS_24const_host_device_scalarIT7_EEPKT2_PKS2_PKT4_S2_PKT5_llS5_PT6_ll16rocsparse_order_21rocsparse_index_base_b,comdat
	.globl	_ZN9rocsparseL31bsrmm_large_blockdim_kernel_extILj16ELj16ELj2EiiffffEEvb20rocsparse_direction_T3_S2_llNS_24const_host_device_scalarIT7_EEPKT2_PKS2_PKT4_S2_PKT5_llS5_PT6_ll16rocsparse_order_21rocsparse_index_base_b ; -- Begin function _ZN9rocsparseL31bsrmm_large_blockdim_kernel_extILj16ELj16ELj2EiiffffEEvb20rocsparse_direction_T3_S2_llNS_24const_host_device_scalarIT7_EEPKT2_PKS2_PKT4_S2_PKT5_llS5_PT6_ll16rocsparse_order_21rocsparse_index_base_b
	.p2align	8
	.type	_ZN9rocsparseL31bsrmm_large_blockdim_kernel_extILj16ELj16ELj2EiiffffEEvb20rocsparse_direction_T3_S2_llNS_24const_host_device_scalarIT7_EEPKT2_PKS2_PKT4_S2_PKT5_llS5_PT6_ll16rocsparse_order_21rocsparse_index_base_b,@function
_ZN9rocsparseL31bsrmm_large_blockdim_kernel_extILj16ELj16ELj2EiiffffEEvb20rocsparse_direction_T3_S2_llNS_24const_host_device_scalarIT7_EEPKT2_PKS2_PKT4_S2_PKT5_llS5_PT6_ll16rocsparse_order_21rocsparse_index_base_b: ; @_ZN9rocsparseL31bsrmm_large_blockdim_kernel_extILj16ELj16ELj2EiiffffEEvb20rocsparse_direction_T3_S2_llNS_24const_host_device_scalarIT7_EEPKT2_PKS2_PKT4_S2_PKT5_llS5_PT6_ll16rocsparse_order_21rocsparse_index_base_b
; %bb.0:
	s_clause 0x2
	s_load_b128 s[16:19], s[0:1], 0x80
	s_load_b64 s[6:7], s[0:1], 0x20
	s_load_b64 s[12:13], s[0:1], 0x60
	s_mov_b32 s2, s15
	s_waitcnt lgkmcnt(0)
	s_bitcmp1_b32 s18, 0
	s_cselect_b32 s3, -1, 0
	s_delay_alu instid0(SALU_CYCLE_1)
	s_and_b32 vcc_lo, exec_lo, s3
	s_xor_b32 s3, s3, -1
	s_cbranch_vccnz .LBB2_2
; %bb.1:
	s_load_b32 s6, s[6:7], 0x0
.LBB2_2:
	s_and_not1_b32 vcc_lo, exec_lo, s3
	s_cbranch_vccnz .LBB2_4
; %bb.3:
	s_load_b32 s12, s[12:13], 0x0
.LBB2_4:
	s_waitcnt lgkmcnt(0)
	v_cmp_eq_f32_e64 s3, s6, 0
	v_cmp_eq_f32_e64 s4, s12, 1.0
	s_mov_b32 s18, 0
	s_delay_alu instid0(VALU_DEP_1) | instskip(NEXT) | instid1(SALU_CYCLE_1)
	s_and_b32 s3, s3, s4
	s_and_b32 vcc_lo, exec_lo, s3
	s_cbranch_vccnz .LBB2_57
; %bb.5:
	s_clause 0x1
	s_load_b128 s[8:11], s[0:1], 0x0
	s_load_b64 s[4:5], s[0:1], 0x28
	s_waitcnt lgkmcnt(0)
	s_cmp_lt_i32 s14, s10
	s_cselect_b32 s7, -1, 0
	s_cmp_ge_i32 s14, s10
	s_cbranch_scc1 .LBB2_7
; %bb.6:
	s_ashr_i32 s15, s14, 31
	s_delay_alu instid0(SALU_CYCLE_1) | instskip(NEXT) | instid1(SALU_CYCLE_1)
	s_lshl_b64 s[18:19], s[14:15], 2
	s_add_u32 s18, s4, s18
	s_addc_u32 s19, s5, s19
	s_load_b32 s3, s[18:19], 0x0
	s_waitcnt lgkmcnt(0)
	s_sub_i32 s18, s3, s17
.LBB2_7:
	s_mov_b32 s20, 0
	s_and_not1_b32 vcc_lo, exec_lo, s7
	s_mov_b32 s13, 0
	s_cbranch_vccnz .LBB2_9
; %bb.8:
	s_ashr_i32 s15, s14, 31
	s_delay_alu instid0(SALU_CYCLE_1) | instskip(NEXT) | instid1(SALU_CYCLE_1)
	s_lshl_b64 s[22:23], s[14:15], 2
	s_add_u32 s4, s4, s22
	s_addc_u32 s5, s5, s23
	s_load_b32 s3, s[4:5], 0x4
	s_waitcnt lgkmcnt(0)
	s_sub_i32 s13, s3, s17
.LBB2_9:
	s_clause 0x1
	s_load_b32 s10, s[0:1], 0x40
	s_load_b64 s[28:29], s[0:1], 0x68
	v_bfe_u32 v8, v0, 10, 10
	s_mov_b32 s21, s20
	v_and_b32_e32 v6, 0x3ff, v0
	v_dual_mov_b32 v2, s20 :: v_dual_mov_b32 v3, s21
	s_delay_alu instid0(VALU_DEP_3) | instskip(SKIP_1) | instid1(VALU_DEP_1)
	v_lshl_add_u32 v4, s2, 5, v8
	s_cmp_ge_i32 s18, s13
	v_add_nc_u32_e32 v0, 16, v4
	v_cmp_gt_i32_e64 s3, s11, v4
	s_delay_alu instid0(VALU_DEP_2)
	v_cmp_gt_i32_e64 s4, s11, v0
	s_waitcnt lgkmcnt(0)
	v_cmp_gt_i32_e64 s2, s10, v6
	s_cbranch_scc1 .LBB2_37
; %bb.10:
	s_clause 0x1
	s_load_b128 s[20:23], s[0:1], 0x48
	s_load_b128 s[24:27], s[0:1], 0x30
	s_mov_b32 s34, 0
	v_ashrrev_i32_e32 v5, 31, v4
	v_ashrrev_i32_e32 v1, 31, v0
	s_mov_b32 s35, s34
	v_lshlrev_b32_e32 v7, 4, v8
	v_cmp_gt_i32_e32 vcc_lo, s10, v8
	v_mad_u64_u32 v[9:10], null, v6, s10, v[8:9]
	s_mul_i32 s33, s10, s10
	s_delay_alu instid0(VALU_DEP_3)
	v_mad_u64_u32 v[2:3], null, v8, s10, v[6:7]
	s_and_b32 s15, s2, vcc_lo
	s_bitcmp1_b32 s8, 0
	v_lshl_add_u32 v3, v6, 4, v8
	s_cselect_b32 s5, -1, 0
	s_cmp_eq_u32 s9, 0
	v_add_lshl_u32 v17, v7, v6, 2
	s_cselect_b32 vcc_lo, -1, 0
	s_waitcnt lgkmcnt(0)
	v_mul_lo_u32 v14, v4, s23
	v_mul_lo_u32 v15, v5, s22
	v_mad_u64_u32 v[10:11], null, v4, s22, 0
	v_mul_lo_u32 v18, v0, s23
	v_mul_lo_u32 v19, v1, s22
	v_mad_u64_u32 v[12:13], null, v0, s22, 0
	v_cndmask_b32_e32 v7, v2, v9, vcc_lo
	s_add_i32 s9, s10, -1
	v_add3_u32 v11, v11, v14, v15
	s_and_b32 s8, s10, 7
	s_cmp_gt_u32 s9, 6
	v_lshl_add_u32 v16, v3, 2, 0x800
	s_delay_alu instid0(VALU_DEP_4)
	v_add3_u32 v13, v13, v18, v19
	v_lshlrev_b32_e32 v18, 6, v8
	v_mov_b32_e32 v2, s34
	v_lshlrev_b64 v[8:9], 2, v[10:11]
	v_lshlrev_b64 v[10:11], 2, v[4:5]
	;; [unrolled: 1-line block ×4, first 2 shown]
	s_cselect_b32 s9, -1, 0
	s_and_b32 s30, s10, -8
	v_lshl_add_u32 v19, v6, 6, 0x800
	v_dual_mov_b32 v3, s35 :: v_dual_add_nc_u32 v20, 0x400, v18
	s_cmp_lg_u32 s8, 0
	s_cselect_b32 s31, -1, 0
	s_branch .LBB2_13
.LBB2_11:                               ;   in Loop: Header=BB2_13 Depth=1
	s_or_b32 exec_lo, exec_lo, s34
.LBB2_12:                               ;   in Loop: Header=BB2_13 Depth=1
	s_delay_alu instid0(SALU_CYCLE_1) | instskip(SKIP_1) | instid1(SALU_CYCLE_1)
	s_or_b32 exec_lo, exec_lo, s19
	s_add_i32 s18, s18, 1
	s_cmp_ge_i32 s18, s13
	s_barrier
	buffer_gl0_inv
	s_cbranch_scc1 .LBB2_37
.LBB2_13:                               ; =>This Loop Header: Depth=1
                                        ;     Child Loop BB2_24 Depth 2
                                        ;     Child Loop BB2_28 Depth 2
	;; [unrolled: 1-line block ×4, first 2 shown]
	s_and_saveexec_b32 s34, s2
	s_cbranch_execz .LBB2_18
; %bb.14:                               ;   in Loop: Header=BB2_13 Depth=1
	s_ashr_i32 s19, s18, 31
	s_delay_alu instid0(SALU_CYCLE_1) | instskip(NEXT) | instid1(SALU_CYCLE_1)
	s_lshl_b64 s[36:37], s[18:19], 2
	s_add_u32 s36, s24, s36
	s_addc_u32 s37, s25, s37
	s_load_b32 s19, s[36:37], 0x0
	s_waitcnt lgkmcnt(0)
	s_sub_i32 s19, s19, s17
	s_delay_alu instid0(SALU_CYCLE_1) | instskip(NEXT) | instid1(VALU_DEP_1)
	v_mad_u64_u32 v[21:22], null, s19, s10, v[6:7]
	v_ashrrev_i32_e32 v22, 31, v21
	v_mul_lo_u32 v1, v21, s23
	v_mad_u64_u32 v[23:24], null, v21, s22, 0
	s_delay_alu instid0(VALU_DEP_3) | instskip(SKIP_1) | instid1(VALU_DEP_2)
	v_mul_lo_u32 v5, v22, s22
	v_lshlrev_b64 v[21:22], 2, v[21:22]
	v_add3_u32 v24, v24, v1, v5
	s_delay_alu instid0(VALU_DEP_1) | instskip(NEXT) | instid1(VALU_DEP_1)
	v_lshlrev_b64 v[23:24], 2, v[23:24]
	v_add_co_u32 v1, vcc_lo, s20, v23
	s_delay_alu instid0(VALU_DEP_2)
	v_add_co_ci_u32_e32 v5, vcc_lo, s21, v24, vcc_lo
	v_add_co_u32 v21, vcc_lo, s20, v21
	v_add_co_ci_u32_e32 v22, vcc_lo, s21, v22, vcc_lo
	s_and_saveexec_b32 s19, s3
	s_cbranch_execz .LBB2_16
; %bb.15:                               ;   in Loop: Header=BB2_13 Depth=1
	s_delay_alu instid0(VALU_DEP_2) | instskip(NEXT) | instid1(VALU_DEP_2)
	v_add_co_u32 v23, vcc_lo, v21, v8
	v_add_co_ci_u32_e32 v24, vcc_lo, v22, v9, vcc_lo
	v_add_co_u32 v25, vcc_lo, v1, v10
	v_add_co_ci_u32_e32 v26, vcc_lo, v5, v11, vcc_lo
	s_delay_alu instid0(VALU_DEP_2) | instskip(NEXT) | instid1(VALU_DEP_2)
	v_cndmask_b32_e64 v23, v25, v23, s5
	v_cndmask_b32_e64 v24, v26, v24, s5
	global_load_b32 v23, v[23:24], off
	s_waitcnt vmcnt(0)
	ds_store_b32 v17, v23
.LBB2_16:                               ;   in Loop: Header=BB2_13 Depth=1
	s_or_b32 exec_lo, exec_lo, s19
	s_delay_alu instid0(SALU_CYCLE_1)
	s_and_b32 exec_lo, exec_lo, s4
	s_cbranch_execz .LBB2_18
; %bb.17:                               ;   in Loop: Header=BB2_13 Depth=1
	v_add_co_u32 v21, vcc_lo, v21, v12
	v_add_co_ci_u32_e32 v22, vcc_lo, v22, v13, vcc_lo
	v_add_co_u32 v1, vcc_lo, v1, v14
	v_add_co_ci_u32_e32 v5, vcc_lo, v5, v15, vcc_lo
	s_delay_alu instid0(VALU_DEP_2) | instskip(NEXT) | instid1(VALU_DEP_2)
	v_cndmask_b32_e64 v21, v1, v21, s5
	v_cndmask_b32_e64 v22, v5, v22, s5
	global_load_b32 v1, v[21:22], off
	s_waitcnt vmcnt(0)
	ds_store_b32 v17, v1 offset:1024
.LBB2_18:                               ;   in Loop: Header=BB2_13 Depth=1
	s_or_b32 exec_lo, exec_lo, s34
	s_and_saveexec_b32 s19, s15
	s_cbranch_execz .LBB2_20
; %bb.19:                               ;   in Loop: Header=BB2_13 Depth=1
	v_mad_u64_u32 v[21:22], null, s33, s18, v[7:8]
	s_delay_alu instid0(VALU_DEP_1) | instskip(NEXT) | instid1(VALU_DEP_1)
	v_ashrrev_i32_e32 v22, 31, v21
	v_lshlrev_b64 v[21:22], 2, v[21:22]
	s_delay_alu instid0(VALU_DEP_1) | instskip(NEXT) | instid1(VALU_DEP_2)
	v_add_co_u32 v21, vcc_lo, s26, v21
	v_add_co_ci_u32_e32 v22, vcc_lo, s27, v22, vcc_lo
	global_load_b32 v1, v[21:22], off
	s_waitcnt vmcnt(0)
	ds_store_b32 v16, v1
.LBB2_20:                               ;   in Loop: Header=BB2_13 Depth=1
	s_or_b32 exec_lo, exec_lo, s19
	s_waitcnt lgkmcnt(0)
	s_barrier
	buffer_gl0_inv
	s_and_saveexec_b32 s19, s2
	s_cbranch_execz .LBB2_12
; %bb.21:                               ;   in Loop: Header=BB2_13 Depth=1
	s_and_saveexec_b32 s34, s3
	s_cbranch_execz .LBB2_29
; %bb.22:                               ;   in Loop: Header=BB2_13 Depth=1
	s_and_not1_b32 vcc_lo, exec_lo, s9
	s_cbranch_vccnz .LBB2_26
; %bb.23:                               ;   in Loop: Header=BB2_13 Depth=1
	v_mov_b32_e32 v1, v19
	v_mov_b32_e32 v5, v18
	s_mov_b32 s35, 0
	.p2align	6
.LBB2_24:                               ;   Parent Loop BB2_13 Depth=1
                                        ; =>  This Inner Loop Header: Depth=2
	ds_load_b128 v[21:24], v5
	ds_load_b128 v[25:28], v1
	ds_load_b128 v[29:32], v1 offset:16
	ds_load_b128 v[33:36], v5 offset:16
	s_add_i32 s35, s35, 8
	v_add_nc_u32_e32 v5, 32, v5
	s_cmp_lg_u32 s30, s35
	v_add_nc_u32_e32 v1, 32, v1
	s_waitcnt lgkmcnt(2)
	v_fma_f32 v2, v25, v21, v2
	s_delay_alu instid0(VALU_DEP_1) | instskip(NEXT) | instid1(VALU_DEP_1)
	v_fmac_f32_e32 v2, v26, v22
	v_fmac_f32_e32 v2, v27, v23
	s_delay_alu instid0(VALU_DEP_1) | instskip(SKIP_1) | instid1(VALU_DEP_1)
	v_fmac_f32_e32 v2, v28, v24
	s_waitcnt lgkmcnt(0)
	v_fmac_f32_e32 v2, v29, v33
	s_delay_alu instid0(VALU_DEP_1) | instskip(NEXT) | instid1(VALU_DEP_1)
	v_fmac_f32_e32 v2, v30, v34
	v_fmac_f32_e32 v2, v31, v35
	s_delay_alu instid0(VALU_DEP_1)
	v_fmac_f32_e32 v2, v32, v36
	s_cbranch_scc1 .LBB2_24
; %bb.25:                               ;   in Loop: Header=BB2_13 Depth=1
	s_mov_b32 s35, s30
	s_and_not1_b32 vcc_lo, exec_lo, s31
	s_cbranch_vccz .LBB2_27
	s_branch .LBB2_29
.LBB2_26:                               ;   in Loop: Header=BB2_13 Depth=1
	s_mov_b32 s35, 0
	s_and_not1_b32 vcc_lo, exec_lo, s31
	s_cbranch_vccnz .LBB2_29
.LBB2_27:                               ;   in Loop: Header=BB2_13 Depth=1
	s_lshl_b32 s35, s35, 2
	s_delay_alu instid0(SALU_CYCLE_1)
	v_add_nc_u32_e32 v1, s35, v18
	v_add_nc_u32_e32 v5, s35, v19
	s_mov_b32 s35, s8
.LBB2_28:                               ;   Parent Loop BB2_13 Depth=1
                                        ; =>  This Inner Loop Header: Depth=2
	ds_load_b32 v21, v5
	ds_load_b32 v22, v1
	v_add_nc_u32_e32 v1, 4, v1
	v_add_nc_u32_e32 v5, 4, v5
	s_add_i32 s35, s35, -1
	s_delay_alu instid0(SALU_CYCLE_1)
	s_cmp_lg_u32 s35, 0
	s_waitcnt lgkmcnt(0)
	v_fma_f32 v2, v21, v22, v2
	s_cbranch_scc1 .LBB2_28
.LBB2_29:                               ;   in Loop: Header=BB2_13 Depth=1
	s_or_b32 exec_lo, exec_lo, s34
	s_and_saveexec_b32 s34, s4
	s_cbranch_execz .LBB2_11
; %bb.30:                               ;   in Loop: Header=BB2_13 Depth=1
	s_and_not1_b32 vcc_lo, exec_lo, s9
	s_cbranch_vccnz .LBB2_34
; %bb.31:                               ;   in Loop: Header=BB2_13 Depth=1
	v_mov_b32_e32 v1, v19
	v_mov_b32_e32 v5, v20
	s_mov_b32 s35, 0
	.p2align	6
.LBB2_32:                               ;   Parent Loop BB2_13 Depth=1
                                        ; =>  This Inner Loop Header: Depth=2
	ds_load_b128 v[21:24], v5
	ds_load_b128 v[25:28], v1
	ds_load_b128 v[29:32], v1 offset:16
	ds_load_b128 v[33:36], v5 offset:16
	v_add_nc_u32_e32 v5, 32, v5
	v_add_nc_u32_e32 v1, 32, v1
	s_add_i32 s35, s35, 8
	s_delay_alu instid0(SALU_CYCLE_1) | instskip(SKIP_2) | instid1(VALU_DEP_1)
	s_cmp_lg_u32 s30, s35
	s_waitcnt lgkmcnt(2)
	v_fma_f32 v3, v25, v21, v3
	v_fmac_f32_e32 v3, v26, v22
	s_delay_alu instid0(VALU_DEP_1) | instskip(NEXT) | instid1(VALU_DEP_1)
	v_fmac_f32_e32 v3, v27, v23
	v_fmac_f32_e32 v3, v28, v24
	s_waitcnt lgkmcnt(0)
	s_delay_alu instid0(VALU_DEP_1) | instskip(NEXT) | instid1(VALU_DEP_1)
	v_fmac_f32_e32 v3, v29, v33
	v_fmac_f32_e32 v3, v30, v34
	s_delay_alu instid0(VALU_DEP_1) | instskip(NEXT) | instid1(VALU_DEP_1)
	v_fmac_f32_e32 v3, v31, v35
	v_fmac_f32_e32 v3, v32, v36
	s_cbranch_scc1 .LBB2_32
; %bb.33:                               ;   in Loop: Header=BB2_13 Depth=1
	s_mov_b32 s35, s30
	s_and_not1_b32 vcc_lo, exec_lo, s31
	s_cbranch_vccz .LBB2_35
	s_branch .LBB2_11
.LBB2_34:                               ;   in Loop: Header=BB2_13 Depth=1
	s_mov_b32 s35, 0
	s_and_not1_b32 vcc_lo, exec_lo, s31
	s_cbranch_vccnz .LBB2_11
.LBB2_35:                               ;   in Loop: Header=BB2_13 Depth=1
	s_lshl_b32 s35, s35, 2
	s_delay_alu instid0(SALU_CYCLE_1)
	v_add_nc_u32_e32 v1, s35, v20
	v_add_nc_u32_e32 v5, s35, v19
	s_mov_b32 s35, s8
.LBB2_36:                               ;   Parent Loop BB2_13 Depth=1
                                        ; =>  This Inner Loop Header: Depth=2
	ds_load_b32 v21, v5
	ds_load_b32 v22, v1
	v_add_nc_u32_e32 v1, 4, v1
	v_add_nc_u32_e32 v5, 4, v5
	s_add_i32 s35, s35, -1
	s_delay_alu instid0(SALU_CYCLE_1)
	s_cmp_lg_u32 s35, 0
	s_waitcnt lgkmcnt(0)
	v_fma_f32 v3, v21, v22, v3
	s_cbranch_scc1 .LBB2_36
	s_branch .LBB2_11
.LBB2_37:
	s_delay_alu instid0(VALU_DEP_1) | instskip(NEXT) | instid1(SALU_CYCLE_1)
	s_and_b32 s2, s7, s2
	s_and_saveexec_b32 s3, s2
	s_cbranch_execz .LBB2_57
; %bb.38:
	s_load_b64 s[2:3], s[0:1], 0x70
	v_mad_u64_u32 v[7:8], null, s14, s10, v[6:7]
	v_cmp_neq_f32_e64 s4, s12, 0
	s_cmp_lg_u32 s16, 1
	s_mov_b32 s0, exec_lo
	s_cselect_b32 s1, -1, 0
	s_delay_alu instid0(VALU_DEP_2) | instskip(SKIP_1) | instid1(VALU_DEP_1)
	v_ashrrev_i32_e32 v8, 31, v7
	s_waitcnt lgkmcnt(0)
	v_mul_lo_u32 v1, v8, s2
	v_mul_lo_u32 v9, v7, s3
	v_mad_u64_u32 v[5:6], null, v7, s2, 0
	v_lshlrev_b64 v[7:8], 2, v[7:8]
	s_delay_alu instid0(VALU_DEP_2) | instskip(NEXT) | instid1(VALU_DEP_1)
	v_add3_u32 v6, v6, v9, v1
	v_lshlrev_b64 v[9:10], 2, v[5:6]
	s_delay_alu instid0(VALU_DEP_3) | instskip(NEXT) | instid1(VALU_DEP_4)
	v_add_co_u32 v6, vcc_lo, s28, v7
	v_add_co_ci_u32_e32 v7, vcc_lo, s29, v8, vcc_lo
	s_delay_alu instid0(VALU_DEP_3) | instskip(NEXT) | instid1(VALU_DEP_4)
	v_add_co_u32 v8, vcc_lo, s28, v9
	v_add_co_ci_u32_e32 v9, vcc_lo, s29, v10, vcc_lo
	v_cmpx_gt_i32_e64 s11, v4
	s_cbranch_execz .LBB2_50
; %bb.39:
	v_ashrrev_i32_e32 v5, 31, v4
	s_and_b32 vcc_lo, exec_lo, s4
	s_cbranch_vccz .LBB2_45
; %bb.40:
	s_and_b32 vcc_lo, exec_lo, s1
	s_mov_b32 s5, -1
	s_cbranch_vccz .LBB2_42
; %bb.41:
	v_lshlrev_b64 v[10:11], 2, v[4:5]
	v_mul_f32_e32 v12, s6, v2
	s_mov_b32 s5, 0
	s_delay_alu instid0(VALU_DEP_2) | instskip(NEXT) | instid1(VALU_DEP_3)
	v_add_co_u32 v10, vcc_lo, v8, v10
	v_add_co_ci_u32_e32 v11, vcc_lo, v9, v11, vcc_lo
	global_load_b32 v1, v[10:11], off
	s_waitcnt vmcnt(0)
	v_fmac_f32_e32 v12, s12, v1
	global_store_b32 v[10:11], v12, off
.LBB2_42:
	s_and_not1_b32 vcc_lo, exec_lo, s5
	s_cbranch_vccnz .LBB2_44
; %bb.43:
	v_mul_lo_u32 v1, v5, s2
	v_mul_lo_u32 v12, v4, s3
	v_mad_u64_u32 v[10:11], null, v4, s2, 0
	s_delay_alu instid0(VALU_DEP_1) | instskip(SKIP_1) | instid1(VALU_DEP_2)
	v_add3_u32 v11, v11, v12, v1
	v_mul_f32_e32 v12, s6, v2
	v_lshlrev_b64 v[10:11], 2, v[10:11]
	s_delay_alu instid0(VALU_DEP_1) | instskip(NEXT) | instid1(VALU_DEP_2)
	v_add_co_u32 v10, vcc_lo, v6, v10
	v_add_co_ci_u32_e32 v11, vcc_lo, v7, v11, vcc_lo
	global_load_b32 v1, v[10:11], off
	s_waitcnt vmcnt(0)
	v_fmac_f32_e32 v12, s12, v1
	global_store_b32 v[10:11], v12, off
.LBB2_44:
	s_cbranch_execz .LBB2_46
	s_branch .LBB2_50
.LBB2_45:
.LBB2_46:
	v_mul_f32_e32 v1, s6, v2
	s_and_b32 vcc_lo, exec_lo, s1
	s_mov_b32 s5, -1
	s_cbranch_vccz .LBB2_48
; %bb.47:
	v_lshlrev_b64 v[10:11], 2, v[4:5]
	s_mov_b32 s5, 0
	s_delay_alu instid0(VALU_DEP_1) | instskip(NEXT) | instid1(VALU_DEP_2)
	v_add_co_u32 v10, vcc_lo, v8, v10
	v_add_co_ci_u32_e32 v11, vcc_lo, v9, v11, vcc_lo
	global_store_b32 v[10:11], v1, off
.LBB2_48:
	s_and_not1_b32 vcc_lo, exec_lo, s5
	s_cbranch_vccnz .LBB2_50
; %bb.49:
	v_mul_lo_u32 v2, v5, s2
	v_mul_lo_u32 v5, v4, s3
	v_mad_u64_u32 v[10:11], null, v4, s2, 0
	s_delay_alu instid0(VALU_DEP_1) | instskip(NEXT) | instid1(VALU_DEP_1)
	v_add3_u32 v11, v11, v5, v2
	v_lshlrev_b64 v[4:5], 2, v[10:11]
	s_delay_alu instid0(VALU_DEP_1) | instskip(NEXT) | instid1(VALU_DEP_2)
	v_add_co_u32 v4, vcc_lo, v6, v4
	v_add_co_ci_u32_e32 v5, vcc_lo, v7, v5, vcc_lo
	global_store_b32 v[4:5], v1, off
.LBB2_50:
	s_or_b32 exec_lo, exec_lo, s0
	v_cmp_gt_i32_e32 vcc_lo, s11, v0
	s_and_b32 exec_lo, exec_lo, vcc_lo
	s_cbranch_execz .LBB2_57
; %bb.51:
	v_cndmask_b32_e64 v2, 0, 1, s1
	v_ashrrev_i32_e32 v1, 31, v0
	s_and_not1_b32 vcc_lo, exec_lo, s4
	s_delay_alu instid0(VALU_DEP_2)
	v_cmp_ne_u32_e64 s0, 1, v2
	s_cbranch_vccnz .LBB2_58
; %bb.52:
	s_delay_alu instid0(VALU_DEP_1)
	s_and_b32 vcc_lo, exec_lo, s0
	s_mov_b32 s0, -1
	s_cbranch_vccnz .LBB2_54
; %bb.53:
	v_lshlrev_b64 v[4:5], 2, v[0:1]
	v_mul_f32_e32 v10, s6, v3
	s_mov_b32 s0, 0
	s_delay_alu instid0(VALU_DEP_2) | instskip(NEXT) | instid1(VALU_DEP_3)
	v_add_co_u32 v4, vcc_lo, v8, v4
	v_add_co_ci_u32_e32 v5, vcc_lo, v9, v5, vcc_lo
	global_load_b32 v2, v[4:5], off
	s_waitcnt vmcnt(0)
	v_fmac_f32_e32 v10, s12, v2
	global_store_b32 v[4:5], v10, off
.LBB2_54:
	s_and_not1_b32 vcc_lo, exec_lo, s0
	s_cbranch_vccnz .LBB2_56
; %bb.55:
	v_mul_lo_u32 v2, v1, s2
	v_mul_lo_u32 v10, v0, s3
	v_mad_u64_u32 v[4:5], null, v0, s2, 0
	s_delay_alu instid0(VALU_DEP_1) | instskip(SKIP_1) | instid1(VALU_DEP_2)
	v_add3_u32 v5, v5, v10, v2
	v_mul_f32_e32 v10, s6, v3
	v_lshlrev_b64 v[4:5], 2, v[4:5]
	s_delay_alu instid0(VALU_DEP_1) | instskip(NEXT) | instid1(VALU_DEP_2)
	v_add_co_u32 v4, vcc_lo, v6, v4
	v_add_co_ci_u32_e32 v5, vcc_lo, v7, v5, vcc_lo
	global_load_b32 v2, v[4:5], off
	s_waitcnt vmcnt(0)
	v_fmac_f32_e32 v10, s12, v2
	global_store_b32 v[4:5], v10, off
.LBB2_56:
	s_cbranch_execz .LBB2_59
.LBB2_57:
	s_nop 0
	s_sendmsg sendmsg(MSG_DEALLOC_VGPRS)
	s_endpgm
.LBB2_58:
.LBB2_59:
	v_mul_f32_e32 v2, s6, v3
	s_and_not1_b32 vcc_lo, exec_lo, s1
	s_mov_b32 s0, -1
	s_cbranch_vccnz .LBB2_61
; %bb.60:
	v_lshlrev_b64 v[3:4], 2, v[0:1]
	s_mov_b32 s0, 0
	s_delay_alu instid0(VALU_DEP_1) | instskip(NEXT) | instid1(VALU_DEP_2)
	v_add_co_u32 v3, vcc_lo, v8, v3
	v_add_co_ci_u32_e32 v4, vcc_lo, v9, v4, vcc_lo
	global_store_b32 v[3:4], v2, off
.LBB2_61:
	s_and_not1_b32 vcc_lo, exec_lo, s0
	s_cbranch_vccnz .LBB2_57
; %bb.62:
	v_mul_lo_u32 v1, v1, s2
	v_mul_lo_u32 v5, v0, s3
	v_mad_u64_u32 v[3:4], null, v0, s2, 0
	s_delay_alu instid0(VALU_DEP_1) | instskip(NEXT) | instid1(VALU_DEP_1)
	v_add3_u32 v4, v4, v5, v1
	v_lshlrev_b64 v[0:1], 2, v[3:4]
	s_delay_alu instid0(VALU_DEP_1) | instskip(NEXT) | instid1(VALU_DEP_2)
	v_add_co_u32 v0, vcc_lo, v6, v0
	v_add_co_ci_u32_e32 v1, vcc_lo, v7, v1, vcc_lo
	global_store_b32 v[0:1], v2, off
	s_nop 0
	s_sendmsg sendmsg(MSG_DEALLOC_VGPRS)
	s_endpgm
	.section	.rodata,"a",@progbits
	.p2align	6, 0x0
	.amdhsa_kernel _ZN9rocsparseL31bsrmm_large_blockdim_kernel_extILj16ELj16ELj2EiiffffEEvb20rocsparse_direction_T3_S2_llNS_24const_host_device_scalarIT7_EEPKT2_PKS2_PKT4_S2_PKT5_llS5_PT6_ll16rocsparse_order_21rocsparse_index_base_b
		.amdhsa_group_segment_fixed_size 3072
		.amdhsa_private_segment_fixed_size 0
		.amdhsa_kernarg_size 140
		.amdhsa_user_sgpr_count 14
		.amdhsa_user_sgpr_dispatch_ptr 0
		.amdhsa_user_sgpr_queue_ptr 0
		.amdhsa_user_sgpr_kernarg_segment_ptr 1
		.amdhsa_user_sgpr_dispatch_id 0
		.amdhsa_user_sgpr_private_segment_size 0
		.amdhsa_wavefront_size32 1
		.amdhsa_uses_dynamic_stack 0
		.amdhsa_enable_private_segment 0
		.amdhsa_system_sgpr_workgroup_id_x 1
		.amdhsa_system_sgpr_workgroup_id_y 1
		.amdhsa_system_sgpr_workgroup_id_z 0
		.amdhsa_system_sgpr_workgroup_info 0
		.amdhsa_system_vgpr_workitem_id 1
		.amdhsa_next_free_vgpr 37
		.amdhsa_next_free_sgpr 38
		.amdhsa_reserve_vcc 1
		.amdhsa_float_round_mode_32 0
		.amdhsa_float_round_mode_16_64 0
		.amdhsa_float_denorm_mode_32 3
		.amdhsa_float_denorm_mode_16_64 3
		.amdhsa_dx10_clamp 1
		.amdhsa_ieee_mode 1
		.amdhsa_fp16_overflow 0
		.amdhsa_workgroup_processor_mode 1
		.amdhsa_memory_ordered 1
		.amdhsa_forward_progress 0
		.amdhsa_shared_vgpr_count 0
		.amdhsa_exception_fp_ieee_invalid_op 0
		.amdhsa_exception_fp_denorm_src 0
		.amdhsa_exception_fp_ieee_div_zero 0
		.amdhsa_exception_fp_ieee_overflow 0
		.amdhsa_exception_fp_ieee_underflow 0
		.amdhsa_exception_fp_ieee_inexact 0
		.amdhsa_exception_int_div_zero 0
	.end_amdhsa_kernel
	.section	.text._ZN9rocsparseL31bsrmm_large_blockdim_kernel_extILj16ELj16ELj2EiiffffEEvb20rocsparse_direction_T3_S2_llNS_24const_host_device_scalarIT7_EEPKT2_PKS2_PKT4_S2_PKT5_llS5_PT6_ll16rocsparse_order_21rocsparse_index_base_b,"axG",@progbits,_ZN9rocsparseL31bsrmm_large_blockdim_kernel_extILj16ELj16ELj2EiiffffEEvb20rocsparse_direction_T3_S2_llNS_24const_host_device_scalarIT7_EEPKT2_PKS2_PKT4_S2_PKT5_llS5_PT6_ll16rocsparse_order_21rocsparse_index_base_b,comdat
.Lfunc_end2:
	.size	_ZN9rocsparseL31bsrmm_large_blockdim_kernel_extILj16ELj16ELj2EiiffffEEvb20rocsparse_direction_T3_S2_llNS_24const_host_device_scalarIT7_EEPKT2_PKS2_PKT4_S2_PKT5_llS5_PT6_ll16rocsparse_order_21rocsparse_index_base_b, .Lfunc_end2-_ZN9rocsparseL31bsrmm_large_blockdim_kernel_extILj16ELj16ELj2EiiffffEEvb20rocsparse_direction_T3_S2_llNS_24const_host_device_scalarIT7_EEPKT2_PKS2_PKT4_S2_PKT5_llS5_PT6_ll16rocsparse_order_21rocsparse_index_base_b
                                        ; -- End function
	.section	.AMDGPU.csdata,"",@progbits
; Kernel info:
; codeLenInByte = 2412
; NumSgprs: 40
; NumVgprs: 37
; ScratchSize: 0
; MemoryBound: 0
; FloatMode: 240
; IeeeMode: 1
; LDSByteSize: 3072 bytes/workgroup (compile time only)
; SGPRBlocks: 4
; VGPRBlocks: 4
; NumSGPRsForWavesPerEU: 40
; NumVGPRsForWavesPerEU: 37
; Occupancy: 16
; WaveLimiterHint : 1
; COMPUTE_PGM_RSRC2:SCRATCH_EN: 0
; COMPUTE_PGM_RSRC2:USER_SGPR: 14
; COMPUTE_PGM_RSRC2:TRAP_HANDLER: 0
; COMPUTE_PGM_RSRC2:TGID_X_EN: 1
; COMPUTE_PGM_RSRC2:TGID_Y_EN: 1
; COMPUTE_PGM_RSRC2:TGID_Z_EN: 0
; COMPUTE_PGM_RSRC2:TIDIG_COMP_CNT: 1
	.section	.text._ZN9rocsparseL31bsrmm_large_blockdim_kernel_extILj32ELj32ELj2EiiffffEEvb20rocsparse_direction_T3_S2_llNS_24const_host_device_scalarIT7_EEPKT2_PKS2_PKT4_S2_PKT5_llS5_PT6_ll16rocsparse_order_21rocsparse_index_base_b,"axG",@progbits,_ZN9rocsparseL31bsrmm_large_blockdim_kernel_extILj32ELj32ELj2EiiffffEEvb20rocsparse_direction_T3_S2_llNS_24const_host_device_scalarIT7_EEPKT2_PKS2_PKT4_S2_PKT5_llS5_PT6_ll16rocsparse_order_21rocsparse_index_base_b,comdat
	.globl	_ZN9rocsparseL31bsrmm_large_blockdim_kernel_extILj32ELj32ELj2EiiffffEEvb20rocsparse_direction_T3_S2_llNS_24const_host_device_scalarIT7_EEPKT2_PKS2_PKT4_S2_PKT5_llS5_PT6_ll16rocsparse_order_21rocsparse_index_base_b ; -- Begin function _ZN9rocsparseL31bsrmm_large_blockdim_kernel_extILj32ELj32ELj2EiiffffEEvb20rocsparse_direction_T3_S2_llNS_24const_host_device_scalarIT7_EEPKT2_PKS2_PKT4_S2_PKT5_llS5_PT6_ll16rocsparse_order_21rocsparse_index_base_b
	.p2align	8
	.type	_ZN9rocsparseL31bsrmm_large_blockdim_kernel_extILj32ELj32ELj2EiiffffEEvb20rocsparse_direction_T3_S2_llNS_24const_host_device_scalarIT7_EEPKT2_PKS2_PKT4_S2_PKT5_llS5_PT6_ll16rocsparse_order_21rocsparse_index_base_b,@function
_ZN9rocsparseL31bsrmm_large_blockdim_kernel_extILj32ELj32ELj2EiiffffEEvb20rocsparse_direction_T3_S2_llNS_24const_host_device_scalarIT7_EEPKT2_PKS2_PKT4_S2_PKT5_llS5_PT6_ll16rocsparse_order_21rocsparse_index_base_b: ; @_ZN9rocsparseL31bsrmm_large_blockdim_kernel_extILj32ELj32ELj2EiiffffEEvb20rocsparse_direction_T3_S2_llNS_24const_host_device_scalarIT7_EEPKT2_PKS2_PKT4_S2_PKT5_llS5_PT6_ll16rocsparse_order_21rocsparse_index_base_b
; %bb.0:
	s_clause 0x2
	s_load_b128 s[16:19], s[0:1], 0x80
	s_load_b64 s[6:7], s[0:1], 0x20
	s_load_b64 s[12:13], s[0:1], 0x60
	s_mov_b32 s2, s15
	s_waitcnt lgkmcnt(0)
	s_bitcmp1_b32 s18, 0
	s_cselect_b32 s3, -1, 0
	s_delay_alu instid0(SALU_CYCLE_1)
	s_and_b32 vcc_lo, exec_lo, s3
	s_xor_b32 s3, s3, -1
	s_cbranch_vccnz .LBB3_2
; %bb.1:
	s_load_b32 s6, s[6:7], 0x0
.LBB3_2:
	s_and_not1_b32 vcc_lo, exec_lo, s3
	s_cbranch_vccnz .LBB3_4
; %bb.3:
	s_load_b32 s12, s[12:13], 0x0
.LBB3_4:
	s_waitcnt lgkmcnt(0)
	v_cmp_eq_f32_e64 s3, s6, 0
	v_cmp_eq_f32_e64 s4, s12, 1.0
	s_mov_b32 s18, 0
	s_delay_alu instid0(VALU_DEP_1) | instskip(NEXT) | instid1(SALU_CYCLE_1)
	s_and_b32 s3, s3, s4
	s_and_b32 vcc_lo, exec_lo, s3
	s_cbranch_vccnz .LBB3_57
; %bb.5:
	s_clause 0x1
	s_load_b128 s[8:11], s[0:1], 0x0
	s_load_b64 s[4:5], s[0:1], 0x28
	s_waitcnt lgkmcnt(0)
	s_cmp_lt_i32 s14, s10
	s_cselect_b32 s7, -1, 0
	s_cmp_ge_i32 s14, s10
	s_cbranch_scc1 .LBB3_7
; %bb.6:
	s_ashr_i32 s15, s14, 31
	s_delay_alu instid0(SALU_CYCLE_1) | instskip(NEXT) | instid1(SALU_CYCLE_1)
	s_lshl_b64 s[18:19], s[14:15], 2
	s_add_u32 s18, s4, s18
	s_addc_u32 s19, s5, s19
	s_load_b32 s3, s[18:19], 0x0
	s_waitcnt lgkmcnt(0)
	s_sub_i32 s18, s3, s17
.LBB3_7:
	s_mov_b32 s20, 0
	s_and_not1_b32 vcc_lo, exec_lo, s7
	s_mov_b32 s13, 0
	s_cbranch_vccnz .LBB3_9
; %bb.8:
	s_ashr_i32 s15, s14, 31
	s_delay_alu instid0(SALU_CYCLE_1) | instskip(NEXT) | instid1(SALU_CYCLE_1)
	s_lshl_b64 s[22:23], s[14:15], 2
	s_add_u32 s4, s4, s22
	s_addc_u32 s5, s5, s23
	s_load_b32 s3, s[4:5], 0x4
	s_waitcnt lgkmcnt(0)
	s_sub_i32 s13, s3, s17
.LBB3_9:
	s_clause 0x1
	s_load_b32 s10, s[0:1], 0x40
	s_load_b64 s[28:29], s[0:1], 0x68
	v_bfe_u32 v8, v0, 10, 10
	s_mov_b32 s21, s20
	v_and_b32_e32 v6, 0x3ff, v0
	v_dual_mov_b32 v2, s20 :: v_dual_mov_b32 v3, s21
	s_delay_alu instid0(VALU_DEP_3) | instskip(SKIP_1) | instid1(VALU_DEP_1)
	v_lshl_add_u32 v4, s2, 6, v8
	s_cmp_ge_i32 s18, s13
	v_add_nc_u32_e32 v0, 32, v4
	v_cmp_gt_i32_e64 s3, s11, v4
	s_delay_alu instid0(VALU_DEP_2)
	v_cmp_gt_i32_e64 s4, s11, v0
	s_waitcnt lgkmcnt(0)
	v_cmp_gt_i32_e64 s2, s10, v6
	s_cbranch_scc1 .LBB3_37
; %bb.10:
	s_clause 0x1
	s_load_b128 s[20:23], s[0:1], 0x48
	s_load_b128 s[24:27], s[0:1], 0x30
	s_mov_b32 s34, 0
	v_ashrrev_i32_e32 v5, 31, v4
	v_ashrrev_i32_e32 v1, 31, v0
	s_mov_b32 s35, s34
	v_lshlrev_b32_e32 v7, 5, v8
	v_cmp_gt_i32_e32 vcc_lo, s10, v8
	v_mad_u64_u32 v[9:10], null, v6, s10, v[8:9]
	s_mul_i32 s33, s10, s10
	s_delay_alu instid0(VALU_DEP_3)
	v_mad_u64_u32 v[2:3], null, v8, s10, v[6:7]
	s_and_b32 s15, s2, vcc_lo
	s_bitcmp1_b32 s8, 0
	v_lshl_add_u32 v3, v6, 5, v8
	s_cselect_b32 s5, -1, 0
	s_cmp_eq_u32 s9, 0
	v_add_lshl_u32 v17, v7, v6, 2
	s_cselect_b32 vcc_lo, -1, 0
	s_waitcnt lgkmcnt(0)
	v_mul_lo_u32 v14, v4, s23
	v_mul_lo_u32 v15, v5, s22
	v_mad_u64_u32 v[10:11], null, v4, s22, 0
	v_mul_lo_u32 v18, v0, s23
	v_mul_lo_u32 v19, v1, s22
	v_mad_u64_u32 v[12:13], null, v0, s22, 0
	v_cndmask_b32_e32 v7, v2, v9, vcc_lo
	s_add_i32 s9, s10, -1
	v_add3_u32 v11, v11, v14, v15
	s_and_b32 s8, s10, 7
	s_cmp_gt_u32 s9, 6
	v_lshl_add_u32 v16, v3, 2, 0x2000
	s_delay_alu instid0(VALU_DEP_4)
	v_add3_u32 v13, v13, v18, v19
	v_lshlrev_b32_e32 v18, 7, v8
	v_mov_b32_e32 v2, s34
	v_lshlrev_b64 v[8:9], 2, v[10:11]
	v_lshlrev_b64 v[10:11], 2, v[4:5]
	;; [unrolled: 1-line block ×4, first 2 shown]
	s_cselect_b32 s9, -1, 0
	s_and_b32 s30, s10, -8
	v_lshl_add_u32 v19, v6, 7, 0x2000
	v_dual_mov_b32 v3, s35 :: v_dual_add_nc_u32 v20, 0x1000, v18
	s_cmp_lg_u32 s8, 0
	s_cselect_b32 s31, -1, 0
	s_branch .LBB3_13
.LBB3_11:                               ;   in Loop: Header=BB3_13 Depth=1
	s_or_b32 exec_lo, exec_lo, s34
.LBB3_12:                               ;   in Loop: Header=BB3_13 Depth=1
	s_delay_alu instid0(SALU_CYCLE_1) | instskip(SKIP_1) | instid1(SALU_CYCLE_1)
	s_or_b32 exec_lo, exec_lo, s19
	s_add_i32 s18, s18, 1
	s_cmp_ge_i32 s18, s13
	s_barrier
	buffer_gl0_inv
	s_cbranch_scc1 .LBB3_37
.LBB3_13:                               ; =>This Loop Header: Depth=1
                                        ;     Child Loop BB3_24 Depth 2
                                        ;     Child Loop BB3_28 Depth 2
	;; [unrolled: 1-line block ×4, first 2 shown]
	s_and_saveexec_b32 s34, s2
	s_cbranch_execz .LBB3_18
; %bb.14:                               ;   in Loop: Header=BB3_13 Depth=1
	s_ashr_i32 s19, s18, 31
	s_delay_alu instid0(SALU_CYCLE_1) | instskip(NEXT) | instid1(SALU_CYCLE_1)
	s_lshl_b64 s[36:37], s[18:19], 2
	s_add_u32 s36, s24, s36
	s_addc_u32 s37, s25, s37
	s_load_b32 s19, s[36:37], 0x0
	s_waitcnt lgkmcnt(0)
	s_sub_i32 s19, s19, s17
	s_delay_alu instid0(SALU_CYCLE_1) | instskip(NEXT) | instid1(VALU_DEP_1)
	v_mad_u64_u32 v[21:22], null, s19, s10, v[6:7]
	v_ashrrev_i32_e32 v22, 31, v21
	v_mul_lo_u32 v1, v21, s23
	v_mad_u64_u32 v[23:24], null, v21, s22, 0
	s_delay_alu instid0(VALU_DEP_3) | instskip(SKIP_1) | instid1(VALU_DEP_2)
	v_mul_lo_u32 v5, v22, s22
	v_lshlrev_b64 v[21:22], 2, v[21:22]
	v_add3_u32 v24, v24, v1, v5
	s_delay_alu instid0(VALU_DEP_1) | instskip(NEXT) | instid1(VALU_DEP_1)
	v_lshlrev_b64 v[23:24], 2, v[23:24]
	v_add_co_u32 v1, vcc_lo, s20, v23
	s_delay_alu instid0(VALU_DEP_2)
	v_add_co_ci_u32_e32 v5, vcc_lo, s21, v24, vcc_lo
	v_add_co_u32 v21, vcc_lo, s20, v21
	v_add_co_ci_u32_e32 v22, vcc_lo, s21, v22, vcc_lo
	s_and_saveexec_b32 s19, s3
	s_cbranch_execz .LBB3_16
; %bb.15:                               ;   in Loop: Header=BB3_13 Depth=1
	s_delay_alu instid0(VALU_DEP_2) | instskip(NEXT) | instid1(VALU_DEP_2)
	v_add_co_u32 v23, vcc_lo, v21, v8
	v_add_co_ci_u32_e32 v24, vcc_lo, v22, v9, vcc_lo
	v_add_co_u32 v25, vcc_lo, v1, v10
	v_add_co_ci_u32_e32 v26, vcc_lo, v5, v11, vcc_lo
	s_delay_alu instid0(VALU_DEP_2) | instskip(NEXT) | instid1(VALU_DEP_2)
	v_cndmask_b32_e64 v23, v25, v23, s5
	v_cndmask_b32_e64 v24, v26, v24, s5
	global_load_b32 v23, v[23:24], off
	s_waitcnt vmcnt(0)
	ds_store_b32 v17, v23
.LBB3_16:                               ;   in Loop: Header=BB3_13 Depth=1
	s_or_b32 exec_lo, exec_lo, s19
	s_delay_alu instid0(SALU_CYCLE_1)
	s_and_b32 exec_lo, exec_lo, s4
	s_cbranch_execz .LBB3_18
; %bb.17:                               ;   in Loop: Header=BB3_13 Depth=1
	v_add_co_u32 v21, vcc_lo, v21, v12
	v_add_co_ci_u32_e32 v22, vcc_lo, v22, v13, vcc_lo
	v_add_co_u32 v1, vcc_lo, v1, v14
	v_add_co_ci_u32_e32 v5, vcc_lo, v5, v15, vcc_lo
	s_delay_alu instid0(VALU_DEP_2) | instskip(NEXT) | instid1(VALU_DEP_2)
	v_cndmask_b32_e64 v21, v1, v21, s5
	v_cndmask_b32_e64 v22, v5, v22, s5
	global_load_b32 v1, v[21:22], off
	s_waitcnt vmcnt(0)
	ds_store_b32 v17, v1 offset:4096
.LBB3_18:                               ;   in Loop: Header=BB3_13 Depth=1
	s_or_b32 exec_lo, exec_lo, s34
	s_and_saveexec_b32 s19, s15
	s_cbranch_execz .LBB3_20
; %bb.19:                               ;   in Loop: Header=BB3_13 Depth=1
	v_mad_u64_u32 v[21:22], null, s33, s18, v[7:8]
	s_delay_alu instid0(VALU_DEP_1) | instskip(NEXT) | instid1(VALU_DEP_1)
	v_ashrrev_i32_e32 v22, 31, v21
	v_lshlrev_b64 v[21:22], 2, v[21:22]
	s_delay_alu instid0(VALU_DEP_1) | instskip(NEXT) | instid1(VALU_DEP_2)
	v_add_co_u32 v21, vcc_lo, s26, v21
	v_add_co_ci_u32_e32 v22, vcc_lo, s27, v22, vcc_lo
	global_load_b32 v1, v[21:22], off
	s_waitcnt vmcnt(0)
	ds_store_b32 v16, v1
.LBB3_20:                               ;   in Loop: Header=BB3_13 Depth=1
	s_or_b32 exec_lo, exec_lo, s19
	s_waitcnt lgkmcnt(0)
	s_barrier
	buffer_gl0_inv
	s_and_saveexec_b32 s19, s2
	s_cbranch_execz .LBB3_12
; %bb.21:                               ;   in Loop: Header=BB3_13 Depth=1
	s_and_saveexec_b32 s34, s3
	s_cbranch_execz .LBB3_29
; %bb.22:                               ;   in Loop: Header=BB3_13 Depth=1
	s_and_not1_b32 vcc_lo, exec_lo, s9
	s_cbranch_vccnz .LBB3_26
; %bb.23:                               ;   in Loop: Header=BB3_13 Depth=1
	v_mov_b32_e32 v1, v19
	v_mov_b32_e32 v5, v18
	s_mov_b32 s35, 0
	.p2align	6
.LBB3_24:                               ;   Parent Loop BB3_13 Depth=1
                                        ; =>  This Inner Loop Header: Depth=2
	ds_load_b128 v[21:24], v5
	ds_load_b128 v[25:28], v1
	ds_load_b128 v[29:32], v1 offset:16
	ds_load_b128 v[33:36], v5 offset:16
	s_add_i32 s35, s35, 8
	v_add_nc_u32_e32 v5, 32, v5
	s_cmp_lg_u32 s30, s35
	v_add_nc_u32_e32 v1, 32, v1
	s_waitcnt lgkmcnt(2)
	v_fma_f32 v2, v25, v21, v2
	s_delay_alu instid0(VALU_DEP_1) | instskip(NEXT) | instid1(VALU_DEP_1)
	v_fmac_f32_e32 v2, v26, v22
	v_fmac_f32_e32 v2, v27, v23
	s_delay_alu instid0(VALU_DEP_1) | instskip(SKIP_1) | instid1(VALU_DEP_1)
	v_fmac_f32_e32 v2, v28, v24
	s_waitcnt lgkmcnt(0)
	v_fmac_f32_e32 v2, v29, v33
	s_delay_alu instid0(VALU_DEP_1) | instskip(NEXT) | instid1(VALU_DEP_1)
	v_fmac_f32_e32 v2, v30, v34
	v_fmac_f32_e32 v2, v31, v35
	s_delay_alu instid0(VALU_DEP_1)
	v_fmac_f32_e32 v2, v32, v36
	s_cbranch_scc1 .LBB3_24
; %bb.25:                               ;   in Loop: Header=BB3_13 Depth=1
	s_mov_b32 s35, s30
	s_and_not1_b32 vcc_lo, exec_lo, s31
	s_cbranch_vccz .LBB3_27
	s_branch .LBB3_29
.LBB3_26:                               ;   in Loop: Header=BB3_13 Depth=1
	s_mov_b32 s35, 0
	s_and_not1_b32 vcc_lo, exec_lo, s31
	s_cbranch_vccnz .LBB3_29
.LBB3_27:                               ;   in Loop: Header=BB3_13 Depth=1
	s_lshl_b32 s35, s35, 2
	s_delay_alu instid0(SALU_CYCLE_1)
	v_add_nc_u32_e32 v1, s35, v18
	v_add_nc_u32_e32 v5, s35, v19
	s_mov_b32 s35, s8
.LBB3_28:                               ;   Parent Loop BB3_13 Depth=1
                                        ; =>  This Inner Loop Header: Depth=2
	ds_load_b32 v21, v5
	ds_load_b32 v22, v1
	v_add_nc_u32_e32 v1, 4, v1
	v_add_nc_u32_e32 v5, 4, v5
	s_add_i32 s35, s35, -1
	s_delay_alu instid0(SALU_CYCLE_1)
	s_cmp_lg_u32 s35, 0
	s_waitcnt lgkmcnt(0)
	v_fma_f32 v2, v21, v22, v2
	s_cbranch_scc1 .LBB3_28
.LBB3_29:                               ;   in Loop: Header=BB3_13 Depth=1
	s_or_b32 exec_lo, exec_lo, s34
	s_and_saveexec_b32 s34, s4
	s_cbranch_execz .LBB3_11
; %bb.30:                               ;   in Loop: Header=BB3_13 Depth=1
	s_and_not1_b32 vcc_lo, exec_lo, s9
	s_cbranch_vccnz .LBB3_34
; %bb.31:                               ;   in Loop: Header=BB3_13 Depth=1
	v_mov_b32_e32 v1, v19
	v_mov_b32_e32 v5, v20
	s_mov_b32 s35, 0
	.p2align	6
.LBB3_32:                               ;   Parent Loop BB3_13 Depth=1
                                        ; =>  This Inner Loop Header: Depth=2
	ds_load_b128 v[21:24], v5
	ds_load_b128 v[25:28], v1
	ds_load_b128 v[29:32], v1 offset:16
	ds_load_b128 v[33:36], v5 offset:16
	v_add_nc_u32_e32 v5, 32, v5
	v_add_nc_u32_e32 v1, 32, v1
	s_add_i32 s35, s35, 8
	s_delay_alu instid0(SALU_CYCLE_1) | instskip(SKIP_2) | instid1(VALU_DEP_1)
	s_cmp_lg_u32 s30, s35
	s_waitcnt lgkmcnt(2)
	v_fma_f32 v3, v25, v21, v3
	v_fmac_f32_e32 v3, v26, v22
	s_delay_alu instid0(VALU_DEP_1) | instskip(NEXT) | instid1(VALU_DEP_1)
	v_fmac_f32_e32 v3, v27, v23
	v_fmac_f32_e32 v3, v28, v24
	s_waitcnt lgkmcnt(0)
	s_delay_alu instid0(VALU_DEP_1) | instskip(NEXT) | instid1(VALU_DEP_1)
	v_fmac_f32_e32 v3, v29, v33
	v_fmac_f32_e32 v3, v30, v34
	s_delay_alu instid0(VALU_DEP_1) | instskip(NEXT) | instid1(VALU_DEP_1)
	v_fmac_f32_e32 v3, v31, v35
	v_fmac_f32_e32 v3, v32, v36
	s_cbranch_scc1 .LBB3_32
; %bb.33:                               ;   in Loop: Header=BB3_13 Depth=1
	s_mov_b32 s35, s30
	s_and_not1_b32 vcc_lo, exec_lo, s31
	s_cbranch_vccz .LBB3_35
	s_branch .LBB3_11
.LBB3_34:                               ;   in Loop: Header=BB3_13 Depth=1
	s_mov_b32 s35, 0
	s_and_not1_b32 vcc_lo, exec_lo, s31
	s_cbranch_vccnz .LBB3_11
.LBB3_35:                               ;   in Loop: Header=BB3_13 Depth=1
	s_lshl_b32 s35, s35, 2
	s_delay_alu instid0(SALU_CYCLE_1)
	v_add_nc_u32_e32 v1, s35, v20
	v_add_nc_u32_e32 v5, s35, v19
	s_mov_b32 s35, s8
.LBB3_36:                               ;   Parent Loop BB3_13 Depth=1
                                        ; =>  This Inner Loop Header: Depth=2
	ds_load_b32 v21, v5
	ds_load_b32 v22, v1
	v_add_nc_u32_e32 v1, 4, v1
	v_add_nc_u32_e32 v5, 4, v5
	s_add_i32 s35, s35, -1
	s_delay_alu instid0(SALU_CYCLE_1)
	s_cmp_lg_u32 s35, 0
	s_waitcnt lgkmcnt(0)
	v_fma_f32 v3, v21, v22, v3
	s_cbranch_scc1 .LBB3_36
	s_branch .LBB3_11
.LBB3_37:
	s_delay_alu instid0(VALU_DEP_1) | instskip(NEXT) | instid1(SALU_CYCLE_1)
	s_and_b32 s2, s7, s2
	s_and_saveexec_b32 s3, s2
	s_cbranch_execz .LBB3_57
; %bb.38:
	s_load_b64 s[2:3], s[0:1], 0x70
	v_mad_u64_u32 v[7:8], null, s14, s10, v[6:7]
	v_cmp_neq_f32_e64 s4, s12, 0
	s_cmp_lg_u32 s16, 1
	s_mov_b32 s0, exec_lo
	s_cselect_b32 s1, -1, 0
	s_delay_alu instid0(VALU_DEP_2) | instskip(SKIP_1) | instid1(VALU_DEP_1)
	v_ashrrev_i32_e32 v8, 31, v7
	s_waitcnt lgkmcnt(0)
	v_mul_lo_u32 v1, v8, s2
	v_mul_lo_u32 v9, v7, s3
	v_mad_u64_u32 v[5:6], null, v7, s2, 0
	v_lshlrev_b64 v[7:8], 2, v[7:8]
	s_delay_alu instid0(VALU_DEP_2) | instskip(NEXT) | instid1(VALU_DEP_1)
	v_add3_u32 v6, v6, v9, v1
	v_lshlrev_b64 v[9:10], 2, v[5:6]
	s_delay_alu instid0(VALU_DEP_3) | instskip(NEXT) | instid1(VALU_DEP_4)
	v_add_co_u32 v6, vcc_lo, s28, v7
	v_add_co_ci_u32_e32 v7, vcc_lo, s29, v8, vcc_lo
	s_delay_alu instid0(VALU_DEP_3) | instskip(NEXT) | instid1(VALU_DEP_4)
	v_add_co_u32 v8, vcc_lo, s28, v9
	v_add_co_ci_u32_e32 v9, vcc_lo, s29, v10, vcc_lo
	v_cmpx_gt_i32_e64 s11, v4
	s_cbranch_execz .LBB3_50
; %bb.39:
	v_ashrrev_i32_e32 v5, 31, v4
	s_and_b32 vcc_lo, exec_lo, s4
	s_cbranch_vccz .LBB3_45
; %bb.40:
	s_and_b32 vcc_lo, exec_lo, s1
	s_mov_b32 s5, -1
	s_cbranch_vccz .LBB3_42
; %bb.41:
	v_lshlrev_b64 v[10:11], 2, v[4:5]
	v_mul_f32_e32 v12, s6, v2
	s_mov_b32 s5, 0
	s_delay_alu instid0(VALU_DEP_2) | instskip(NEXT) | instid1(VALU_DEP_3)
	v_add_co_u32 v10, vcc_lo, v8, v10
	v_add_co_ci_u32_e32 v11, vcc_lo, v9, v11, vcc_lo
	global_load_b32 v1, v[10:11], off
	s_waitcnt vmcnt(0)
	v_fmac_f32_e32 v12, s12, v1
	global_store_b32 v[10:11], v12, off
.LBB3_42:
	s_and_not1_b32 vcc_lo, exec_lo, s5
	s_cbranch_vccnz .LBB3_44
; %bb.43:
	v_mul_lo_u32 v1, v5, s2
	v_mul_lo_u32 v12, v4, s3
	v_mad_u64_u32 v[10:11], null, v4, s2, 0
	s_delay_alu instid0(VALU_DEP_1) | instskip(SKIP_1) | instid1(VALU_DEP_2)
	v_add3_u32 v11, v11, v12, v1
	v_mul_f32_e32 v12, s6, v2
	v_lshlrev_b64 v[10:11], 2, v[10:11]
	s_delay_alu instid0(VALU_DEP_1) | instskip(NEXT) | instid1(VALU_DEP_2)
	v_add_co_u32 v10, vcc_lo, v6, v10
	v_add_co_ci_u32_e32 v11, vcc_lo, v7, v11, vcc_lo
	global_load_b32 v1, v[10:11], off
	s_waitcnt vmcnt(0)
	v_fmac_f32_e32 v12, s12, v1
	global_store_b32 v[10:11], v12, off
.LBB3_44:
	s_cbranch_execz .LBB3_46
	s_branch .LBB3_50
.LBB3_45:
.LBB3_46:
	v_mul_f32_e32 v1, s6, v2
	s_and_b32 vcc_lo, exec_lo, s1
	s_mov_b32 s5, -1
	s_cbranch_vccz .LBB3_48
; %bb.47:
	v_lshlrev_b64 v[10:11], 2, v[4:5]
	s_mov_b32 s5, 0
	s_delay_alu instid0(VALU_DEP_1) | instskip(NEXT) | instid1(VALU_DEP_2)
	v_add_co_u32 v10, vcc_lo, v8, v10
	v_add_co_ci_u32_e32 v11, vcc_lo, v9, v11, vcc_lo
	global_store_b32 v[10:11], v1, off
.LBB3_48:
	s_and_not1_b32 vcc_lo, exec_lo, s5
	s_cbranch_vccnz .LBB3_50
; %bb.49:
	v_mul_lo_u32 v2, v5, s2
	v_mul_lo_u32 v5, v4, s3
	v_mad_u64_u32 v[10:11], null, v4, s2, 0
	s_delay_alu instid0(VALU_DEP_1) | instskip(NEXT) | instid1(VALU_DEP_1)
	v_add3_u32 v11, v11, v5, v2
	v_lshlrev_b64 v[4:5], 2, v[10:11]
	s_delay_alu instid0(VALU_DEP_1) | instskip(NEXT) | instid1(VALU_DEP_2)
	v_add_co_u32 v4, vcc_lo, v6, v4
	v_add_co_ci_u32_e32 v5, vcc_lo, v7, v5, vcc_lo
	global_store_b32 v[4:5], v1, off
.LBB3_50:
	s_or_b32 exec_lo, exec_lo, s0
	v_cmp_gt_i32_e32 vcc_lo, s11, v0
	s_and_b32 exec_lo, exec_lo, vcc_lo
	s_cbranch_execz .LBB3_57
; %bb.51:
	v_cndmask_b32_e64 v2, 0, 1, s1
	v_ashrrev_i32_e32 v1, 31, v0
	s_and_not1_b32 vcc_lo, exec_lo, s4
	s_delay_alu instid0(VALU_DEP_2)
	v_cmp_ne_u32_e64 s0, 1, v2
	s_cbranch_vccnz .LBB3_58
; %bb.52:
	s_delay_alu instid0(VALU_DEP_1)
	s_and_b32 vcc_lo, exec_lo, s0
	s_mov_b32 s0, -1
	s_cbranch_vccnz .LBB3_54
; %bb.53:
	v_lshlrev_b64 v[4:5], 2, v[0:1]
	v_mul_f32_e32 v10, s6, v3
	s_mov_b32 s0, 0
	s_delay_alu instid0(VALU_DEP_2) | instskip(NEXT) | instid1(VALU_DEP_3)
	v_add_co_u32 v4, vcc_lo, v8, v4
	v_add_co_ci_u32_e32 v5, vcc_lo, v9, v5, vcc_lo
	global_load_b32 v2, v[4:5], off
	s_waitcnt vmcnt(0)
	v_fmac_f32_e32 v10, s12, v2
	global_store_b32 v[4:5], v10, off
.LBB3_54:
	s_and_not1_b32 vcc_lo, exec_lo, s0
	s_cbranch_vccnz .LBB3_56
; %bb.55:
	v_mul_lo_u32 v2, v1, s2
	v_mul_lo_u32 v10, v0, s3
	v_mad_u64_u32 v[4:5], null, v0, s2, 0
	s_delay_alu instid0(VALU_DEP_1) | instskip(SKIP_1) | instid1(VALU_DEP_2)
	v_add3_u32 v5, v5, v10, v2
	v_mul_f32_e32 v10, s6, v3
	v_lshlrev_b64 v[4:5], 2, v[4:5]
	s_delay_alu instid0(VALU_DEP_1) | instskip(NEXT) | instid1(VALU_DEP_2)
	v_add_co_u32 v4, vcc_lo, v6, v4
	v_add_co_ci_u32_e32 v5, vcc_lo, v7, v5, vcc_lo
	global_load_b32 v2, v[4:5], off
	s_waitcnt vmcnt(0)
	v_fmac_f32_e32 v10, s12, v2
	global_store_b32 v[4:5], v10, off
.LBB3_56:
	s_cbranch_execz .LBB3_59
.LBB3_57:
	s_nop 0
	s_sendmsg sendmsg(MSG_DEALLOC_VGPRS)
	s_endpgm
.LBB3_58:
.LBB3_59:
	v_mul_f32_e32 v2, s6, v3
	s_and_not1_b32 vcc_lo, exec_lo, s1
	s_mov_b32 s0, -1
	s_cbranch_vccnz .LBB3_61
; %bb.60:
	v_lshlrev_b64 v[3:4], 2, v[0:1]
	s_mov_b32 s0, 0
	s_delay_alu instid0(VALU_DEP_1) | instskip(NEXT) | instid1(VALU_DEP_2)
	v_add_co_u32 v3, vcc_lo, v8, v3
	v_add_co_ci_u32_e32 v4, vcc_lo, v9, v4, vcc_lo
	global_store_b32 v[3:4], v2, off
.LBB3_61:
	s_and_not1_b32 vcc_lo, exec_lo, s0
	s_cbranch_vccnz .LBB3_57
; %bb.62:
	v_mul_lo_u32 v1, v1, s2
	v_mul_lo_u32 v5, v0, s3
	v_mad_u64_u32 v[3:4], null, v0, s2, 0
	s_delay_alu instid0(VALU_DEP_1) | instskip(NEXT) | instid1(VALU_DEP_1)
	v_add3_u32 v4, v4, v5, v1
	v_lshlrev_b64 v[0:1], 2, v[3:4]
	s_delay_alu instid0(VALU_DEP_1) | instskip(NEXT) | instid1(VALU_DEP_2)
	v_add_co_u32 v0, vcc_lo, v6, v0
	v_add_co_ci_u32_e32 v1, vcc_lo, v7, v1, vcc_lo
	global_store_b32 v[0:1], v2, off
	s_nop 0
	s_sendmsg sendmsg(MSG_DEALLOC_VGPRS)
	s_endpgm
	.section	.rodata,"a",@progbits
	.p2align	6, 0x0
	.amdhsa_kernel _ZN9rocsparseL31bsrmm_large_blockdim_kernel_extILj32ELj32ELj2EiiffffEEvb20rocsparse_direction_T3_S2_llNS_24const_host_device_scalarIT7_EEPKT2_PKS2_PKT4_S2_PKT5_llS5_PT6_ll16rocsparse_order_21rocsparse_index_base_b
		.amdhsa_group_segment_fixed_size 12288
		.amdhsa_private_segment_fixed_size 0
		.amdhsa_kernarg_size 140
		.amdhsa_user_sgpr_count 14
		.amdhsa_user_sgpr_dispatch_ptr 0
		.amdhsa_user_sgpr_queue_ptr 0
		.amdhsa_user_sgpr_kernarg_segment_ptr 1
		.amdhsa_user_sgpr_dispatch_id 0
		.amdhsa_user_sgpr_private_segment_size 0
		.amdhsa_wavefront_size32 1
		.amdhsa_uses_dynamic_stack 0
		.amdhsa_enable_private_segment 0
		.amdhsa_system_sgpr_workgroup_id_x 1
		.amdhsa_system_sgpr_workgroup_id_y 1
		.amdhsa_system_sgpr_workgroup_id_z 0
		.amdhsa_system_sgpr_workgroup_info 0
		.amdhsa_system_vgpr_workitem_id 1
		.amdhsa_next_free_vgpr 37
		.amdhsa_next_free_sgpr 38
		.amdhsa_reserve_vcc 1
		.amdhsa_float_round_mode_32 0
		.amdhsa_float_round_mode_16_64 0
		.amdhsa_float_denorm_mode_32 3
		.amdhsa_float_denorm_mode_16_64 3
		.amdhsa_dx10_clamp 1
		.amdhsa_ieee_mode 1
		.amdhsa_fp16_overflow 0
		.amdhsa_workgroup_processor_mode 1
		.amdhsa_memory_ordered 1
		.amdhsa_forward_progress 0
		.amdhsa_shared_vgpr_count 0
		.amdhsa_exception_fp_ieee_invalid_op 0
		.amdhsa_exception_fp_denorm_src 0
		.amdhsa_exception_fp_ieee_div_zero 0
		.amdhsa_exception_fp_ieee_overflow 0
		.amdhsa_exception_fp_ieee_underflow 0
		.amdhsa_exception_fp_ieee_inexact 0
		.amdhsa_exception_int_div_zero 0
	.end_amdhsa_kernel
	.section	.text._ZN9rocsparseL31bsrmm_large_blockdim_kernel_extILj32ELj32ELj2EiiffffEEvb20rocsparse_direction_T3_S2_llNS_24const_host_device_scalarIT7_EEPKT2_PKS2_PKT4_S2_PKT5_llS5_PT6_ll16rocsparse_order_21rocsparse_index_base_b,"axG",@progbits,_ZN9rocsparseL31bsrmm_large_blockdim_kernel_extILj32ELj32ELj2EiiffffEEvb20rocsparse_direction_T3_S2_llNS_24const_host_device_scalarIT7_EEPKT2_PKS2_PKT4_S2_PKT5_llS5_PT6_ll16rocsparse_order_21rocsparse_index_base_b,comdat
.Lfunc_end3:
	.size	_ZN9rocsparseL31bsrmm_large_blockdim_kernel_extILj32ELj32ELj2EiiffffEEvb20rocsparse_direction_T3_S2_llNS_24const_host_device_scalarIT7_EEPKT2_PKS2_PKT4_S2_PKT5_llS5_PT6_ll16rocsparse_order_21rocsparse_index_base_b, .Lfunc_end3-_ZN9rocsparseL31bsrmm_large_blockdim_kernel_extILj32ELj32ELj2EiiffffEEvb20rocsparse_direction_T3_S2_llNS_24const_host_device_scalarIT7_EEPKT2_PKS2_PKT4_S2_PKT5_llS5_PT6_ll16rocsparse_order_21rocsparse_index_base_b
                                        ; -- End function
	.section	.AMDGPU.csdata,"",@progbits
; Kernel info:
; codeLenInByte = 2412
; NumSgprs: 40
; NumVgprs: 37
; ScratchSize: 0
; MemoryBound: 0
; FloatMode: 240
; IeeeMode: 1
; LDSByteSize: 12288 bytes/workgroup (compile time only)
; SGPRBlocks: 4
; VGPRBlocks: 4
; NumSGPRsForWavesPerEU: 40
; NumVGPRsForWavesPerEU: 37
; Occupancy: 16
; WaveLimiterHint : 1
; COMPUTE_PGM_RSRC2:SCRATCH_EN: 0
; COMPUTE_PGM_RSRC2:USER_SGPR: 14
; COMPUTE_PGM_RSRC2:TRAP_HANDLER: 0
; COMPUTE_PGM_RSRC2:TGID_X_EN: 1
; COMPUTE_PGM_RSRC2:TGID_Y_EN: 1
; COMPUTE_PGM_RSRC2:TGID_Z_EN: 0
; COMPUTE_PGM_RSRC2:TIDIG_COMP_CNT: 1
	.section	.text._ZN9rocsparseL31bsrmm_large_blockdim_kernel_extILj8ELj8ELj2EliffffEEvb20rocsparse_direction_T3_S2_llNS_24const_host_device_scalarIT7_EEPKT2_PKS2_PKT4_S2_PKT5_llS5_PT6_ll16rocsparse_order_21rocsparse_index_base_b,"axG",@progbits,_ZN9rocsparseL31bsrmm_large_blockdim_kernel_extILj8ELj8ELj2EliffffEEvb20rocsparse_direction_T3_S2_llNS_24const_host_device_scalarIT7_EEPKT2_PKS2_PKT4_S2_PKT5_llS5_PT6_ll16rocsparse_order_21rocsparse_index_base_b,comdat
	.globl	_ZN9rocsparseL31bsrmm_large_blockdim_kernel_extILj8ELj8ELj2EliffffEEvb20rocsparse_direction_T3_S2_llNS_24const_host_device_scalarIT7_EEPKT2_PKS2_PKT4_S2_PKT5_llS5_PT6_ll16rocsparse_order_21rocsparse_index_base_b ; -- Begin function _ZN9rocsparseL31bsrmm_large_blockdim_kernel_extILj8ELj8ELj2EliffffEEvb20rocsparse_direction_T3_S2_llNS_24const_host_device_scalarIT7_EEPKT2_PKS2_PKT4_S2_PKT5_llS5_PT6_ll16rocsparse_order_21rocsparse_index_base_b
	.p2align	8
	.type	_ZN9rocsparseL31bsrmm_large_blockdim_kernel_extILj8ELj8ELj2EliffffEEvb20rocsparse_direction_T3_S2_llNS_24const_host_device_scalarIT7_EEPKT2_PKS2_PKT4_S2_PKT5_llS5_PT6_ll16rocsparse_order_21rocsparse_index_base_b,@function
_ZN9rocsparseL31bsrmm_large_blockdim_kernel_extILj8ELj8ELj2EliffffEEvb20rocsparse_direction_T3_S2_llNS_24const_host_device_scalarIT7_EEPKT2_PKS2_PKT4_S2_PKT5_llS5_PT6_ll16rocsparse_order_21rocsparse_index_base_b: ; @_ZN9rocsparseL31bsrmm_large_blockdim_kernel_extILj8ELj8ELj2EliffffEEvb20rocsparse_direction_T3_S2_llNS_24const_host_device_scalarIT7_EEPKT2_PKS2_PKT4_S2_PKT5_llS5_PT6_ll16rocsparse_order_21rocsparse_index_base_b
; %bb.0:
	s_clause 0x2
	s_load_b128 s[16:19], s[0:1], 0x80
	s_load_b64 s[6:7], s[0:1], 0x20
	s_load_b64 s[12:13], s[0:1], 0x60
	s_mov_b32 s2, s15
	s_waitcnt lgkmcnt(0)
	s_bitcmp1_b32 s18, 0
	s_cselect_b32 s3, -1, 0
	s_delay_alu instid0(SALU_CYCLE_1)
	s_and_b32 vcc_lo, exec_lo, s3
	s_xor_b32 s3, s3, -1
	s_cbranch_vccnz .LBB4_2
; %bb.1:
	s_load_b32 s6, s[6:7], 0x0
.LBB4_2:
	s_and_not1_b32 vcc_lo, exec_lo, s3
	s_cbranch_vccnz .LBB4_4
; %bb.3:
	s_load_b32 s12, s[12:13], 0x0
.LBB4_4:
	s_waitcnt lgkmcnt(0)
	v_cmp_eq_f32_e64 s3, s6, 0
	v_cmp_eq_f32_e64 s4, s12, 1.0
	s_delay_alu instid0(VALU_DEP_1) | instskip(NEXT) | instid1(SALU_CYCLE_1)
	s_and_b32 s3, s3, s4
	s_and_b32 vcc_lo, exec_lo, s3
	s_cbranch_vccnz .LBB4_57
; %bb.5:
	s_clause 0x1
	s_load_b128 s[8:11], s[0:1], 0x0
	s_load_b64 s[4:5], s[0:1], 0x28
	s_mov_b64 s[28:29], 0
	s_mov_b64 s[30:31], 0
	s_waitcnt lgkmcnt(0)
	s_cmp_lt_i32 s14, s10
	s_cselect_b32 s7, -1, 0
	s_cmp_ge_i32 s14, s10
	s_cbranch_scc1 .LBB4_7
; %bb.6:
	s_ashr_i32 s15, s14, 31
	s_delay_alu instid0(SALU_CYCLE_1) | instskip(NEXT) | instid1(SALU_CYCLE_1)
	s_lshl_b64 s[18:19], s[14:15], 3
	s_add_u32 s18, s4, s18
	s_addc_u32 s19, s5, s19
	s_load_b64 s[18:19], s[18:19], 0x0
	s_waitcnt lgkmcnt(0)
	s_sub_u32 s30, s18, s17
	s_subb_u32 s31, s19, 0
.LBB4_7:
	s_and_not1_b32 vcc_lo, exec_lo, s7
	s_cbranch_vccnz .LBB4_9
; %bb.8:
	s_ashr_i32 s15, s14, 31
	s_delay_alu instid0(SALU_CYCLE_1) | instskip(NEXT) | instid1(SALU_CYCLE_1)
	s_lshl_b64 s[18:19], s[14:15], 3
	s_add_u32 s4, s4, s18
	s_addc_u32 s5, s5, s19
	s_load_b64 s[4:5], s[4:5], 0x8
	s_waitcnt lgkmcnt(0)
	s_sub_u32 s28, s4, s17
	s_subb_u32 s29, s5, 0
.LBB4_9:
	s_clause 0x1
	s_load_b32 s10, s[0:1], 0x40
	s_load_b64 s[18:19], s[0:1], 0x68
	v_bfe_u32 v7, v0, 10, 10
	s_mov_b32 s34, 0
	s_delay_alu instid0(SALU_CYCLE_1) | instskip(SKIP_1) | instid1(VALU_DEP_2)
	s_mov_b32 s35, s34
	v_and_b32_e32 v6, 0x3ff, v0
	v_lshl_add_u32 v2, s2, 4, v7
	v_cmp_ge_i64_e64 s2, s[30:31], s[28:29]
	v_dual_mov_b32 v4, s34 :: v_dual_mov_b32 v5, s35
	s_delay_alu instid0(VALU_DEP_3) | instskip(SKIP_1) | instid1(VALU_DEP_4)
	v_add_nc_u32_e32 v0, 8, v2
	v_cmp_gt_i32_e64 s3, s11, v2
	s_and_b32 vcc_lo, exec_lo, s2
	s_delay_alu instid0(VALU_DEP_2)
	v_cmp_gt_i32_e64 s4, s11, v0
	s_waitcnt lgkmcnt(0)
	v_cmp_gt_i32_e64 s2, s10, v6
	s_cbranch_vccnz .LBB4_37
; %bb.10:
	s_clause 0x1
	s_load_b128 s[20:23], s[0:1], 0x30
	s_load_b128 s[24:27], s[0:1], 0x48
	v_mul_lo_u32 v4, v7, s10
	v_dual_mov_b32 v5, 0 :: v_dual_lshlrev_b32 v10, 3, v7
	v_cmp_gt_i32_e32 vcc_lo, s10, v7
	v_lshlrev_b32_e32 v1, 2, v6
	v_ashrrev_i32_e32 v3, 31, v2
	v_lshl_add_u32 v13, v6, 3, v7
	v_lshlrev_b64 v[8:9], 2, v[4:5]
	v_mul_lo_u32 v4, v6, s10
	s_and_b32 s13, s2, vcc_lo
	s_bitcmp1_b32 s8, 0
	v_lshl_add_u32 v15, v13, 2, 0x200
	s_cselect_b32 s5, -1, 0
	s_cmp_eq_u32 s9, 0
	s_delay_alu instid0(VALU_DEP_2) | instskip(SKIP_4) | instid1(VALU_DEP_3)
	v_lshlrev_b64 v[4:5], 2, v[4:5]
	s_waitcnt lgkmcnt(0)
	v_add_co_u32 v8, vcc_lo, s22, v8
	v_add_co_ci_u32_e32 v9, vcc_lo, s23, v9, vcc_lo
	v_mul_lo_u32 v18, v2, s27
	v_add_co_u32 v14, vcc_lo, v8, v1
	v_ashrrev_i32_e32 v1, 31, v0
	s_delay_alu instid0(VALU_DEP_4)
	v_add_co_ci_u32_e32 v17, vcc_lo, 0, v9, vcc_lo
	v_mul_lo_u32 v19, v3, s26
	v_mad_u64_u32 v[8:9], null, v2, s26, 0
	v_mul_lo_u32 v20, v0, s27
	v_mul_lo_u32 v21, v1, s26
	v_mad_u64_u32 v[11:12], null, v0, s26, 0
	v_add_co_u32 v4, vcc_lo, s22, v4
	v_lshlrev_b32_e32 v16, 2, v7
	v_add_co_ci_u32_e32 v5, vcc_lo, s23, v5, vcc_lo
	v_add3_u32 v9, v9, v18, v19
	v_add3_u32 v12, v12, v20, v21
	s_delay_alu instid0(VALU_DEP_4) | instskip(NEXT) | instid1(VALU_DEP_4)
	v_add_co_u32 v4, vcc_lo, v4, v16
	v_add_co_ci_u32_e32 v5, vcc_lo, 0, v5, vcc_lo
	v_lshlrev_b32_e32 v19, 5, v7
	s_cselect_b32 vcc_lo, -1, 0
	s_add_i32 s9, s10, -1
	s_and_b32 s8, s10, 7
	s_cmp_gt_u32 s9, 6
	v_add_lshl_u32 v16, v10, v6, 2
	v_dual_cndmask_b32 v17, v17, v5 :: v_dual_cndmask_b32 v18, v14, v4
	v_mov_b32_e32 v4, s34
	v_lshlrev_b64 v[7:8], 2, v[8:9]
	v_lshlrev_b64 v[9:10], 2, v[2:3]
	v_lshlrev_b64 v[11:12], 2, v[11:12]
	v_lshlrev_b64 v[13:14], 2, v[0:1]
	s_cselect_b32 s9, -1, 0
	s_and_b32 s15, s10, -8
	v_lshl_add_u32 v20, v6, 5, 0x200
	v_add_nc_u32_e32 v21, 0x100, v19
	v_mov_b32_e32 v5, s35
	s_cmp_lg_u32 s8, 0
	s_mul_i32 s23, s10, s10
	s_cselect_b32 s22, -1, 0
	s_branch .LBB4_13
.LBB4_11:                               ;   in Loop: Header=BB4_13 Depth=1
	s_or_b32 exec_lo, exec_lo, s34
.LBB4_12:                               ;   in Loop: Header=BB4_13 Depth=1
	s_delay_alu instid0(SALU_CYCLE_1) | instskip(SKIP_2) | instid1(SALU_CYCLE_1)
	s_or_b32 exec_lo, exec_lo, s33
	s_add_u32 s30, s30, 1
	s_addc_u32 s31, s31, 0
	v_cmp_ge_i64_e64 s33, s[30:31], s[28:29]
	s_barrier
	buffer_gl0_inv
	s_and_b32 vcc_lo, exec_lo, s33
	s_cbranch_vccnz .LBB4_37
.LBB4_13:                               ; =>This Loop Header: Depth=1
                                        ;     Child Loop BB4_24 Depth 2
                                        ;     Child Loop BB4_28 Depth 2
	;; [unrolled: 1-line block ×4, first 2 shown]
	s_and_saveexec_b32 s33, s2
	s_cbranch_execz .LBB4_18
; %bb.14:                               ;   in Loop: Header=BB4_13 Depth=1
	s_lshl_b64 s[34:35], s[30:31], 2
	s_delay_alu instid0(SALU_CYCLE_1) | instskip(SKIP_4) | instid1(SALU_CYCLE_1)
	s_add_u32 s34, s20, s34
	s_addc_u32 s35, s21, s35
	s_load_b32 s34, s[34:35], 0x0
	s_waitcnt lgkmcnt(0)
	s_sub_i32 s34, s34, s17
	v_mad_u64_u32 v[22:23], null, s34, s10, v[6:7]
	s_delay_alu instid0(VALU_DEP_1) | instskip(SKIP_2) | instid1(VALU_DEP_3)
	v_ashrrev_i32_e32 v23, 31, v22
	v_mul_lo_u32 v1, v22, s27
	v_mad_u64_u32 v[24:25], null, v22, s26, 0
	v_mul_lo_u32 v3, v23, s26
	v_lshlrev_b64 v[22:23], 2, v[22:23]
	s_delay_alu instid0(VALU_DEP_2) | instskip(NEXT) | instid1(VALU_DEP_1)
	v_add3_u32 v25, v25, v1, v3
	v_lshlrev_b64 v[24:25], 2, v[24:25]
	s_delay_alu instid0(VALU_DEP_1) | instskip(NEXT) | instid1(VALU_DEP_2)
	v_add_co_u32 v1, vcc_lo, s24, v24
	v_add_co_ci_u32_e32 v3, vcc_lo, s25, v25, vcc_lo
	v_add_co_u32 v22, vcc_lo, s24, v22
	v_add_co_ci_u32_e32 v23, vcc_lo, s25, v23, vcc_lo
	s_and_saveexec_b32 s34, s3
	s_cbranch_execz .LBB4_16
; %bb.15:                               ;   in Loop: Header=BB4_13 Depth=1
	s_delay_alu instid0(VALU_DEP_2) | instskip(NEXT) | instid1(VALU_DEP_2)
	v_add_co_u32 v24, vcc_lo, v22, v7
	v_add_co_ci_u32_e32 v25, vcc_lo, v23, v8, vcc_lo
	v_add_co_u32 v26, vcc_lo, v1, v9
	v_add_co_ci_u32_e32 v27, vcc_lo, v3, v10, vcc_lo
	s_delay_alu instid0(VALU_DEP_2) | instskip(NEXT) | instid1(VALU_DEP_2)
	v_cndmask_b32_e64 v24, v26, v24, s5
	v_cndmask_b32_e64 v25, v27, v25, s5
	global_load_b32 v24, v[24:25], off
	s_waitcnt vmcnt(0)
	ds_store_b32 v16, v24
.LBB4_16:                               ;   in Loop: Header=BB4_13 Depth=1
	s_or_b32 exec_lo, exec_lo, s34
	s_delay_alu instid0(SALU_CYCLE_1)
	s_and_b32 exec_lo, exec_lo, s4
	s_cbranch_execz .LBB4_18
; %bb.17:                               ;   in Loop: Header=BB4_13 Depth=1
	v_add_co_u32 v22, vcc_lo, v22, v11
	v_add_co_ci_u32_e32 v23, vcc_lo, v23, v12, vcc_lo
	v_add_co_u32 v1, vcc_lo, v1, v13
	v_add_co_ci_u32_e32 v3, vcc_lo, v3, v14, vcc_lo
	s_delay_alu instid0(VALU_DEP_2) | instskip(NEXT) | instid1(VALU_DEP_2)
	v_cndmask_b32_e64 v22, v1, v22, s5
	v_cndmask_b32_e64 v23, v3, v23, s5
	global_load_b32 v1, v[22:23], off
	s_waitcnt vmcnt(0)
	ds_store_b32 v16, v1 offset:256
.LBB4_18:                               ;   in Loop: Header=BB4_13 Depth=1
	s_or_b32 exec_lo, exec_lo, s33
	s_and_saveexec_b32 s33, s13
	s_cbranch_execz .LBB4_20
; %bb.19:                               ;   in Loop: Header=BB4_13 Depth=1
	s_mul_i32 s35, s31, s23
	s_mul_hi_u32 s36, s30, s23
	s_mul_i32 s34, s30, s23
	s_add_i32 s35, s36, s35
	s_delay_alu instid0(SALU_CYCLE_1) | instskip(NEXT) | instid1(SALU_CYCLE_1)
	s_lshl_b64 s[34:35], s[34:35], 2
	v_add_co_u32 v22, vcc_lo, v18, s34
	v_add_co_ci_u32_e32 v23, vcc_lo, s35, v17, vcc_lo
	global_load_b32 v1, v[22:23], off
	s_waitcnt vmcnt(0)
	ds_store_b32 v15, v1
.LBB4_20:                               ;   in Loop: Header=BB4_13 Depth=1
	s_or_b32 exec_lo, exec_lo, s33
	s_waitcnt lgkmcnt(0)
	s_barrier
	buffer_gl0_inv
	s_and_saveexec_b32 s33, s2
	s_cbranch_execz .LBB4_12
; %bb.21:                               ;   in Loop: Header=BB4_13 Depth=1
	s_and_saveexec_b32 s34, s3
	s_cbranch_execz .LBB4_29
; %bb.22:                               ;   in Loop: Header=BB4_13 Depth=1
	s_and_not1_b32 vcc_lo, exec_lo, s9
	s_cbranch_vccnz .LBB4_26
; %bb.23:                               ;   in Loop: Header=BB4_13 Depth=1
	v_mov_b32_e32 v1, v20
	v_mov_b32_e32 v3, v19
	s_mov_b32 s35, 0
	.p2align	6
.LBB4_24:                               ;   Parent Loop BB4_13 Depth=1
                                        ; =>  This Inner Loop Header: Depth=2
	ds_load_b128 v[22:25], v3
	ds_load_b128 v[26:29], v1
	ds_load_b128 v[30:33], v1 offset:16
	ds_load_b128 v[34:37], v3 offset:16
	s_add_i32 s35, s35, 8
	v_add_nc_u32_e32 v1, 32, v1
	s_cmp_lg_u32 s15, s35
	v_add_nc_u32_e32 v3, 32, v3
	s_waitcnt lgkmcnt(2)
	v_fma_f32 v4, v26, v22, v4
	s_delay_alu instid0(VALU_DEP_1) | instskip(NEXT) | instid1(VALU_DEP_1)
	v_fmac_f32_e32 v4, v27, v23
	v_fmac_f32_e32 v4, v28, v24
	s_delay_alu instid0(VALU_DEP_1) | instskip(SKIP_1) | instid1(VALU_DEP_1)
	v_fmac_f32_e32 v4, v29, v25
	s_waitcnt lgkmcnt(0)
	v_fmac_f32_e32 v4, v30, v34
	s_delay_alu instid0(VALU_DEP_1) | instskip(NEXT) | instid1(VALU_DEP_1)
	v_fmac_f32_e32 v4, v31, v35
	v_fmac_f32_e32 v4, v32, v36
	s_delay_alu instid0(VALU_DEP_1)
	v_fmac_f32_e32 v4, v33, v37
	s_cbranch_scc1 .LBB4_24
; %bb.25:                               ;   in Loop: Header=BB4_13 Depth=1
	s_mov_b32 s35, s15
	s_and_not1_b32 vcc_lo, exec_lo, s22
	s_cbranch_vccz .LBB4_27
	s_branch .LBB4_29
.LBB4_26:                               ;   in Loop: Header=BB4_13 Depth=1
	s_mov_b32 s35, 0
	s_and_not1_b32 vcc_lo, exec_lo, s22
	s_cbranch_vccnz .LBB4_29
.LBB4_27:                               ;   in Loop: Header=BB4_13 Depth=1
	s_lshl_b32 s35, s35, 2
	s_delay_alu instid0(SALU_CYCLE_1)
	v_add_nc_u32_e32 v1, s35, v19
	v_add_nc_u32_e32 v3, s35, v20
	s_mov_b32 s35, s8
.LBB4_28:                               ;   Parent Loop BB4_13 Depth=1
                                        ; =>  This Inner Loop Header: Depth=2
	ds_load_b32 v22, v3
	ds_load_b32 v23, v1
	v_add_nc_u32_e32 v1, 4, v1
	v_add_nc_u32_e32 v3, 4, v3
	s_add_i32 s35, s35, -1
	s_delay_alu instid0(SALU_CYCLE_1)
	s_cmp_lg_u32 s35, 0
	s_waitcnt lgkmcnt(0)
	v_fma_f32 v4, v22, v23, v4
	s_cbranch_scc1 .LBB4_28
.LBB4_29:                               ;   in Loop: Header=BB4_13 Depth=1
	s_or_b32 exec_lo, exec_lo, s34
	s_and_saveexec_b32 s34, s4
	s_cbranch_execz .LBB4_11
; %bb.30:                               ;   in Loop: Header=BB4_13 Depth=1
	s_and_not1_b32 vcc_lo, exec_lo, s9
	s_cbranch_vccnz .LBB4_34
; %bb.31:                               ;   in Loop: Header=BB4_13 Depth=1
	v_mov_b32_e32 v1, v20
	v_mov_b32_e32 v3, v21
	s_mov_b32 s35, 0
	.p2align	6
.LBB4_32:                               ;   Parent Loop BB4_13 Depth=1
                                        ; =>  This Inner Loop Header: Depth=2
	ds_load_b128 v[22:25], v3
	ds_load_b128 v[26:29], v1
	ds_load_b128 v[30:33], v1 offset:16
	ds_load_b128 v[34:37], v3 offset:16
	v_add_nc_u32_e32 v3, 32, v3
	v_add_nc_u32_e32 v1, 32, v1
	s_add_i32 s35, s35, 8
	s_delay_alu instid0(SALU_CYCLE_1) | instskip(SKIP_2) | instid1(VALU_DEP_1)
	s_cmp_lg_u32 s15, s35
	s_waitcnt lgkmcnt(2)
	v_fma_f32 v5, v26, v22, v5
	v_fmac_f32_e32 v5, v27, v23
	s_delay_alu instid0(VALU_DEP_1) | instskip(NEXT) | instid1(VALU_DEP_1)
	v_fmac_f32_e32 v5, v28, v24
	v_fmac_f32_e32 v5, v29, v25
	s_waitcnt lgkmcnt(0)
	s_delay_alu instid0(VALU_DEP_1) | instskip(NEXT) | instid1(VALU_DEP_1)
	v_fmac_f32_e32 v5, v30, v34
	v_fmac_f32_e32 v5, v31, v35
	s_delay_alu instid0(VALU_DEP_1) | instskip(NEXT) | instid1(VALU_DEP_1)
	v_fmac_f32_e32 v5, v32, v36
	v_fmac_f32_e32 v5, v33, v37
	s_cbranch_scc1 .LBB4_32
; %bb.33:                               ;   in Loop: Header=BB4_13 Depth=1
	s_mov_b32 s35, s15
	s_and_not1_b32 vcc_lo, exec_lo, s22
	s_cbranch_vccz .LBB4_35
	s_branch .LBB4_11
.LBB4_34:                               ;   in Loop: Header=BB4_13 Depth=1
	s_mov_b32 s35, 0
	s_and_not1_b32 vcc_lo, exec_lo, s22
	s_cbranch_vccnz .LBB4_11
.LBB4_35:                               ;   in Loop: Header=BB4_13 Depth=1
	s_lshl_b32 s35, s35, 2
	s_delay_alu instid0(SALU_CYCLE_1)
	v_add_nc_u32_e32 v1, s35, v21
	v_add_nc_u32_e32 v3, s35, v20
	s_mov_b32 s35, s8
.LBB4_36:                               ;   Parent Loop BB4_13 Depth=1
                                        ; =>  This Inner Loop Header: Depth=2
	ds_load_b32 v22, v3
	ds_load_b32 v23, v1
	v_add_nc_u32_e32 v1, 4, v1
	v_add_nc_u32_e32 v3, 4, v3
	s_add_i32 s35, s35, -1
	s_delay_alu instid0(SALU_CYCLE_1)
	s_cmp_lg_u32 s35, 0
	s_waitcnt lgkmcnt(0)
	v_fma_f32 v5, v22, v23, v5
	s_cbranch_scc1 .LBB4_36
	s_branch .LBB4_11
.LBB4_37:
	s_delay_alu instid0(VALU_DEP_1) | instskip(NEXT) | instid1(SALU_CYCLE_1)
	s_and_b32 s2, s7, s2
	s_and_saveexec_b32 s3, s2
	s_cbranch_execz .LBB4_57
; %bb.38:
	s_load_b64 s[2:3], s[0:1], 0x70
	v_mad_u64_u32 v[7:8], null, s14, s10, v[6:7]
	v_cmp_neq_f32_e64 s4, s12, 0
	s_cmp_lg_u32 s16, 1
	s_mov_b32 s0, exec_lo
	s_cselect_b32 s1, -1, 0
	s_delay_alu instid0(VALU_DEP_2) | instskip(SKIP_1) | instid1(VALU_DEP_1)
	v_ashrrev_i32_e32 v8, 31, v7
	s_waitcnt lgkmcnt(0)
	v_mul_lo_u32 v1, v8, s2
	v_mul_lo_u32 v3, v7, s3
	v_mad_u64_u32 v[9:10], null, v7, s2, 0
	v_lshlrev_b64 v[6:7], 2, v[7:8]
	s_delay_alu instid0(VALU_DEP_1) | instskip(NEXT) | instid1(VALU_DEP_3)
	v_add_co_u32 v6, vcc_lo, s18, v6
	v_add3_u32 v10, v10, v3, v1
	s_delay_alu instid0(VALU_DEP_3) | instskip(NEXT) | instid1(VALU_DEP_2)
	v_add_co_ci_u32_e32 v7, vcc_lo, s19, v7, vcc_lo
	v_lshlrev_b64 v[8:9], 2, v[9:10]
	s_delay_alu instid0(VALU_DEP_1) | instskip(NEXT) | instid1(VALU_DEP_2)
	v_add_co_u32 v8, vcc_lo, s18, v8
	v_add_co_ci_u32_e32 v9, vcc_lo, s19, v9, vcc_lo
	v_cmpx_gt_i32_e64 s11, v2
	s_cbranch_execz .LBB4_50
; %bb.39:
	v_ashrrev_i32_e32 v3, 31, v2
	s_and_b32 vcc_lo, exec_lo, s4
	s_cbranch_vccz .LBB4_45
; %bb.40:
	s_and_b32 vcc_lo, exec_lo, s1
	s_mov_b32 s5, -1
	s_cbranch_vccz .LBB4_42
; %bb.41:
	v_lshlrev_b64 v[10:11], 2, v[2:3]
	v_mul_f32_e32 v12, s6, v4
	s_mov_b32 s5, 0
	s_delay_alu instid0(VALU_DEP_2) | instskip(NEXT) | instid1(VALU_DEP_3)
	v_add_co_u32 v10, vcc_lo, v8, v10
	v_add_co_ci_u32_e32 v11, vcc_lo, v9, v11, vcc_lo
	global_load_b32 v1, v[10:11], off
	s_waitcnt vmcnt(0)
	v_fmac_f32_e32 v12, s12, v1
	global_store_b32 v[10:11], v12, off
.LBB4_42:
	s_and_not1_b32 vcc_lo, exec_lo, s5
	s_cbranch_vccnz .LBB4_44
; %bb.43:
	v_mul_lo_u32 v1, v3, s2
	v_mul_lo_u32 v12, v2, s3
	v_mad_u64_u32 v[10:11], null, v2, s2, 0
	s_delay_alu instid0(VALU_DEP_1) | instskip(SKIP_1) | instid1(VALU_DEP_2)
	v_add3_u32 v11, v11, v12, v1
	v_mul_f32_e32 v12, s6, v4
	v_lshlrev_b64 v[10:11], 2, v[10:11]
	s_delay_alu instid0(VALU_DEP_1) | instskip(NEXT) | instid1(VALU_DEP_2)
	v_add_co_u32 v10, vcc_lo, v6, v10
	v_add_co_ci_u32_e32 v11, vcc_lo, v7, v11, vcc_lo
	global_load_b32 v1, v[10:11], off
	s_waitcnt vmcnt(0)
	v_fmac_f32_e32 v12, s12, v1
	global_store_b32 v[10:11], v12, off
.LBB4_44:
	s_cbranch_execz .LBB4_46
	s_branch .LBB4_50
.LBB4_45:
.LBB4_46:
	v_mul_f32_e32 v1, s6, v4
	s_and_b32 vcc_lo, exec_lo, s1
	s_mov_b32 s5, -1
	s_cbranch_vccz .LBB4_48
; %bb.47:
	v_lshlrev_b64 v[10:11], 2, v[2:3]
	s_mov_b32 s5, 0
	s_delay_alu instid0(VALU_DEP_1) | instskip(NEXT) | instid1(VALU_DEP_2)
	v_add_co_u32 v10, vcc_lo, v8, v10
	v_add_co_ci_u32_e32 v11, vcc_lo, v9, v11, vcc_lo
	global_store_b32 v[10:11], v1, off
.LBB4_48:
	s_and_not1_b32 vcc_lo, exec_lo, s5
	s_cbranch_vccnz .LBB4_50
; %bb.49:
	v_mul_lo_u32 v10, v3, s2
	v_mul_lo_u32 v11, v2, s3
	v_mad_u64_u32 v[3:4], null, v2, s2, 0
	s_delay_alu instid0(VALU_DEP_1) | instskip(NEXT) | instid1(VALU_DEP_1)
	v_add3_u32 v4, v4, v11, v10
	v_lshlrev_b64 v[2:3], 2, v[3:4]
	s_delay_alu instid0(VALU_DEP_1) | instskip(NEXT) | instid1(VALU_DEP_2)
	v_add_co_u32 v2, vcc_lo, v6, v2
	v_add_co_ci_u32_e32 v3, vcc_lo, v7, v3, vcc_lo
	global_store_b32 v[2:3], v1, off
.LBB4_50:
	s_or_b32 exec_lo, exec_lo, s0
	v_cmp_gt_i32_e32 vcc_lo, s11, v0
	s_and_b32 exec_lo, exec_lo, vcc_lo
	s_cbranch_execz .LBB4_57
; %bb.51:
	v_cndmask_b32_e64 v2, 0, 1, s1
	v_ashrrev_i32_e32 v1, 31, v0
	s_and_not1_b32 vcc_lo, exec_lo, s4
	s_delay_alu instid0(VALU_DEP_2)
	v_cmp_ne_u32_e64 s0, 1, v2
	s_cbranch_vccnz .LBB4_58
; %bb.52:
	s_delay_alu instid0(VALU_DEP_1)
	s_and_b32 vcc_lo, exec_lo, s0
	s_mov_b32 s0, -1
	s_cbranch_vccnz .LBB4_54
; %bb.53:
	v_lshlrev_b64 v[2:3], 2, v[0:1]
	v_mul_f32_e32 v10, s6, v5
	s_mov_b32 s0, 0
	s_delay_alu instid0(VALU_DEP_2) | instskip(NEXT) | instid1(VALU_DEP_3)
	v_add_co_u32 v2, vcc_lo, v8, v2
	v_add_co_ci_u32_e32 v3, vcc_lo, v9, v3, vcc_lo
	global_load_b32 v4, v[2:3], off
	s_waitcnt vmcnt(0)
	v_fmac_f32_e32 v10, s12, v4
	global_store_b32 v[2:3], v10, off
.LBB4_54:
	s_and_not1_b32 vcc_lo, exec_lo, s0
	s_cbranch_vccnz .LBB4_56
; %bb.55:
	v_mul_lo_u32 v4, v1, s2
	v_mul_lo_u32 v10, v0, s3
	v_mad_u64_u32 v[2:3], null, v0, s2, 0
	s_delay_alu instid0(VALU_DEP_1) | instskip(SKIP_1) | instid1(VALU_DEP_2)
	v_add3_u32 v3, v3, v10, v4
	v_mul_f32_e32 v10, s6, v5
	v_lshlrev_b64 v[2:3], 2, v[2:3]
	s_delay_alu instid0(VALU_DEP_1) | instskip(NEXT) | instid1(VALU_DEP_2)
	v_add_co_u32 v2, vcc_lo, v6, v2
	v_add_co_ci_u32_e32 v3, vcc_lo, v7, v3, vcc_lo
	global_load_b32 v4, v[2:3], off
	s_waitcnt vmcnt(0)
	v_fmac_f32_e32 v10, s12, v4
	global_store_b32 v[2:3], v10, off
.LBB4_56:
	s_cbranch_execz .LBB4_59
.LBB4_57:
	s_nop 0
	s_sendmsg sendmsg(MSG_DEALLOC_VGPRS)
	s_endpgm
.LBB4_58:
.LBB4_59:
	v_mul_f32_e32 v2, s6, v5
	s_and_not1_b32 vcc_lo, exec_lo, s1
	s_mov_b32 s0, -1
	s_cbranch_vccnz .LBB4_61
; %bb.60:
	v_lshlrev_b64 v[3:4], 2, v[0:1]
	s_mov_b32 s0, 0
	s_delay_alu instid0(VALU_DEP_1) | instskip(NEXT) | instid1(VALU_DEP_2)
	v_add_co_u32 v3, vcc_lo, v8, v3
	v_add_co_ci_u32_e32 v4, vcc_lo, v9, v4, vcc_lo
	global_store_b32 v[3:4], v2, off
.LBB4_61:
	s_and_not1_b32 vcc_lo, exec_lo, s0
	s_cbranch_vccnz .LBB4_57
; %bb.62:
	v_mul_lo_u32 v1, v1, s2
	v_mul_lo_u32 v5, v0, s3
	v_mad_u64_u32 v[3:4], null, v0, s2, 0
	s_delay_alu instid0(VALU_DEP_1) | instskip(NEXT) | instid1(VALU_DEP_1)
	v_add3_u32 v4, v4, v5, v1
	v_lshlrev_b64 v[0:1], 2, v[3:4]
	s_delay_alu instid0(VALU_DEP_1) | instskip(NEXT) | instid1(VALU_DEP_2)
	v_add_co_u32 v0, vcc_lo, v6, v0
	v_add_co_ci_u32_e32 v1, vcc_lo, v7, v1, vcc_lo
	global_store_b32 v[0:1], v2, off
	s_nop 0
	s_sendmsg sendmsg(MSG_DEALLOC_VGPRS)
	s_endpgm
	.section	.rodata,"a",@progbits
	.p2align	6, 0x0
	.amdhsa_kernel _ZN9rocsparseL31bsrmm_large_blockdim_kernel_extILj8ELj8ELj2EliffffEEvb20rocsparse_direction_T3_S2_llNS_24const_host_device_scalarIT7_EEPKT2_PKS2_PKT4_S2_PKT5_llS5_PT6_ll16rocsparse_order_21rocsparse_index_base_b
		.amdhsa_group_segment_fixed_size 768
		.amdhsa_private_segment_fixed_size 0
		.amdhsa_kernarg_size 140
		.amdhsa_user_sgpr_count 14
		.amdhsa_user_sgpr_dispatch_ptr 0
		.amdhsa_user_sgpr_queue_ptr 0
		.amdhsa_user_sgpr_kernarg_segment_ptr 1
		.amdhsa_user_sgpr_dispatch_id 0
		.amdhsa_user_sgpr_private_segment_size 0
		.amdhsa_wavefront_size32 1
		.amdhsa_uses_dynamic_stack 0
		.amdhsa_enable_private_segment 0
		.amdhsa_system_sgpr_workgroup_id_x 1
		.amdhsa_system_sgpr_workgroup_id_y 1
		.amdhsa_system_sgpr_workgroup_id_z 0
		.amdhsa_system_sgpr_workgroup_info 0
		.amdhsa_system_vgpr_workitem_id 1
		.amdhsa_next_free_vgpr 38
		.amdhsa_next_free_sgpr 37
		.amdhsa_reserve_vcc 1
		.amdhsa_float_round_mode_32 0
		.amdhsa_float_round_mode_16_64 0
		.amdhsa_float_denorm_mode_32 3
		.amdhsa_float_denorm_mode_16_64 3
		.amdhsa_dx10_clamp 1
		.amdhsa_ieee_mode 1
		.amdhsa_fp16_overflow 0
		.amdhsa_workgroup_processor_mode 1
		.amdhsa_memory_ordered 1
		.amdhsa_forward_progress 0
		.amdhsa_shared_vgpr_count 0
		.amdhsa_exception_fp_ieee_invalid_op 0
		.amdhsa_exception_fp_denorm_src 0
		.amdhsa_exception_fp_ieee_div_zero 0
		.amdhsa_exception_fp_ieee_overflow 0
		.amdhsa_exception_fp_ieee_underflow 0
		.amdhsa_exception_fp_ieee_inexact 0
		.amdhsa_exception_int_div_zero 0
	.end_amdhsa_kernel
	.section	.text._ZN9rocsparseL31bsrmm_large_blockdim_kernel_extILj8ELj8ELj2EliffffEEvb20rocsparse_direction_T3_S2_llNS_24const_host_device_scalarIT7_EEPKT2_PKS2_PKT4_S2_PKT5_llS5_PT6_ll16rocsparse_order_21rocsparse_index_base_b,"axG",@progbits,_ZN9rocsparseL31bsrmm_large_blockdim_kernel_extILj8ELj8ELj2EliffffEEvb20rocsparse_direction_T3_S2_llNS_24const_host_device_scalarIT7_EEPKT2_PKS2_PKT4_S2_PKT5_llS5_PT6_ll16rocsparse_order_21rocsparse_index_base_b,comdat
.Lfunc_end4:
	.size	_ZN9rocsparseL31bsrmm_large_blockdim_kernel_extILj8ELj8ELj2EliffffEEvb20rocsparse_direction_T3_S2_llNS_24const_host_device_scalarIT7_EEPKT2_PKS2_PKT4_S2_PKT5_llS5_PT6_ll16rocsparse_order_21rocsparse_index_base_b, .Lfunc_end4-_ZN9rocsparseL31bsrmm_large_blockdim_kernel_extILj8ELj8ELj2EliffffEEvb20rocsparse_direction_T3_S2_llNS_24const_host_device_scalarIT7_EEPKT2_PKS2_PKT4_S2_PKT5_llS5_PT6_ll16rocsparse_order_21rocsparse_index_base_b
                                        ; -- End function
	.section	.AMDGPU.csdata,"",@progbits
; Kernel info:
; codeLenInByte = 2508
; NumSgprs: 39
; NumVgprs: 38
; ScratchSize: 0
; MemoryBound: 0
; FloatMode: 240
; IeeeMode: 1
; LDSByteSize: 768 bytes/workgroup (compile time only)
; SGPRBlocks: 4
; VGPRBlocks: 4
; NumSGPRsForWavesPerEU: 39
; NumVGPRsForWavesPerEU: 38
; Occupancy: 16
; WaveLimiterHint : 1
; COMPUTE_PGM_RSRC2:SCRATCH_EN: 0
; COMPUTE_PGM_RSRC2:USER_SGPR: 14
; COMPUTE_PGM_RSRC2:TRAP_HANDLER: 0
; COMPUTE_PGM_RSRC2:TGID_X_EN: 1
; COMPUTE_PGM_RSRC2:TGID_Y_EN: 1
; COMPUTE_PGM_RSRC2:TGID_Z_EN: 0
; COMPUTE_PGM_RSRC2:TIDIG_COMP_CNT: 1
	.section	.text._ZN9rocsparseL31bsrmm_large_blockdim_kernel_extILj4ELj16ELj2EliffffEEvb20rocsparse_direction_T3_S2_llNS_24const_host_device_scalarIT7_EEPKT2_PKS2_PKT4_S2_PKT5_llS5_PT6_ll16rocsparse_order_21rocsparse_index_base_b,"axG",@progbits,_ZN9rocsparseL31bsrmm_large_blockdim_kernel_extILj4ELj16ELj2EliffffEEvb20rocsparse_direction_T3_S2_llNS_24const_host_device_scalarIT7_EEPKT2_PKS2_PKT4_S2_PKT5_llS5_PT6_ll16rocsparse_order_21rocsparse_index_base_b,comdat
	.globl	_ZN9rocsparseL31bsrmm_large_blockdim_kernel_extILj4ELj16ELj2EliffffEEvb20rocsparse_direction_T3_S2_llNS_24const_host_device_scalarIT7_EEPKT2_PKS2_PKT4_S2_PKT5_llS5_PT6_ll16rocsparse_order_21rocsparse_index_base_b ; -- Begin function _ZN9rocsparseL31bsrmm_large_blockdim_kernel_extILj4ELj16ELj2EliffffEEvb20rocsparse_direction_T3_S2_llNS_24const_host_device_scalarIT7_EEPKT2_PKS2_PKT4_S2_PKT5_llS5_PT6_ll16rocsparse_order_21rocsparse_index_base_b
	.p2align	8
	.type	_ZN9rocsparseL31bsrmm_large_blockdim_kernel_extILj4ELj16ELj2EliffffEEvb20rocsparse_direction_T3_S2_llNS_24const_host_device_scalarIT7_EEPKT2_PKS2_PKT4_S2_PKT5_llS5_PT6_ll16rocsparse_order_21rocsparse_index_base_b,@function
_ZN9rocsparseL31bsrmm_large_blockdim_kernel_extILj4ELj16ELj2EliffffEEvb20rocsparse_direction_T3_S2_llNS_24const_host_device_scalarIT7_EEPKT2_PKS2_PKT4_S2_PKT5_llS5_PT6_ll16rocsparse_order_21rocsparse_index_base_b: ; @_ZN9rocsparseL31bsrmm_large_blockdim_kernel_extILj4ELj16ELj2EliffffEEvb20rocsparse_direction_T3_S2_llNS_24const_host_device_scalarIT7_EEPKT2_PKS2_PKT4_S2_PKT5_llS5_PT6_ll16rocsparse_order_21rocsparse_index_base_b
; %bb.0:
	s_clause 0x2
	s_load_b128 s[16:19], s[0:1], 0x80
	s_load_b64 s[6:7], s[0:1], 0x20
	s_load_b64 s[12:13], s[0:1], 0x60
	s_mov_b32 s2, s15
	s_waitcnt lgkmcnt(0)
	s_bitcmp1_b32 s18, 0
	s_cselect_b32 s3, -1, 0
	s_delay_alu instid0(SALU_CYCLE_1)
	s_and_b32 vcc_lo, exec_lo, s3
	s_xor_b32 s3, s3, -1
	s_cbranch_vccnz .LBB5_2
; %bb.1:
	s_load_b32 s6, s[6:7], 0x0
.LBB5_2:
	s_and_not1_b32 vcc_lo, exec_lo, s3
	s_cbranch_vccnz .LBB5_4
; %bb.3:
	s_load_b32 s12, s[12:13], 0x0
.LBB5_4:
	s_waitcnt lgkmcnt(0)
	v_cmp_eq_f32_e64 s3, s6, 0
	v_cmp_eq_f32_e64 s4, s12, 1.0
	s_delay_alu instid0(VALU_DEP_1) | instskip(NEXT) | instid1(SALU_CYCLE_1)
	s_and_b32 s3, s3, s4
	s_and_b32 vcc_lo, exec_lo, s3
	s_cbranch_vccnz .LBB5_57
; %bb.5:
	s_clause 0x1
	s_load_b128 s[8:11], s[0:1], 0x0
	s_load_b64 s[4:5], s[0:1], 0x28
	s_mov_b64 s[28:29], 0
	s_mov_b64 s[30:31], 0
	s_waitcnt lgkmcnt(0)
	s_cmp_lt_i32 s14, s10
	s_cselect_b32 s7, -1, 0
	s_cmp_ge_i32 s14, s10
	s_cbranch_scc1 .LBB5_7
; %bb.6:
	s_ashr_i32 s15, s14, 31
	s_delay_alu instid0(SALU_CYCLE_1) | instskip(NEXT) | instid1(SALU_CYCLE_1)
	s_lshl_b64 s[18:19], s[14:15], 3
	s_add_u32 s18, s4, s18
	s_addc_u32 s19, s5, s19
	s_load_b64 s[18:19], s[18:19], 0x0
	s_waitcnt lgkmcnt(0)
	s_sub_u32 s30, s18, s17
	s_subb_u32 s31, s19, 0
.LBB5_7:
	s_and_not1_b32 vcc_lo, exec_lo, s7
	s_cbranch_vccnz .LBB5_9
; %bb.8:
	s_ashr_i32 s15, s14, 31
	s_delay_alu instid0(SALU_CYCLE_1) | instskip(NEXT) | instid1(SALU_CYCLE_1)
	s_lshl_b64 s[18:19], s[14:15], 3
	s_add_u32 s4, s4, s18
	s_addc_u32 s5, s5, s19
	s_load_b64 s[4:5], s[4:5], 0x8
	s_waitcnt lgkmcnt(0)
	s_sub_u32 s28, s4, s17
	s_subb_u32 s29, s5, 0
.LBB5_9:
	s_clause 0x1
	s_load_b32 s10, s[0:1], 0x40
	s_load_b64 s[18:19], s[0:1], 0x68
	v_bfe_u32 v7, v0, 10, 10
	s_mov_b32 s34, 0
	s_delay_alu instid0(SALU_CYCLE_1) | instskip(SKIP_1) | instid1(VALU_DEP_2)
	s_mov_b32 s35, s34
	v_and_b32_e32 v6, 0x3ff, v0
	v_lshl_add_u32 v2, s2, 5, v7
	v_cmp_ge_i64_e64 s2, s[30:31], s[28:29]
	v_dual_mov_b32 v4, s34 :: v_dual_mov_b32 v5, s35
	s_delay_alu instid0(VALU_DEP_3) | instskip(SKIP_1) | instid1(VALU_DEP_4)
	v_add_nc_u32_e32 v0, 16, v2
	v_cmp_gt_i32_e64 s3, s11, v2
	s_and_b32 vcc_lo, exec_lo, s2
	s_delay_alu instid0(VALU_DEP_2)
	v_cmp_gt_i32_e64 s4, s11, v0
	s_waitcnt lgkmcnt(0)
	v_cmp_gt_i32_e64 s2, s10, v6
	s_cbranch_vccnz .LBB5_37
; %bb.10:
	s_clause 0x1
	s_load_b128 s[20:23], s[0:1], 0x30
	s_load_b128 s[24:27], s[0:1], 0x48
	v_mul_lo_u32 v4, v7, s10
	v_dual_mov_b32 v5, 0 :: v_dual_lshlrev_b32 v10, 2, v7
	v_cmp_gt_i32_e32 vcc_lo, s10, v7
	v_lshlrev_b32_e32 v1, 2, v6
	v_ashrrev_i32_e32 v3, 31, v2
	s_delay_alu instid0(VALU_DEP_4)
	v_add_lshl_u32 v16, v10, v6, 2
	v_lshlrev_b64 v[8:9], 2, v[4:5]
	v_mul_lo_u32 v4, v6, s10
	s_and_b32 s13, s2, vcc_lo
	s_bitcmp1_b32 s8, 0
	s_cselect_b32 s5, -1, 0
	s_cmp_eq_u32 s9, 0
	s_delay_alu instid0(VALU_DEP_1) | instskip(SKIP_4) | instid1(VALU_DEP_3)
	v_lshlrev_b64 v[4:5], 2, v[4:5]
	s_waitcnt lgkmcnt(0)
	v_add_co_u32 v8, vcc_lo, s22, v8
	v_add_co_ci_u32_e32 v9, vcc_lo, s23, v9, vcc_lo
	v_mul_lo_u32 v18, v2, s27
	v_add_co_u32 v14, vcc_lo, v8, v1
	s_delay_alu instid0(VALU_DEP_3) | instskip(SKIP_4) | instid1(VALU_DEP_4)
	v_add_co_ci_u32_e32 v17, vcc_lo, 0, v9, vcc_lo
	v_add_co_u32 v4, vcc_lo, s22, v4
	v_add_co_ci_u32_e32 v5, vcc_lo, s23, v5, vcc_lo
	v_mul_lo_u32 v19, v3, s26
	v_mad_u64_u32 v[8:9], null, v2, s26, 0
	v_add_co_u32 v4, vcc_lo, v4, v10
	s_delay_alu instid0(VALU_DEP_4) | instskip(SKIP_2) | instid1(VALU_DEP_4)
	v_add_co_ci_u32_e32 v5, vcc_lo, 0, v5, vcc_lo
	s_cselect_b32 vcc_lo, -1, 0
	v_mul_lo_u32 v20, v0, s27
	v_add3_u32 v9, v9, v18, v19
	v_dual_cndmask_b32 v18, v14, v4 :: v_dual_add_nc_u32 v13, v1, v7
	v_ashrrev_i32_e32 v1, 31, v0
	v_mad_u64_u32 v[11:12], null, v0, s26, 0
	v_lshlrev_b32_e32 v19, 4, v7
	s_add_i32 s9, s10, -1
	s_delay_alu instid0(VALU_DEP_3)
	v_mul_lo_u32 v21, v1, s26
	s_and_b32 s8, s10, 7
	s_cmp_gt_u32 s9, 6
	v_dual_cndmask_b32 v17, v17, v5 :: v_dual_mov_b32 v4, s34
	v_lshl_add_u32 v15, v13, 2, 0x200
	v_lshlrev_b64 v[7:8], 2, v[8:9]
	v_lshlrev_b64 v[9:10], 2, v[2:3]
	v_add3_u32 v12, v12, v20, v21
	v_lshlrev_b64 v[13:14], 2, v[0:1]
	s_cselect_b32 s9, -1, 0
	s_and_b32 s15, s10, -8
	v_lshl_add_u32 v20, v6, 4, 0x200
	v_lshlrev_b64 v[11:12], 2, v[11:12]
	v_add_nc_u32_e32 v21, 0x100, v19
	v_mov_b32_e32 v5, s35
	s_cmp_lg_u32 s8, 0
	s_mul_i32 s23, s10, s10
	s_cselect_b32 s22, -1, 0
	s_branch .LBB5_13
.LBB5_11:                               ;   in Loop: Header=BB5_13 Depth=1
	s_or_b32 exec_lo, exec_lo, s34
.LBB5_12:                               ;   in Loop: Header=BB5_13 Depth=1
	s_delay_alu instid0(SALU_CYCLE_1) | instskip(SKIP_2) | instid1(SALU_CYCLE_1)
	s_or_b32 exec_lo, exec_lo, s33
	s_add_u32 s30, s30, 1
	s_addc_u32 s31, s31, 0
	v_cmp_ge_i64_e64 s33, s[30:31], s[28:29]
	s_barrier
	buffer_gl0_inv
	s_and_b32 vcc_lo, exec_lo, s33
	s_cbranch_vccnz .LBB5_37
.LBB5_13:                               ; =>This Loop Header: Depth=1
                                        ;     Child Loop BB5_24 Depth 2
                                        ;     Child Loop BB5_28 Depth 2
	;; [unrolled: 1-line block ×4, first 2 shown]
	s_and_saveexec_b32 s33, s2
	s_cbranch_execz .LBB5_18
; %bb.14:                               ;   in Loop: Header=BB5_13 Depth=1
	s_lshl_b64 s[34:35], s[30:31], 2
	s_delay_alu instid0(SALU_CYCLE_1) | instskip(SKIP_4) | instid1(SALU_CYCLE_1)
	s_add_u32 s34, s20, s34
	s_addc_u32 s35, s21, s35
	s_load_b32 s34, s[34:35], 0x0
	s_waitcnt lgkmcnt(0)
	s_sub_i32 s34, s34, s17
	v_mad_u64_u32 v[22:23], null, s34, s10, v[6:7]
	s_delay_alu instid0(VALU_DEP_1) | instskip(SKIP_2) | instid1(VALU_DEP_3)
	v_ashrrev_i32_e32 v23, 31, v22
	v_mul_lo_u32 v1, v22, s27
	v_mad_u64_u32 v[24:25], null, v22, s26, 0
	v_mul_lo_u32 v3, v23, s26
	v_lshlrev_b64 v[22:23], 2, v[22:23]
	s_delay_alu instid0(VALU_DEP_2) | instskip(NEXT) | instid1(VALU_DEP_1)
	v_add3_u32 v25, v25, v1, v3
	v_lshlrev_b64 v[24:25], 2, v[24:25]
	s_delay_alu instid0(VALU_DEP_1) | instskip(NEXT) | instid1(VALU_DEP_2)
	v_add_co_u32 v1, vcc_lo, s24, v24
	v_add_co_ci_u32_e32 v3, vcc_lo, s25, v25, vcc_lo
	v_add_co_u32 v22, vcc_lo, s24, v22
	v_add_co_ci_u32_e32 v23, vcc_lo, s25, v23, vcc_lo
	s_and_saveexec_b32 s34, s3
	s_cbranch_execz .LBB5_16
; %bb.15:                               ;   in Loop: Header=BB5_13 Depth=1
	s_delay_alu instid0(VALU_DEP_2) | instskip(NEXT) | instid1(VALU_DEP_2)
	v_add_co_u32 v24, vcc_lo, v22, v7
	v_add_co_ci_u32_e32 v25, vcc_lo, v23, v8, vcc_lo
	v_add_co_u32 v26, vcc_lo, v1, v9
	v_add_co_ci_u32_e32 v27, vcc_lo, v3, v10, vcc_lo
	s_delay_alu instid0(VALU_DEP_2) | instskip(NEXT) | instid1(VALU_DEP_2)
	v_cndmask_b32_e64 v24, v26, v24, s5
	v_cndmask_b32_e64 v25, v27, v25, s5
	global_load_b32 v24, v[24:25], off
	s_waitcnt vmcnt(0)
	ds_store_b32 v16, v24
.LBB5_16:                               ;   in Loop: Header=BB5_13 Depth=1
	s_or_b32 exec_lo, exec_lo, s34
	s_delay_alu instid0(SALU_CYCLE_1)
	s_and_b32 exec_lo, exec_lo, s4
	s_cbranch_execz .LBB5_18
; %bb.17:                               ;   in Loop: Header=BB5_13 Depth=1
	v_add_co_u32 v22, vcc_lo, v22, v11
	v_add_co_ci_u32_e32 v23, vcc_lo, v23, v12, vcc_lo
	v_add_co_u32 v1, vcc_lo, v1, v13
	v_add_co_ci_u32_e32 v3, vcc_lo, v3, v14, vcc_lo
	s_delay_alu instid0(VALU_DEP_2) | instskip(NEXT) | instid1(VALU_DEP_2)
	v_cndmask_b32_e64 v22, v1, v22, s5
	v_cndmask_b32_e64 v23, v3, v23, s5
	global_load_b32 v1, v[22:23], off
	s_waitcnt vmcnt(0)
	ds_store_b32 v16, v1 offset:256
.LBB5_18:                               ;   in Loop: Header=BB5_13 Depth=1
	s_or_b32 exec_lo, exec_lo, s33
	s_and_saveexec_b32 s33, s13
	s_cbranch_execz .LBB5_20
; %bb.19:                               ;   in Loop: Header=BB5_13 Depth=1
	s_mul_i32 s35, s31, s23
	s_mul_hi_u32 s36, s30, s23
	s_mul_i32 s34, s30, s23
	s_add_i32 s35, s36, s35
	s_delay_alu instid0(SALU_CYCLE_1) | instskip(NEXT) | instid1(SALU_CYCLE_1)
	s_lshl_b64 s[34:35], s[34:35], 2
	v_add_co_u32 v22, vcc_lo, v18, s34
	v_add_co_ci_u32_e32 v23, vcc_lo, s35, v17, vcc_lo
	global_load_b32 v1, v[22:23], off
	s_waitcnt vmcnt(0)
	ds_store_b32 v15, v1
.LBB5_20:                               ;   in Loop: Header=BB5_13 Depth=1
	s_or_b32 exec_lo, exec_lo, s33
	s_waitcnt lgkmcnt(0)
	s_barrier
	buffer_gl0_inv
	s_and_saveexec_b32 s33, s2
	s_cbranch_execz .LBB5_12
; %bb.21:                               ;   in Loop: Header=BB5_13 Depth=1
	s_and_saveexec_b32 s34, s3
	s_cbranch_execz .LBB5_29
; %bb.22:                               ;   in Loop: Header=BB5_13 Depth=1
	s_and_not1_b32 vcc_lo, exec_lo, s9
	s_cbranch_vccnz .LBB5_26
; %bb.23:                               ;   in Loop: Header=BB5_13 Depth=1
	v_mov_b32_e32 v1, v20
	v_mov_b32_e32 v3, v19
	s_mov_b32 s35, 0
	.p2align	6
.LBB5_24:                               ;   Parent Loop BB5_13 Depth=1
                                        ; =>  This Inner Loop Header: Depth=2
	ds_load_b128 v[22:25], v3
	ds_load_b128 v[26:29], v1
	ds_load_b128 v[30:33], v1 offset:16
	ds_load_b128 v[34:37], v3 offset:16
	s_add_i32 s35, s35, 8
	v_add_nc_u32_e32 v1, 32, v1
	s_cmp_lg_u32 s15, s35
	v_add_nc_u32_e32 v3, 32, v3
	s_waitcnt lgkmcnt(2)
	v_fma_f32 v4, v26, v22, v4
	s_delay_alu instid0(VALU_DEP_1) | instskip(NEXT) | instid1(VALU_DEP_1)
	v_fmac_f32_e32 v4, v27, v23
	v_fmac_f32_e32 v4, v28, v24
	s_delay_alu instid0(VALU_DEP_1) | instskip(SKIP_1) | instid1(VALU_DEP_1)
	v_fmac_f32_e32 v4, v29, v25
	s_waitcnt lgkmcnt(0)
	v_fmac_f32_e32 v4, v30, v34
	s_delay_alu instid0(VALU_DEP_1) | instskip(NEXT) | instid1(VALU_DEP_1)
	v_fmac_f32_e32 v4, v31, v35
	v_fmac_f32_e32 v4, v32, v36
	s_delay_alu instid0(VALU_DEP_1)
	v_fmac_f32_e32 v4, v33, v37
	s_cbranch_scc1 .LBB5_24
; %bb.25:                               ;   in Loop: Header=BB5_13 Depth=1
	s_mov_b32 s35, s15
	s_and_not1_b32 vcc_lo, exec_lo, s22
	s_cbranch_vccz .LBB5_27
	s_branch .LBB5_29
.LBB5_26:                               ;   in Loop: Header=BB5_13 Depth=1
	s_mov_b32 s35, 0
	s_and_not1_b32 vcc_lo, exec_lo, s22
	s_cbranch_vccnz .LBB5_29
.LBB5_27:                               ;   in Loop: Header=BB5_13 Depth=1
	s_lshl_b32 s35, s35, 2
	s_delay_alu instid0(SALU_CYCLE_1)
	v_add_nc_u32_e32 v1, s35, v19
	v_add_nc_u32_e32 v3, s35, v20
	s_mov_b32 s35, s8
.LBB5_28:                               ;   Parent Loop BB5_13 Depth=1
                                        ; =>  This Inner Loop Header: Depth=2
	ds_load_b32 v22, v3
	ds_load_b32 v23, v1
	v_add_nc_u32_e32 v1, 4, v1
	v_add_nc_u32_e32 v3, 4, v3
	s_add_i32 s35, s35, -1
	s_delay_alu instid0(SALU_CYCLE_1)
	s_cmp_lg_u32 s35, 0
	s_waitcnt lgkmcnt(0)
	v_fma_f32 v4, v22, v23, v4
	s_cbranch_scc1 .LBB5_28
.LBB5_29:                               ;   in Loop: Header=BB5_13 Depth=1
	s_or_b32 exec_lo, exec_lo, s34
	s_and_saveexec_b32 s34, s4
	s_cbranch_execz .LBB5_11
; %bb.30:                               ;   in Loop: Header=BB5_13 Depth=1
	s_and_not1_b32 vcc_lo, exec_lo, s9
	s_cbranch_vccnz .LBB5_34
; %bb.31:                               ;   in Loop: Header=BB5_13 Depth=1
	v_mov_b32_e32 v1, v20
	v_mov_b32_e32 v3, v21
	s_mov_b32 s35, 0
	.p2align	6
.LBB5_32:                               ;   Parent Loop BB5_13 Depth=1
                                        ; =>  This Inner Loop Header: Depth=2
	ds_load_b128 v[22:25], v3
	ds_load_b128 v[26:29], v1
	ds_load_b128 v[30:33], v1 offset:16
	ds_load_b128 v[34:37], v3 offset:16
	v_add_nc_u32_e32 v3, 32, v3
	v_add_nc_u32_e32 v1, 32, v1
	s_add_i32 s35, s35, 8
	s_delay_alu instid0(SALU_CYCLE_1) | instskip(SKIP_2) | instid1(VALU_DEP_1)
	s_cmp_lg_u32 s15, s35
	s_waitcnt lgkmcnt(2)
	v_fma_f32 v5, v26, v22, v5
	v_fmac_f32_e32 v5, v27, v23
	s_delay_alu instid0(VALU_DEP_1) | instskip(NEXT) | instid1(VALU_DEP_1)
	v_fmac_f32_e32 v5, v28, v24
	v_fmac_f32_e32 v5, v29, v25
	s_waitcnt lgkmcnt(0)
	s_delay_alu instid0(VALU_DEP_1) | instskip(NEXT) | instid1(VALU_DEP_1)
	v_fmac_f32_e32 v5, v30, v34
	v_fmac_f32_e32 v5, v31, v35
	s_delay_alu instid0(VALU_DEP_1) | instskip(NEXT) | instid1(VALU_DEP_1)
	v_fmac_f32_e32 v5, v32, v36
	v_fmac_f32_e32 v5, v33, v37
	s_cbranch_scc1 .LBB5_32
; %bb.33:                               ;   in Loop: Header=BB5_13 Depth=1
	s_mov_b32 s35, s15
	s_and_not1_b32 vcc_lo, exec_lo, s22
	s_cbranch_vccz .LBB5_35
	s_branch .LBB5_11
.LBB5_34:                               ;   in Loop: Header=BB5_13 Depth=1
	s_mov_b32 s35, 0
	s_and_not1_b32 vcc_lo, exec_lo, s22
	s_cbranch_vccnz .LBB5_11
.LBB5_35:                               ;   in Loop: Header=BB5_13 Depth=1
	s_lshl_b32 s35, s35, 2
	s_delay_alu instid0(SALU_CYCLE_1)
	v_add_nc_u32_e32 v1, s35, v21
	v_add_nc_u32_e32 v3, s35, v20
	s_mov_b32 s35, s8
.LBB5_36:                               ;   Parent Loop BB5_13 Depth=1
                                        ; =>  This Inner Loop Header: Depth=2
	ds_load_b32 v22, v3
	ds_load_b32 v23, v1
	v_add_nc_u32_e32 v1, 4, v1
	v_add_nc_u32_e32 v3, 4, v3
	s_add_i32 s35, s35, -1
	s_delay_alu instid0(SALU_CYCLE_1)
	s_cmp_lg_u32 s35, 0
	s_waitcnt lgkmcnt(0)
	v_fma_f32 v5, v22, v23, v5
	s_cbranch_scc1 .LBB5_36
	s_branch .LBB5_11
.LBB5_37:
	s_delay_alu instid0(VALU_DEP_1) | instskip(NEXT) | instid1(SALU_CYCLE_1)
	s_and_b32 s2, s7, s2
	s_and_saveexec_b32 s3, s2
	s_cbranch_execz .LBB5_57
; %bb.38:
	s_load_b64 s[2:3], s[0:1], 0x70
	v_mad_u64_u32 v[7:8], null, s14, s10, v[6:7]
	v_cmp_neq_f32_e64 s4, s12, 0
	s_cmp_lg_u32 s16, 1
	s_mov_b32 s0, exec_lo
	s_cselect_b32 s1, -1, 0
	s_delay_alu instid0(VALU_DEP_2) | instskip(SKIP_1) | instid1(VALU_DEP_1)
	v_ashrrev_i32_e32 v8, 31, v7
	s_waitcnt lgkmcnt(0)
	v_mul_lo_u32 v1, v8, s2
	v_mul_lo_u32 v3, v7, s3
	v_mad_u64_u32 v[9:10], null, v7, s2, 0
	v_lshlrev_b64 v[6:7], 2, v[7:8]
	s_delay_alu instid0(VALU_DEP_1) | instskip(NEXT) | instid1(VALU_DEP_3)
	v_add_co_u32 v6, vcc_lo, s18, v6
	v_add3_u32 v10, v10, v3, v1
	s_delay_alu instid0(VALU_DEP_3) | instskip(NEXT) | instid1(VALU_DEP_2)
	v_add_co_ci_u32_e32 v7, vcc_lo, s19, v7, vcc_lo
	v_lshlrev_b64 v[8:9], 2, v[9:10]
	s_delay_alu instid0(VALU_DEP_1) | instskip(NEXT) | instid1(VALU_DEP_2)
	v_add_co_u32 v8, vcc_lo, s18, v8
	v_add_co_ci_u32_e32 v9, vcc_lo, s19, v9, vcc_lo
	v_cmpx_gt_i32_e64 s11, v2
	s_cbranch_execz .LBB5_50
; %bb.39:
	v_ashrrev_i32_e32 v3, 31, v2
	s_and_b32 vcc_lo, exec_lo, s4
	s_cbranch_vccz .LBB5_45
; %bb.40:
	s_and_b32 vcc_lo, exec_lo, s1
	s_mov_b32 s5, -1
	s_cbranch_vccz .LBB5_42
; %bb.41:
	v_lshlrev_b64 v[10:11], 2, v[2:3]
	v_mul_f32_e32 v12, s6, v4
	s_mov_b32 s5, 0
	s_delay_alu instid0(VALU_DEP_2) | instskip(NEXT) | instid1(VALU_DEP_3)
	v_add_co_u32 v10, vcc_lo, v8, v10
	v_add_co_ci_u32_e32 v11, vcc_lo, v9, v11, vcc_lo
	global_load_b32 v1, v[10:11], off
	s_waitcnt vmcnt(0)
	v_fmac_f32_e32 v12, s12, v1
	global_store_b32 v[10:11], v12, off
.LBB5_42:
	s_and_not1_b32 vcc_lo, exec_lo, s5
	s_cbranch_vccnz .LBB5_44
; %bb.43:
	v_mul_lo_u32 v1, v3, s2
	v_mul_lo_u32 v12, v2, s3
	v_mad_u64_u32 v[10:11], null, v2, s2, 0
	s_delay_alu instid0(VALU_DEP_1) | instskip(SKIP_1) | instid1(VALU_DEP_2)
	v_add3_u32 v11, v11, v12, v1
	v_mul_f32_e32 v12, s6, v4
	v_lshlrev_b64 v[10:11], 2, v[10:11]
	s_delay_alu instid0(VALU_DEP_1) | instskip(NEXT) | instid1(VALU_DEP_2)
	v_add_co_u32 v10, vcc_lo, v6, v10
	v_add_co_ci_u32_e32 v11, vcc_lo, v7, v11, vcc_lo
	global_load_b32 v1, v[10:11], off
	s_waitcnt vmcnt(0)
	v_fmac_f32_e32 v12, s12, v1
	global_store_b32 v[10:11], v12, off
.LBB5_44:
	s_cbranch_execz .LBB5_46
	s_branch .LBB5_50
.LBB5_45:
.LBB5_46:
	v_mul_f32_e32 v1, s6, v4
	s_and_b32 vcc_lo, exec_lo, s1
	s_mov_b32 s5, -1
	s_cbranch_vccz .LBB5_48
; %bb.47:
	v_lshlrev_b64 v[10:11], 2, v[2:3]
	s_mov_b32 s5, 0
	s_delay_alu instid0(VALU_DEP_1) | instskip(NEXT) | instid1(VALU_DEP_2)
	v_add_co_u32 v10, vcc_lo, v8, v10
	v_add_co_ci_u32_e32 v11, vcc_lo, v9, v11, vcc_lo
	global_store_b32 v[10:11], v1, off
.LBB5_48:
	s_and_not1_b32 vcc_lo, exec_lo, s5
	s_cbranch_vccnz .LBB5_50
; %bb.49:
	v_mul_lo_u32 v10, v3, s2
	v_mul_lo_u32 v11, v2, s3
	v_mad_u64_u32 v[3:4], null, v2, s2, 0
	s_delay_alu instid0(VALU_DEP_1) | instskip(NEXT) | instid1(VALU_DEP_1)
	v_add3_u32 v4, v4, v11, v10
	v_lshlrev_b64 v[2:3], 2, v[3:4]
	s_delay_alu instid0(VALU_DEP_1) | instskip(NEXT) | instid1(VALU_DEP_2)
	v_add_co_u32 v2, vcc_lo, v6, v2
	v_add_co_ci_u32_e32 v3, vcc_lo, v7, v3, vcc_lo
	global_store_b32 v[2:3], v1, off
.LBB5_50:
	s_or_b32 exec_lo, exec_lo, s0
	v_cmp_gt_i32_e32 vcc_lo, s11, v0
	s_and_b32 exec_lo, exec_lo, vcc_lo
	s_cbranch_execz .LBB5_57
; %bb.51:
	v_cndmask_b32_e64 v2, 0, 1, s1
	v_ashrrev_i32_e32 v1, 31, v0
	s_and_not1_b32 vcc_lo, exec_lo, s4
	s_delay_alu instid0(VALU_DEP_2)
	v_cmp_ne_u32_e64 s0, 1, v2
	s_cbranch_vccnz .LBB5_58
; %bb.52:
	s_delay_alu instid0(VALU_DEP_1)
	s_and_b32 vcc_lo, exec_lo, s0
	s_mov_b32 s0, -1
	s_cbranch_vccnz .LBB5_54
; %bb.53:
	v_lshlrev_b64 v[2:3], 2, v[0:1]
	v_mul_f32_e32 v10, s6, v5
	s_mov_b32 s0, 0
	s_delay_alu instid0(VALU_DEP_2) | instskip(NEXT) | instid1(VALU_DEP_3)
	v_add_co_u32 v2, vcc_lo, v8, v2
	v_add_co_ci_u32_e32 v3, vcc_lo, v9, v3, vcc_lo
	global_load_b32 v4, v[2:3], off
	s_waitcnt vmcnt(0)
	v_fmac_f32_e32 v10, s12, v4
	global_store_b32 v[2:3], v10, off
.LBB5_54:
	s_and_not1_b32 vcc_lo, exec_lo, s0
	s_cbranch_vccnz .LBB5_56
; %bb.55:
	v_mul_lo_u32 v4, v1, s2
	v_mul_lo_u32 v10, v0, s3
	v_mad_u64_u32 v[2:3], null, v0, s2, 0
	s_delay_alu instid0(VALU_DEP_1) | instskip(SKIP_1) | instid1(VALU_DEP_2)
	v_add3_u32 v3, v3, v10, v4
	v_mul_f32_e32 v10, s6, v5
	v_lshlrev_b64 v[2:3], 2, v[2:3]
	s_delay_alu instid0(VALU_DEP_1) | instskip(NEXT) | instid1(VALU_DEP_2)
	v_add_co_u32 v2, vcc_lo, v6, v2
	v_add_co_ci_u32_e32 v3, vcc_lo, v7, v3, vcc_lo
	global_load_b32 v4, v[2:3], off
	s_waitcnt vmcnt(0)
	v_fmac_f32_e32 v10, s12, v4
	global_store_b32 v[2:3], v10, off
.LBB5_56:
	s_cbranch_execz .LBB5_59
.LBB5_57:
	s_nop 0
	s_sendmsg sendmsg(MSG_DEALLOC_VGPRS)
	s_endpgm
.LBB5_58:
.LBB5_59:
	v_mul_f32_e32 v2, s6, v5
	s_and_not1_b32 vcc_lo, exec_lo, s1
	s_mov_b32 s0, -1
	s_cbranch_vccnz .LBB5_61
; %bb.60:
	v_lshlrev_b64 v[3:4], 2, v[0:1]
	s_mov_b32 s0, 0
	s_delay_alu instid0(VALU_DEP_1) | instskip(NEXT) | instid1(VALU_DEP_2)
	v_add_co_u32 v3, vcc_lo, v8, v3
	v_add_co_ci_u32_e32 v4, vcc_lo, v9, v4, vcc_lo
	global_store_b32 v[3:4], v2, off
.LBB5_61:
	s_and_not1_b32 vcc_lo, exec_lo, s0
	s_cbranch_vccnz .LBB5_57
; %bb.62:
	v_mul_lo_u32 v1, v1, s2
	v_mul_lo_u32 v5, v0, s3
	v_mad_u64_u32 v[3:4], null, v0, s2, 0
	s_delay_alu instid0(VALU_DEP_1) | instskip(NEXT) | instid1(VALU_DEP_1)
	v_add3_u32 v4, v4, v5, v1
	v_lshlrev_b64 v[0:1], 2, v[3:4]
	s_delay_alu instid0(VALU_DEP_1) | instskip(NEXT) | instid1(VALU_DEP_2)
	v_add_co_u32 v0, vcc_lo, v6, v0
	v_add_co_ci_u32_e32 v1, vcc_lo, v7, v1, vcc_lo
	global_store_b32 v[0:1], v2, off
	s_nop 0
	s_sendmsg sendmsg(MSG_DEALLOC_VGPRS)
	s_endpgm
	.section	.rodata,"a",@progbits
	.p2align	6, 0x0
	.amdhsa_kernel _ZN9rocsparseL31bsrmm_large_blockdim_kernel_extILj4ELj16ELj2EliffffEEvb20rocsparse_direction_T3_S2_llNS_24const_host_device_scalarIT7_EEPKT2_PKS2_PKT4_S2_PKT5_llS5_PT6_ll16rocsparse_order_21rocsparse_index_base_b
		.amdhsa_group_segment_fixed_size 576
		.amdhsa_private_segment_fixed_size 0
		.amdhsa_kernarg_size 140
		.amdhsa_user_sgpr_count 14
		.amdhsa_user_sgpr_dispatch_ptr 0
		.amdhsa_user_sgpr_queue_ptr 0
		.amdhsa_user_sgpr_kernarg_segment_ptr 1
		.amdhsa_user_sgpr_dispatch_id 0
		.amdhsa_user_sgpr_private_segment_size 0
		.amdhsa_wavefront_size32 1
		.amdhsa_uses_dynamic_stack 0
		.amdhsa_enable_private_segment 0
		.amdhsa_system_sgpr_workgroup_id_x 1
		.amdhsa_system_sgpr_workgroup_id_y 1
		.amdhsa_system_sgpr_workgroup_id_z 0
		.amdhsa_system_sgpr_workgroup_info 0
		.amdhsa_system_vgpr_workitem_id 1
		.amdhsa_next_free_vgpr 38
		.amdhsa_next_free_sgpr 37
		.amdhsa_reserve_vcc 1
		.amdhsa_float_round_mode_32 0
		.amdhsa_float_round_mode_16_64 0
		.amdhsa_float_denorm_mode_32 3
		.amdhsa_float_denorm_mode_16_64 3
		.amdhsa_dx10_clamp 1
		.amdhsa_ieee_mode 1
		.amdhsa_fp16_overflow 0
		.amdhsa_workgroup_processor_mode 1
		.amdhsa_memory_ordered 1
		.amdhsa_forward_progress 0
		.amdhsa_shared_vgpr_count 0
		.amdhsa_exception_fp_ieee_invalid_op 0
		.amdhsa_exception_fp_denorm_src 0
		.amdhsa_exception_fp_ieee_div_zero 0
		.amdhsa_exception_fp_ieee_overflow 0
		.amdhsa_exception_fp_ieee_underflow 0
		.amdhsa_exception_fp_ieee_inexact 0
		.amdhsa_exception_int_div_zero 0
	.end_amdhsa_kernel
	.section	.text._ZN9rocsparseL31bsrmm_large_blockdim_kernel_extILj4ELj16ELj2EliffffEEvb20rocsparse_direction_T3_S2_llNS_24const_host_device_scalarIT7_EEPKT2_PKS2_PKT4_S2_PKT5_llS5_PT6_ll16rocsparse_order_21rocsparse_index_base_b,"axG",@progbits,_ZN9rocsparseL31bsrmm_large_blockdim_kernel_extILj4ELj16ELj2EliffffEEvb20rocsparse_direction_T3_S2_llNS_24const_host_device_scalarIT7_EEPKT2_PKS2_PKT4_S2_PKT5_llS5_PT6_ll16rocsparse_order_21rocsparse_index_base_b,comdat
.Lfunc_end5:
	.size	_ZN9rocsparseL31bsrmm_large_blockdim_kernel_extILj4ELj16ELj2EliffffEEvb20rocsparse_direction_T3_S2_llNS_24const_host_device_scalarIT7_EEPKT2_PKS2_PKT4_S2_PKT5_llS5_PT6_ll16rocsparse_order_21rocsparse_index_base_b, .Lfunc_end5-_ZN9rocsparseL31bsrmm_large_blockdim_kernel_extILj4ELj16ELj2EliffffEEvb20rocsparse_direction_T3_S2_llNS_24const_host_device_scalarIT7_EEPKT2_PKS2_PKT4_S2_PKT5_llS5_PT6_ll16rocsparse_order_21rocsparse_index_base_b
                                        ; -- End function
	.section	.AMDGPU.csdata,"",@progbits
; Kernel info:
; codeLenInByte = 2508
; NumSgprs: 39
; NumVgprs: 38
; ScratchSize: 0
; MemoryBound: 0
; FloatMode: 240
; IeeeMode: 1
; LDSByteSize: 576 bytes/workgroup (compile time only)
; SGPRBlocks: 4
; VGPRBlocks: 4
; NumSGPRsForWavesPerEU: 39
; NumVGPRsForWavesPerEU: 38
; Occupancy: 16
; WaveLimiterHint : 1
; COMPUTE_PGM_RSRC2:SCRATCH_EN: 0
; COMPUTE_PGM_RSRC2:USER_SGPR: 14
; COMPUTE_PGM_RSRC2:TRAP_HANDLER: 0
; COMPUTE_PGM_RSRC2:TGID_X_EN: 1
; COMPUTE_PGM_RSRC2:TGID_Y_EN: 1
; COMPUTE_PGM_RSRC2:TGID_Z_EN: 0
; COMPUTE_PGM_RSRC2:TIDIG_COMP_CNT: 1
	.section	.text._ZN9rocsparseL31bsrmm_large_blockdim_kernel_extILj16ELj16ELj2EliffffEEvb20rocsparse_direction_T3_S2_llNS_24const_host_device_scalarIT7_EEPKT2_PKS2_PKT4_S2_PKT5_llS5_PT6_ll16rocsparse_order_21rocsparse_index_base_b,"axG",@progbits,_ZN9rocsparseL31bsrmm_large_blockdim_kernel_extILj16ELj16ELj2EliffffEEvb20rocsparse_direction_T3_S2_llNS_24const_host_device_scalarIT7_EEPKT2_PKS2_PKT4_S2_PKT5_llS5_PT6_ll16rocsparse_order_21rocsparse_index_base_b,comdat
	.globl	_ZN9rocsparseL31bsrmm_large_blockdim_kernel_extILj16ELj16ELj2EliffffEEvb20rocsparse_direction_T3_S2_llNS_24const_host_device_scalarIT7_EEPKT2_PKS2_PKT4_S2_PKT5_llS5_PT6_ll16rocsparse_order_21rocsparse_index_base_b ; -- Begin function _ZN9rocsparseL31bsrmm_large_blockdim_kernel_extILj16ELj16ELj2EliffffEEvb20rocsparse_direction_T3_S2_llNS_24const_host_device_scalarIT7_EEPKT2_PKS2_PKT4_S2_PKT5_llS5_PT6_ll16rocsparse_order_21rocsparse_index_base_b
	.p2align	8
	.type	_ZN9rocsparseL31bsrmm_large_blockdim_kernel_extILj16ELj16ELj2EliffffEEvb20rocsparse_direction_T3_S2_llNS_24const_host_device_scalarIT7_EEPKT2_PKS2_PKT4_S2_PKT5_llS5_PT6_ll16rocsparse_order_21rocsparse_index_base_b,@function
_ZN9rocsparseL31bsrmm_large_blockdim_kernel_extILj16ELj16ELj2EliffffEEvb20rocsparse_direction_T3_S2_llNS_24const_host_device_scalarIT7_EEPKT2_PKS2_PKT4_S2_PKT5_llS5_PT6_ll16rocsparse_order_21rocsparse_index_base_b: ; @_ZN9rocsparseL31bsrmm_large_blockdim_kernel_extILj16ELj16ELj2EliffffEEvb20rocsparse_direction_T3_S2_llNS_24const_host_device_scalarIT7_EEPKT2_PKS2_PKT4_S2_PKT5_llS5_PT6_ll16rocsparse_order_21rocsparse_index_base_b
; %bb.0:
	s_clause 0x2
	s_load_b128 s[16:19], s[0:1], 0x80
	s_load_b64 s[6:7], s[0:1], 0x20
	s_load_b64 s[12:13], s[0:1], 0x60
	s_mov_b32 s2, s15
	s_waitcnt lgkmcnt(0)
	s_bitcmp1_b32 s18, 0
	s_cselect_b32 s3, -1, 0
	s_delay_alu instid0(SALU_CYCLE_1)
	s_and_b32 vcc_lo, exec_lo, s3
	s_xor_b32 s3, s3, -1
	s_cbranch_vccnz .LBB6_2
; %bb.1:
	s_load_b32 s6, s[6:7], 0x0
.LBB6_2:
	s_and_not1_b32 vcc_lo, exec_lo, s3
	s_cbranch_vccnz .LBB6_4
; %bb.3:
	s_load_b32 s12, s[12:13], 0x0
.LBB6_4:
	s_waitcnt lgkmcnt(0)
	v_cmp_eq_f32_e64 s3, s6, 0
	v_cmp_eq_f32_e64 s4, s12, 1.0
	s_delay_alu instid0(VALU_DEP_1) | instskip(NEXT) | instid1(SALU_CYCLE_1)
	s_and_b32 s3, s3, s4
	s_and_b32 vcc_lo, exec_lo, s3
	s_cbranch_vccnz .LBB6_57
; %bb.5:
	s_clause 0x1
	s_load_b128 s[8:11], s[0:1], 0x0
	s_load_b64 s[4:5], s[0:1], 0x28
	s_mov_b64 s[28:29], 0
	s_mov_b64 s[30:31], 0
	s_waitcnt lgkmcnt(0)
	s_cmp_lt_i32 s14, s10
	s_cselect_b32 s7, -1, 0
	s_cmp_ge_i32 s14, s10
	s_cbranch_scc1 .LBB6_7
; %bb.6:
	s_ashr_i32 s15, s14, 31
	s_delay_alu instid0(SALU_CYCLE_1) | instskip(NEXT) | instid1(SALU_CYCLE_1)
	s_lshl_b64 s[18:19], s[14:15], 3
	s_add_u32 s18, s4, s18
	s_addc_u32 s19, s5, s19
	s_load_b64 s[18:19], s[18:19], 0x0
	s_waitcnt lgkmcnt(0)
	s_sub_u32 s30, s18, s17
	s_subb_u32 s31, s19, 0
.LBB6_7:
	s_and_not1_b32 vcc_lo, exec_lo, s7
	s_cbranch_vccnz .LBB6_9
; %bb.8:
	s_ashr_i32 s15, s14, 31
	s_delay_alu instid0(SALU_CYCLE_1) | instskip(NEXT) | instid1(SALU_CYCLE_1)
	s_lshl_b64 s[18:19], s[14:15], 3
	s_add_u32 s4, s4, s18
	s_addc_u32 s5, s5, s19
	s_load_b64 s[4:5], s[4:5], 0x8
	s_waitcnt lgkmcnt(0)
	s_sub_u32 s28, s4, s17
	s_subb_u32 s29, s5, 0
.LBB6_9:
	s_clause 0x1
	s_load_b32 s10, s[0:1], 0x40
	s_load_b64 s[18:19], s[0:1], 0x68
	v_bfe_u32 v7, v0, 10, 10
	s_mov_b32 s34, 0
	s_delay_alu instid0(SALU_CYCLE_1) | instskip(SKIP_1) | instid1(VALU_DEP_2)
	s_mov_b32 s35, s34
	v_and_b32_e32 v6, 0x3ff, v0
	v_lshl_add_u32 v2, s2, 5, v7
	v_cmp_ge_i64_e64 s2, s[30:31], s[28:29]
	v_dual_mov_b32 v4, s34 :: v_dual_mov_b32 v5, s35
	s_delay_alu instid0(VALU_DEP_3) | instskip(SKIP_1) | instid1(VALU_DEP_4)
	v_add_nc_u32_e32 v0, 16, v2
	v_cmp_gt_i32_e64 s3, s11, v2
	s_and_b32 vcc_lo, exec_lo, s2
	s_delay_alu instid0(VALU_DEP_2)
	v_cmp_gt_i32_e64 s4, s11, v0
	s_waitcnt lgkmcnt(0)
	v_cmp_gt_i32_e64 s2, s10, v6
	s_cbranch_vccnz .LBB6_37
; %bb.10:
	s_clause 0x1
	s_load_b128 s[20:23], s[0:1], 0x30
	s_load_b128 s[24:27], s[0:1], 0x48
	v_mul_lo_u32 v4, v7, s10
	v_dual_mov_b32 v5, 0 :: v_dual_lshlrev_b32 v10, 4, v7
	v_cmp_gt_i32_e32 vcc_lo, s10, v7
	v_lshlrev_b32_e32 v1, 2, v6
	v_ashrrev_i32_e32 v3, 31, v2
	v_lshl_add_u32 v13, v6, 4, v7
	v_lshlrev_b64 v[8:9], 2, v[4:5]
	v_mul_lo_u32 v4, v6, s10
	s_and_b32 s13, s2, vcc_lo
	s_bitcmp1_b32 s8, 0
	v_lshl_add_u32 v15, v13, 2, 0x800
	s_cselect_b32 s5, -1, 0
	s_cmp_eq_u32 s9, 0
	s_delay_alu instid0(VALU_DEP_2) | instskip(SKIP_4) | instid1(VALU_DEP_3)
	v_lshlrev_b64 v[4:5], 2, v[4:5]
	s_waitcnt lgkmcnt(0)
	v_add_co_u32 v8, vcc_lo, s22, v8
	v_add_co_ci_u32_e32 v9, vcc_lo, s23, v9, vcc_lo
	v_mul_lo_u32 v18, v2, s27
	v_add_co_u32 v14, vcc_lo, v8, v1
	v_ashrrev_i32_e32 v1, 31, v0
	s_delay_alu instid0(VALU_DEP_4)
	v_add_co_ci_u32_e32 v17, vcc_lo, 0, v9, vcc_lo
	v_mul_lo_u32 v19, v3, s26
	v_mad_u64_u32 v[8:9], null, v2, s26, 0
	v_mul_lo_u32 v20, v0, s27
	v_mul_lo_u32 v21, v1, s26
	v_mad_u64_u32 v[11:12], null, v0, s26, 0
	v_add_co_u32 v4, vcc_lo, s22, v4
	v_lshlrev_b32_e32 v16, 2, v7
	v_add_co_ci_u32_e32 v5, vcc_lo, s23, v5, vcc_lo
	v_add3_u32 v9, v9, v18, v19
	v_add3_u32 v12, v12, v20, v21
	s_delay_alu instid0(VALU_DEP_4) | instskip(NEXT) | instid1(VALU_DEP_4)
	v_add_co_u32 v4, vcc_lo, v4, v16
	v_add_co_ci_u32_e32 v5, vcc_lo, 0, v5, vcc_lo
	v_lshlrev_b32_e32 v19, 6, v7
	s_cselect_b32 vcc_lo, -1, 0
	s_add_i32 s9, s10, -1
	s_and_b32 s8, s10, 7
	s_cmp_gt_u32 s9, 6
	v_add_lshl_u32 v16, v10, v6, 2
	v_dual_cndmask_b32 v17, v17, v5 :: v_dual_cndmask_b32 v18, v14, v4
	v_mov_b32_e32 v4, s34
	v_lshlrev_b64 v[7:8], 2, v[8:9]
	v_lshlrev_b64 v[9:10], 2, v[2:3]
	;; [unrolled: 1-line block ×4, first 2 shown]
	s_cselect_b32 s9, -1, 0
	s_and_b32 s15, s10, -8
	v_lshl_add_u32 v20, v6, 6, 0x800
	v_add_nc_u32_e32 v21, 0x400, v19
	v_mov_b32_e32 v5, s35
	s_cmp_lg_u32 s8, 0
	s_mul_i32 s23, s10, s10
	s_cselect_b32 s22, -1, 0
	s_branch .LBB6_13
.LBB6_11:                               ;   in Loop: Header=BB6_13 Depth=1
	s_or_b32 exec_lo, exec_lo, s34
.LBB6_12:                               ;   in Loop: Header=BB6_13 Depth=1
	s_delay_alu instid0(SALU_CYCLE_1) | instskip(SKIP_2) | instid1(SALU_CYCLE_1)
	s_or_b32 exec_lo, exec_lo, s33
	s_add_u32 s30, s30, 1
	s_addc_u32 s31, s31, 0
	v_cmp_ge_i64_e64 s33, s[30:31], s[28:29]
	s_barrier
	buffer_gl0_inv
	s_and_b32 vcc_lo, exec_lo, s33
	s_cbranch_vccnz .LBB6_37
.LBB6_13:                               ; =>This Loop Header: Depth=1
                                        ;     Child Loop BB6_24 Depth 2
                                        ;     Child Loop BB6_28 Depth 2
	;; [unrolled: 1-line block ×4, first 2 shown]
	s_and_saveexec_b32 s33, s2
	s_cbranch_execz .LBB6_18
; %bb.14:                               ;   in Loop: Header=BB6_13 Depth=1
	s_lshl_b64 s[34:35], s[30:31], 2
	s_delay_alu instid0(SALU_CYCLE_1) | instskip(SKIP_4) | instid1(SALU_CYCLE_1)
	s_add_u32 s34, s20, s34
	s_addc_u32 s35, s21, s35
	s_load_b32 s34, s[34:35], 0x0
	s_waitcnt lgkmcnt(0)
	s_sub_i32 s34, s34, s17
	v_mad_u64_u32 v[22:23], null, s34, s10, v[6:7]
	s_delay_alu instid0(VALU_DEP_1) | instskip(SKIP_2) | instid1(VALU_DEP_3)
	v_ashrrev_i32_e32 v23, 31, v22
	v_mul_lo_u32 v1, v22, s27
	v_mad_u64_u32 v[24:25], null, v22, s26, 0
	v_mul_lo_u32 v3, v23, s26
	v_lshlrev_b64 v[22:23], 2, v[22:23]
	s_delay_alu instid0(VALU_DEP_2) | instskip(NEXT) | instid1(VALU_DEP_1)
	v_add3_u32 v25, v25, v1, v3
	v_lshlrev_b64 v[24:25], 2, v[24:25]
	s_delay_alu instid0(VALU_DEP_1) | instskip(NEXT) | instid1(VALU_DEP_2)
	v_add_co_u32 v1, vcc_lo, s24, v24
	v_add_co_ci_u32_e32 v3, vcc_lo, s25, v25, vcc_lo
	v_add_co_u32 v22, vcc_lo, s24, v22
	v_add_co_ci_u32_e32 v23, vcc_lo, s25, v23, vcc_lo
	s_and_saveexec_b32 s34, s3
	s_cbranch_execz .LBB6_16
; %bb.15:                               ;   in Loop: Header=BB6_13 Depth=1
	s_delay_alu instid0(VALU_DEP_2) | instskip(NEXT) | instid1(VALU_DEP_2)
	v_add_co_u32 v24, vcc_lo, v22, v7
	v_add_co_ci_u32_e32 v25, vcc_lo, v23, v8, vcc_lo
	v_add_co_u32 v26, vcc_lo, v1, v9
	v_add_co_ci_u32_e32 v27, vcc_lo, v3, v10, vcc_lo
	s_delay_alu instid0(VALU_DEP_2) | instskip(NEXT) | instid1(VALU_DEP_2)
	v_cndmask_b32_e64 v24, v26, v24, s5
	v_cndmask_b32_e64 v25, v27, v25, s5
	global_load_b32 v24, v[24:25], off
	s_waitcnt vmcnt(0)
	ds_store_b32 v16, v24
.LBB6_16:                               ;   in Loop: Header=BB6_13 Depth=1
	s_or_b32 exec_lo, exec_lo, s34
	s_delay_alu instid0(SALU_CYCLE_1)
	s_and_b32 exec_lo, exec_lo, s4
	s_cbranch_execz .LBB6_18
; %bb.17:                               ;   in Loop: Header=BB6_13 Depth=1
	v_add_co_u32 v22, vcc_lo, v22, v11
	v_add_co_ci_u32_e32 v23, vcc_lo, v23, v12, vcc_lo
	v_add_co_u32 v1, vcc_lo, v1, v13
	v_add_co_ci_u32_e32 v3, vcc_lo, v3, v14, vcc_lo
	s_delay_alu instid0(VALU_DEP_2) | instskip(NEXT) | instid1(VALU_DEP_2)
	v_cndmask_b32_e64 v22, v1, v22, s5
	v_cndmask_b32_e64 v23, v3, v23, s5
	global_load_b32 v1, v[22:23], off
	s_waitcnt vmcnt(0)
	ds_store_b32 v16, v1 offset:1024
.LBB6_18:                               ;   in Loop: Header=BB6_13 Depth=1
	s_or_b32 exec_lo, exec_lo, s33
	s_and_saveexec_b32 s33, s13
	s_cbranch_execz .LBB6_20
; %bb.19:                               ;   in Loop: Header=BB6_13 Depth=1
	s_mul_i32 s35, s31, s23
	s_mul_hi_u32 s36, s30, s23
	s_mul_i32 s34, s30, s23
	s_add_i32 s35, s36, s35
	s_delay_alu instid0(SALU_CYCLE_1) | instskip(NEXT) | instid1(SALU_CYCLE_1)
	s_lshl_b64 s[34:35], s[34:35], 2
	v_add_co_u32 v22, vcc_lo, v18, s34
	v_add_co_ci_u32_e32 v23, vcc_lo, s35, v17, vcc_lo
	global_load_b32 v1, v[22:23], off
	s_waitcnt vmcnt(0)
	ds_store_b32 v15, v1
.LBB6_20:                               ;   in Loop: Header=BB6_13 Depth=1
	s_or_b32 exec_lo, exec_lo, s33
	s_waitcnt lgkmcnt(0)
	s_barrier
	buffer_gl0_inv
	s_and_saveexec_b32 s33, s2
	s_cbranch_execz .LBB6_12
; %bb.21:                               ;   in Loop: Header=BB6_13 Depth=1
	s_and_saveexec_b32 s34, s3
	s_cbranch_execz .LBB6_29
; %bb.22:                               ;   in Loop: Header=BB6_13 Depth=1
	s_and_not1_b32 vcc_lo, exec_lo, s9
	s_cbranch_vccnz .LBB6_26
; %bb.23:                               ;   in Loop: Header=BB6_13 Depth=1
	v_mov_b32_e32 v1, v20
	v_mov_b32_e32 v3, v19
	s_mov_b32 s35, 0
	.p2align	6
.LBB6_24:                               ;   Parent Loop BB6_13 Depth=1
                                        ; =>  This Inner Loop Header: Depth=2
	ds_load_b128 v[22:25], v3
	ds_load_b128 v[26:29], v1
	ds_load_b128 v[30:33], v1 offset:16
	ds_load_b128 v[34:37], v3 offset:16
	s_add_i32 s35, s35, 8
	v_add_nc_u32_e32 v1, 32, v1
	s_cmp_lg_u32 s15, s35
	v_add_nc_u32_e32 v3, 32, v3
	s_waitcnt lgkmcnt(2)
	v_fma_f32 v4, v26, v22, v4
	s_delay_alu instid0(VALU_DEP_1) | instskip(NEXT) | instid1(VALU_DEP_1)
	v_fmac_f32_e32 v4, v27, v23
	v_fmac_f32_e32 v4, v28, v24
	s_delay_alu instid0(VALU_DEP_1) | instskip(SKIP_1) | instid1(VALU_DEP_1)
	v_fmac_f32_e32 v4, v29, v25
	s_waitcnt lgkmcnt(0)
	v_fmac_f32_e32 v4, v30, v34
	s_delay_alu instid0(VALU_DEP_1) | instskip(NEXT) | instid1(VALU_DEP_1)
	v_fmac_f32_e32 v4, v31, v35
	v_fmac_f32_e32 v4, v32, v36
	s_delay_alu instid0(VALU_DEP_1)
	v_fmac_f32_e32 v4, v33, v37
	s_cbranch_scc1 .LBB6_24
; %bb.25:                               ;   in Loop: Header=BB6_13 Depth=1
	s_mov_b32 s35, s15
	s_and_not1_b32 vcc_lo, exec_lo, s22
	s_cbranch_vccz .LBB6_27
	s_branch .LBB6_29
.LBB6_26:                               ;   in Loop: Header=BB6_13 Depth=1
	s_mov_b32 s35, 0
	s_and_not1_b32 vcc_lo, exec_lo, s22
	s_cbranch_vccnz .LBB6_29
.LBB6_27:                               ;   in Loop: Header=BB6_13 Depth=1
	s_lshl_b32 s35, s35, 2
	s_delay_alu instid0(SALU_CYCLE_1)
	v_add_nc_u32_e32 v1, s35, v19
	v_add_nc_u32_e32 v3, s35, v20
	s_mov_b32 s35, s8
.LBB6_28:                               ;   Parent Loop BB6_13 Depth=1
                                        ; =>  This Inner Loop Header: Depth=2
	ds_load_b32 v22, v3
	ds_load_b32 v23, v1
	v_add_nc_u32_e32 v1, 4, v1
	v_add_nc_u32_e32 v3, 4, v3
	s_add_i32 s35, s35, -1
	s_delay_alu instid0(SALU_CYCLE_1)
	s_cmp_lg_u32 s35, 0
	s_waitcnt lgkmcnt(0)
	v_fma_f32 v4, v22, v23, v4
	s_cbranch_scc1 .LBB6_28
.LBB6_29:                               ;   in Loop: Header=BB6_13 Depth=1
	s_or_b32 exec_lo, exec_lo, s34
	s_and_saveexec_b32 s34, s4
	s_cbranch_execz .LBB6_11
; %bb.30:                               ;   in Loop: Header=BB6_13 Depth=1
	s_and_not1_b32 vcc_lo, exec_lo, s9
	s_cbranch_vccnz .LBB6_34
; %bb.31:                               ;   in Loop: Header=BB6_13 Depth=1
	v_mov_b32_e32 v1, v20
	v_mov_b32_e32 v3, v21
	s_mov_b32 s35, 0
	.p2align	6
.LBB6_32:                               ;   Parent Loop BB6_13 Depth=1
                                        ; =>  This Inner Loop Header: Depth=2
	ds_load_b128 v[22:25], v3
	ds_load_b128 v[26:29], v1
	ds_load_b128 v[30:33], v1 offset:16
	ds_load_b128 v[34:37], v3 offset:16
	v_add_nc_u32_e32 v3, 32, v3
	v_add_nc_u32_e32 v1, 32, v1
	s_add_i32 s35, s35, 8
	s_delay_alu instid0(SALU_CYCLE_1) | instskip(SKIP_2) | instid1(VALU_DEP_1)
	s_cmp_lg_u32 s15, s35
	s_waitcnt lgkmcnt(2)
	v_fma_f32 v5, v26, v22, v5
	v_fmac_f32_e32 v5, v27, v23
	s_delay_alu instid0(VALU_DEP_1) | instskip(NEXT) | instid1(VALU_DEP_1)
	v_fmac_f32_e32 v5, v28, v24
	v_fmac_f32_e32 v5, v29, v25
	s_waitcnt lgkmcnt(0)
	s_delay_alu instid0(VALU_DEP_1) | instskip(NEXT) | instid1(VALU_DEP_1)
	v_fmac_f32_e32 v5, v30, v34
	v_fmac_f32_e32 v5, v31, v35
	s_delay_alu instid0(VALU_DEP_1) | instskip(NEXT) | instid1(VALU_DEP_1)
	v_fmac_f32_e32 v5, v32, v36
	v_fmac_f32_e32 v5, v33, v37
	s_cbranch_scc1 .LBB6_32
; %bb.33:                               ;   in Loop: Header=BB6_13 Depth=1
	s_mov_b32 s35, s15
	s_and_not1_b32 vcc_lo, exec_lo, s22
	s_cbranch_vccz .LBB6_35
	s_branch .LBB6_11
.LBB6_34:                               ;   in Loop: Header=BB6_13 Depth=1
	s_mov_b32 s35, 0
	s_and_not1_b32 vcc_lo, exec_lo, s22
	s_cbranch_vccnz .LBB6_11
.LBB6_35:                               ;   in Loop: Header=BB6_13 Depth=1
	s_lshl_b32 s35, s35, 2
	s_delay_alu instid0(SALU_CYCLE_1)
	v_add_nc_u32_e32 v1, s35, v21
	v_add_nc_u32_e32 v3, s35, v20
	s_mov_b32 s35, s8
.LBB6_36:                               ;   Parent Loop BB6_13 Depth=1
                                        ; =>  This Inner Loop Header: Depth=2
	ds_load_b32 v22, v3
	ds_load_b32 v23, v1
	v_add_nc_u32_e32 v1, 4, v1
	v_add_nc_u32_e32 v3, 4, v3
	s_add_i32 s35, s35, -1
	s_delay_alu instid0(SALU_CYCLE_1)
	s_cmp_lg_u32 s35, 0
	s_waitcnt lgkmcnt(0)
	v_fma_f32 v5, v22, v23, v5
	s_cbranch_scc1 .LBB6_36
	s_branch .LBB6_11
.LBB6_37:
	s_delay_alu instid0(VALU_DEP_1) | instskip(NEXT) | instid1(SALU_CYCLE_1)
	s_and_b32 s2, s7, s2
	s_and_saveexec_b32 s3, s2
	s_cbranch_execz .LBB6_57
; %bb.38:
	s_load_b64 s[2:3], s[0:1], 0x70
	v_mad_u64_u32 v[7:8], null, s14, s10, v[6:7]
	v_cmp_neq_f32_e64 s4, s12, 0
	s_cmp_lg_u32 s16, 1
	s_mov_b32 s0, exec_lo
	s_cselect_b32 s1, -1, 0
	s_delay_alu instid0(VALU_DEP_2) | instskip(SKIP_1) | instid1(VALU_DEP_1)
	v_ashrrev_i32_e32 v8, 31, v7
	s_waitcnt lgkmcnt(0)
	v_mul_lo_u32 v1, v8, s2
	v_mul_lo_u32 v3, v7, s3
	v_mad_u64_u32 v[9:10], null, v7, s2, 0
	v_lshlrev_b64 v[6:7], 2, v[7:8]
	s_delay_alu instid0(VALU_DEP_1) | instskip(NEXT) | instid1(VALU_DEP_3)
	v_add_co_u32 v6, vcc_lo, s18, v6
	v_add3_u32 v10, v10, v3, v1
	s_delay_alu instid0(VALU_DEP_3) | instskip(NEXT) | instid1(VALU_DEP_2)
	v_add_co_ci_u32_e32 v7, vcc_lo, s19, v7, vcc_lo
	v_lshlrev_b64 v[8:9], 2, v[9:10]
	s_delay_alu instid0(VALU_DEP_1) | instskip(NEXT) | instid1(VALU_DEP_2)
	v_add_co_u32 v8, vcc_lo, s18, v8
	v_add_co_ci_u32_e32 v9, vcc_lo, s19, v9, vcc_lo
	v_cmpx_gt_i32_e64 s11, v2
	s_cbranch_execz .LBB6_50
; %bb.39:
	v_ashrrev_i32_e32 v3, 31, v2
	s_and_b32 vcc_lo, exec_lo, s4
	s_cbranch_vccz .LBB6_45
; %bb.40:
	s_and_b32 vcc_lo, exec_lo, s1
	s_mov_b32 s5, -1
	s_cbranch_vccz .LBB6_42
; %bb.41:
	v_lshlrev_b64 v[10:11], 2, v[2:3]
	v_mul_f32_e32 v12, s6, v4
	s_mov_b32 s5, 0
	s_delay_alu instid0(VALU_DEP_2) | instskip(NEXT) | instid1(VALU_DEP_3)
	v_add_co_u32 v10, vcc_lo, v8, v10
	v_add_co_ci_u32_e32 v11, vcc_lo, v9, v11, vcc_lo
	global_load_b32 v1, v[10:11], off
	s_waitcnt vmcnt(0)
	v_fmac_f32_e32 v12, s12, v1
	global_store_b32 v[10:11], v12, off
.LBB6_42:
	s_and_not1_b32 vcc_lo, exec_lo, s5
	s_cbranch_vccnz .LBB6_44
; %bb.43:
	v_mul_lo_u32 v1, v3, s2
	v_mul_lo_u32 v12, v2, s3
	v_mad_u64_u32 v[10:11], null, v2, s2, 0
	s_delay_alu instid0(VALU_DEP_1) | instskip(SKIP_1) | instid1(VALU_DEP_2)
	v_add3_u32 v11, v11, v12, v1
	v_mul_f32_e32 v12, s6, v4
	v_lshlrev_b64 v[10:11], 2, v[10:11]
	s_delay_alu instid0(VALU_DEP_1) | instskip(NEXT) | instid1(VALU_DEP_2)
	v_add_co_u32 v10, vcc_lo, v6, v10
	v_add_co_ci_u32_e32 v11, vcc_lo, v7, v11, vcc_lo
	global_load_b32 v1, v[10:11], off
	s_waitcnt vmcnt(0)
	v_fmac_f32_e32 v12, s12, v1
	global_store_b32 v[10:11], v12, off
.LBB6_44:
	s_cbranch_execz .LBB6_46
	s_branch .LBB6_50
.LBB6_45:
.LBB6_46:
	v_mul_f32_e32 v1, s6, v4
	s_and_b32 vcc_lo, exec_lo, s1
	s_mov_b32 s5, -1
	s_cbranch_vccz .LBB6_48
; %bb.47:
	v_lshlrev_b64 v[10:11], 2, v[2:3]
	s_mov_b32 s5, 0
	s_delay_alu instid0(VALU_DEP_1) | instskip(NEXT) | instid1(VALU_DEP_2)
	v_add_co_u32 v10, vcc_lo, v8, v10
	v_add_co_ci_u32_e32 v11, vcc_lo, v9, v11, vcc_lo
	global_store_b32 v[10:11], v1, off
.LBB6_48:
	s_and_not1_b32 vcc_lo, exec_lo, s5
	s_cbranch_vccnz .LBB6_50
; %bb.49:
	v_mul_lo_u32 v10, v3, s2
	v_mul_lo_u32 v11, v2, s3
	v_mad_u64_u32 v[3:4], null, v2, s2, 0
	s_delay_alu instid0(VALU_DEP_1) | instskip(NEXT) | instid1(VALU_DEP_1)
	v_add3_u32 v4, v4, v11, v10
	v_lshlrev_b64 v[2:3], 2, v[3:4]
	s_delay_alu instid0(VALU_DEP_1) | instskip(NEXT) | instid1(VALU_DEP_2)
	v_add_co_u32 v2, vcc_lo, v6, v2
	v_add_co_ci_u32_e32 v3, vcc_lo, v7, v3, vcc_lo
	global_store_b32 v[2:3], v1, off
.LBB6_50:
	s_or_b32 exec_lo, exec_lo, s0
	v_cmp_gt_i32_e32 vcc_lo, s11, v0
	s_and_b32 exec_lo, exec_lo, vcc_lo
	s_cbranch_execz .LBB6_57
; %bb.51:
	v_cndmask_b32_e64 v2, 0, 1, s1
	v_ashrrev_i32_e32 v1, 31, v0
	s_and_not1_b32 vcc_lo, exec_lo, s4
	s_delay_alu instid0(VALU_DEP_2)
	v_cmp_ne_u32_e64 s0, 1, v2
	s_cbranch_vccnz .LBB6_58
; %bb.52:
	s_delay_alu instid0(VALU_DEP_1)
	s_and_b32 vcc_lo, exec_lo, s0
	s_mov_b32 s0, -1
	s_cbranch_vccnz .LBB6_54
; %bb.53:
	v_lshlrev_b64 v[2:3], 2, v[0:1]
	v_mul_f32_e32 v10, s6, v5
	s_mov_b32 s0, 0
	s_delay_alu instid0(VALU_DEP_2) | instskip(NEXT) | instid1(VALU_DEP_3)
	v_add_co_u32 v2, vcc_lo, v8, v2
	v_add_co_ci_u32_e32 v3, vcc_lo, v9, v3, vcc_lo
	global_load_b32 v4, v[2:3], off
	s_waitcnt vmcnt(0)
	v_fmac_f32_e32 v10, s12, v4
	global_store_b32 v[2:3], v10, off
.LBB6_54:
	s_and_not1_b32 vcc_lo, exec_lo, s0
	s_cbranch_vccnz .LBB6_56
; %bb.55:
	v_mul_lo_u32 v4, v1, s2
	v_mul_lo_u32 v10, v0, s3
	v_mad_u64_u32 v[2:3], null, v0, s2, 0
	s_delay_alu instid0(VALU_DEP_1) | instskip(SKIP_1) | instid1(VALU_DEP_2)
	v_add3_u32 v3, v3, v10, v4
	v_mul_f32_e32 v10, s6, v5
	v_lshlrev_b64 v[2:3], 2, v[2:3]
	s_delay_alu instid0(VALU_DEP_1) | instskip(NEXT) | instid1(VALU_DEP_2)
	v_add_co_u32 v2, vcc_lo, v6, v2
	v_add_co_ci_u32_e32 v3, vcc_lo, v7, v3, vcc_lo
	global_load_b32 v4, v[2:3], off
	s_waitcnt vmcnt(0)
	v_fmac_f32_e32 v10, s12, v4
	global_store_b32 v[2:3], v10, off
.LBB6_56:
	s_cbranch_execz .LBB6_59
.LBB6_57:
	s_nop 0
	s_sendmsg sendmsg(MSG_DEALLOC_VGPRS)
	s_endpgm
.LBB6_58:
.LBB6_59:
	v_mul_f32_e32 v2, s6, v5
	s_and_not1_b32 vcc_lo, exec_lo, s1
	s_mov_b32 s0, -1
	s_cbranch_vccnz .LBB6_61
; %bb.60:
	v_lshlrev_b64 v[3:4], 2, v[0:1]
	s_mov_b32 s0, 0
	s_delay_alu instid0(VALU_DEP_1) | instskip(NEXT) | instid1(VALU_DEP_2)
	v_add_co_u32 v3, vcc_lo, v8, v3
	v_add_co_ci_u32_e32 v4, vcc_lo, v9, v4, vcc_lo
	global_store_b32 v[3:4], v2, off
.LBB6_61:
	s_and_not1_b32 vcc_lo, exec_lo, s0
	s_cbranch_vccnz .LBB6_57
; %bb.62:
	v_mul_lo_u32 v1, v1, s2
	v_mul_lo_u32 v5, v0, s3
	v_mad_u64_u32 v[3:4], null, v0, s2, 0
	s_delay_alu instid0(VALU_DEP_1) | instskip(NEXT) | instid1(VALU_DEP_1)
	v_add3_u32 v4, v4, v5, v1
	v_lshlrev_b64 v[0:1], 2, v[3:4]
	s_delay_alu instid0(VALU_DEP_1) | instskip(NEXT) | instid1(VALU_DEP_2)
	v_add_co_u32 v0, vcc_lo, v6, v0
	v_add_co_ci_u32_e32 v1, vcc_lo, v7, v1, vcc_lo
	global_store_b32 v[0:1], v2, off
	s_nop 0
	s_sendmsg sendmsg(MSG_DEALLOC_VGPRS)
	s_endpgm
	.section	.rodata,"a",@progbits
	.p2align	6, 0x0
	.amdhsa_kernel _ZN9rocsparseL31bsrmm_large_blockdim_kernel_extILj16ELj16ELj2EliffffEEvb20rocsparse_direction_T3_S2_llNS_24const_host_device_scalarIT7_EEPKT2_PKS2_PKT4_S2_PKT5_llS5_PT6_ll16rocsparse_order_21rocsparse_index_base_b
		.amdhsa_group_segment_fixed_size 3072
		.amdhsa_private_segment_fixed_size 0
		.amdhsa_kernarg_size 140
		.amdhsa_user_sgpr_count 14
		.amdhsa_user_sgpr_dispatch_ptr 0
		.amdhsa_user_sgpr_queue_ptr 0
		.amdhsa_user_sgpr_kernarg_segment_ptr 1
		.amdhsa_user_sgpr_dispatch_id 0
		.amdhsa_user_sgpr_private_segment_size 0
		.amdhsa_wavefront_size32 1
		.amdhsa_uses_dynamic_stack 0
		.amdhsa_enable_private_segment 0
		.amdhsa_system_sgpr_workgroup_id_x 1
		.amdhsa_system_sgpr_workgroup_id_y 1
		.amdhsa_system_sgpr_workgroup_id_z 0
		.amdhsa_system_sgpr_workgroup_info 0
		.amdhsa_system_vgpr_workitem_id 1
		.amdhsa_next_free_vgpr 38
		.amdhsa_next_free_sgpr 37
		.amdhsa_reserve_vcc 1
		.amdhsa_float_round_mode_32 0
		.amdhsa_float_round_mode_16_64 0
		.amdhsa_float_denorm_mode_32 3
		.amdhsa_float_denorm_mode_16_64 3
		.amdhsa_dx10_clamp 1
		.amdhsa_ieee_mode 1
		.amdhsa_fp16_overflow 0
		.amdhsa_workgroup_processor_mode 1
		.amdhsa_memory_ordered 1
		.amdhsa_forward_progress 0
		.amdhsa_shared_vgpr_count 0
		.amdhsa_exception_fp_ieee_invalid_op 0
		.amdhsa_exception_fp_denorm_src 0
		.amdhsa_exception_fp_ieee_div_zero 0
		.amdhsa_exception_fp_ieee_overflow 0
		.amdhsa_exception_fp_ieee_underflow 0
		.amdhsa_exception_fp_ieee_inexact 0
		.amdhsa_exception_int_div_zero 0
	.end_amdhsa_kernel
	.section	.text._ZN9rocsparseL31bsrmm_large_blockdim_kernel_extILj16ELj16ELj2EliffffEEvb20rocsparse_direction_T3_S2_llNS_24const_host_device_scalarIT7_EEPKT2_PKS2_PKT4_S2_PKT5_llS5_PT6_ll16rocsparse_order_21rocsparse_index_base_b,"axG",@progbits,_ZN9rocsparseL31bsrmm_large_blockdim_kernel_extILj16ELj16ELj2EliffffEEvb20rocsparse_direction_T3_S2_llNS_24const_host_device_scalarIT7_EEPKT2_PKS2_PKT4_S2_PKT5_llS5_PT6_ll16rocsparse_order_21rocsparse_index_base_b,comdat
.Lfunc_end6:
	.size	_ZN9rocsparseL31bsrmm_large_blockdim_kernel_extILj16ELj16ELj2EliffffEEvb20rocsparse_direction_T3_S2_llNS_24const_host_device_scalarIT7_EEPKT2_PKS2_PKT4_S2_PKT5_llS5_PT6_ll16rocsparse_order_21rocsparse_index_base_b, .Lfunc_end6-_ZN9rocsparseL31bsrmm_large_blockdim_kernel_extILj16ELj16ELj2EliffffEEvb20rocsparse_direction_T3_S2_llNS_24const_host_device_scalarIT7_EEPKT2_PKS2_PKT4_S2_PKT5_llS5_PT6_ll16rocsparse_order_21rocsparse_index_base_b
                                        ; -- End function
	.section	.AMDGPU.csdata,"",@progbits
; Kernel info:
; codeLenInByte = 2508
; NumSgprs: 39
; NumVgprs: 38
; ScratchSize: 0
; MemoryBound: 0
; FloatMode: 240
; IeeeMode: 1
; LDSByteSize: 3072 bytes/workgroup (compile time only)
; SGPRBlocks: 4
; VGPRBlocks: 4
; NumSGPRsForWavesPerEU: 39
; NumVGPRsForWavesPerEU: 38
; Occupancy: 16
; WaveLimiterHint : 1
; COMPUTE_PGM_RSRC2:SCRATCH_EN: 0
; COMPUTE_PGM_RSRC2:USER_SGPR: 14
; COMPUTE_PGM_RSRC2:TRAP_HANDLER: 0
; COMPUTE_PGM_RSRC2:TGID_X_EN: 1
; COMPUTE_PGM_RSRC2:TGID_Y_EN: 1
; COMPUTE_PGM_RSRC2:TGID_Z_EN: 0
; COMPUTE_PGM_RSRC2:TIDIG_COMP_CNT: 1
	.section	.text._ZN9rocsparseL31bsrmm_large_blockdim_kernel_extILj32ELj32ELj2EliffffEEvb20rocsparse_direction_T3_S2_llNS_24const_host_device_scalarIT7_EEPKT2_PKS2_PKT4_S2_PKT5_llS5_PT6_ll16rocsparse_order_21rocsparse_index_base_b,"axG",@progbits,_ZN9rocsparseL31bsrmm_large_blockdim_kernel_extILj32ELj32ELj2EliffffEEvb20rocsparse_direction_T3_S2_llNS_24const_host_device_scalarIT7_EEPKT2_PKS2_PKT4_S2_PKT5_llS5_PT6_ll16rocsparse_order_21rocsparse_index_base_b,comdat
	.globl	_ZN9rocsparseL31bsrmm_large_blockdim_kernel_extILj32ELj32ELj2EliffffEEvb20rocsparse_direction_T3_S2_llNS_24const_host_device_scalarIT7_EEPKT2_PKS2_PKT4_S2_PKT5_llS5_PT6_ll16rocsparse_order_21rocsparse_index_base_b ; -- Begin function _ZN9rocsparseL31bsrmm_large_blockdim_kernel_extILj32ELj32ELj2EliffffEEvb20rocsparse_direction_T3_S2_llNS_24const_host_device_scalarIT7_EEPKT2_PKS2_PKT4_S2_PKT5_llS5_PT6_ll16rocsparse_order_21rocsparse_index_base_b
	.p2align	8
	.type	_ZN9rocsparseL31bsrmm_large_blockdim_kernel_extILj32ELj32ELj2EliffffEEvb20rocsparse_direction_T3_S2_llNS_24const_host_device_scalarIT7_EEPKT2_PKS2_PKT4_S2_PKT5_llS5_PT6_ll16rocsparse_order_21rocsparse_index_base_b,@function
_ZN9rocsparseL31bsrmm_large_blockdim_kernel_extILj32ELj32ELj2EliffffEEvb20rocsparse_direction_T3_S2_llNS_24const_host_device_scalarIT7_EEPKT2_PKS2_PKT4_S2_PKT5_llS5_PT6_ll16rocsparse_order_21rocsparse_index_base_b: ; @_ZN9rocsparseL31bsrmm_large_blockdim_kernel_extILj32ELj32ELj2EliffffEEvb20rocsparse_direction_T3_S2_llNS_24const_host_device_scalarIT7_EEPKT2_PKS2_PKT4_S2_PKT5_llS5_PT6_ll16rocsparse_order_21rocsparse_index_base_b
; %bb.0:
	s_clause 0x2
	s_load_b128 s[16:19], s[0:1], 0x80
	s_load_b64 s[6:7], s[0:1], 0x20
	s_load_b64 s[12:13], s[0:1], 0x60
	s_mov_b32 s2, s15
	s_waitcnt lgkmcnt(0)
	s_bitcmp1_b32 s18, 0
	s_cselect_b32 s3, -1, 0
	s_delay_alu instid0(SALU_CYCLE_1)
	s_and_b32 vcc_lo, exec_lo, s3
	s_xor_b32 s3, s3, -1
	s_cbranch_vccnz .LBB7_2
; %bb.1:
	s_load_b32 s6, s[6:7], 0x0
.LBB7_2:
	s_and_not1_b32 vcc_lo, exec_lo, s3
	s_cbranch_vccnz .LBB7_4
; %bb.3:
	s_load_b32 s12, s[12:13], 0x0
.LBB7_4:
	s_waitcnt lgkmcnt(0)
	v_cmp_eq_f32_e64 s3, s6, 0
	v_cmp_eq_f32_e64 s4, s12, 1.0
	s_delay_alu instid0(VALU_DEP_1) | instskip(NEXT) | instid1(SALU_CYCLE_1)
	s_and_b32 s3, s3, s4
	s_and_b32 vcc_lo, exec_lo, s3
	s_cbranch_vccnz .LBB7_57
; %bb.5:
	s_clause 0x1
	s_load_b128 s[8:11], s[0:1], 0x0
	s_load_b64 s[4:5], s[0:1], 0x28
	s_mov_b64 s[28:29], 0
	s_mov_b64 s[30:31], 0
	s_waitcnt lgkmcnt(0)
	s_cmp_lt_i32 s14, s10
	s_cselect_b32 s7, -1, 0
	s_cmp_ge_i32 s14, s10
	s_cbranch_scc1 .LBB7_7
; %bb.6:
	s_ashr_i32 s15, s14, 31
	s_delay_alu instid0(SALU_CYCLE_1) | instskip(NEXT) | instid1(SALU_CYCLE_1)
	s_lshl_b64 s[18:19], s[14:15], 3
	s_add_u32 s18, s4, s18
	s_addc_u32 s19, s5, s19
	s_load_b64 s[18:19], s[18:19], 0x0
	s_waitcnt lgkmcnt(0)
	s_sub_u32 s30, s18, s17
	s_subb_u32 s31, s19, 0
.LBB7_7:
	s_and_not1_b32 vcc_lo, exec_lo, s7
	s_cbranch_vccnz .LBB7_9
; %bb.8:
	s_ashr_i32 s15, s14, 31
	s_delay_alu instid0(SALU_CYCLE_1) | instskip(NEXT) | instid1(SALU_CYCLE_1)
	s_lshl_b64 s[18:19], s[14:15], 3
	s_add_u32 s4, s4, s18
	s_addc_u32 s5, s5, s19
	s_load_b64 s[4:5], s[4:5], 0x8
	s_waitcnt lgkmcnt(0)
	s_sub_u32 s28, s4, s17
	s_subb_u32 s29, s5, 0
.LBB7_9:
	s_clause 0x1
	s_load_b32 s10, s[0:1], 0x40
	s_load_b64 s[18:19], s[0:1], 0x68
	v_bfe_u32 v7, v0, 10, 10
	s_mov_b32 s34, 0
	s_delay_alu instid0(SALU_CYCLE_1) | instskip(SKIP_1) | instid1(VALU_DEP_2)
	s_mov_b32 s35, s34
	v_and_b32_e32 v6, 0x3ff, v0
	v_lshl_add_u32 v2, s2, 6, v7
	v_cmp_ge_i64_e64 s2, s[30:31], s[28:29]
	v_dual_mov_b32 v4, s34 :: v_dual_mov_b32 v5, s35
	s_delay_alu instid0(VALU_DEP_3) | instskip(SKIP_1) | instid1(VALU_DEP_4)
	v_add_nc_u32_e32 v0, 32, v2
	v_cmp_gt_i32_e64 s3, s11, v2
	s_and_b32 vcc_lo, exec_lo, s2
	s_delay_alu instid0(VALU_DEP_2)
	v_cmp_gt_i32_e64 s4, s11, v0
	s_waitcnt lgkmcnt(0)
	v_cmp_gt_i32_e64 s2, s10, v6
	s_cbranch_vccnz .LBB7_37
; %bb.10:
	s_clause 0x1
	s_load_b128 s[20:23], s[0:1], 0x30
	s_load_b128 s[24:27], s[0:1], 0x48
	v_mul_lo_u32 v4, v7, s10
	v_dual_mov_b32 v5, 0 :: v_dual_lshlrev_b32 v10, 5, v7
	v_cmp_gt_i32_e32 vcc_lo, s10, v7
	v_lshlrev_b32_e32 v1, 2, v6
	v_ashrrev_i32_e32 v3, 31, v2
	v_lshl_add_u32 v13, v6, 5, v7
	v_lshlrev_b64 v[8:9], 2, v[4:5]
	v_mul_lo_u32 v4, v6, s10
	s_and_b32 s13, s2, vcc_lo
	s_bitcmp1_b32 s8, 0
	v_lshl_add_u32 v15, v13, 2, 0x2000
	s_cselect_b32 s5, -1, 0
	s_cmp_eq_u32 s9, 0
	s_delay_alu instid0(VALU_DEP_2) | instskip(SKIP_4) | instid1(VALU_DEP_3)
	v_lshlrev_b64 v[4:5], 2, v[4:5]
	s_waitcnt lgkmcnt(0)
	v_add_co_u32 v8, vcc_lo, s22, v8
	v_add_co_ci_u32_e32 v9, vcc_lo, s23, v9, vcc_lo
	v_mul_lo_u32 v18, v2, s27
	v_add_co_u32 v14, vcc_lo, v8, v1
	v_ashrrev_i32_e32 v1, 31, v0
	s_delay_alu instid0(VALU_DEP_4)
	v_add_co_ci_u32_e32 v17, vcc_lo, 0, v9, vcc_lo
	v_mul_lo_u32 v19, v3, s26
	v_mad_u64_u32 v[8:9], null, v2, s26, 0
	v_mul_lo_u32 v20, v0, s27
	v_mul_lo_u32 v21, v1, s26
	v_mad_u64_u32 v[11:12], null, v0, s26, 0
	v_add_co_u32 v4, vcc_lo, s22, v4
	v_lshlrev_b32_e32 v16, 2, v7
	v_add_co_ci_u32_e32 v5, vcc_lo, s23, v5, vcc_lo
	v_add3_u32 v9, v9, v18, v19
	v_add3_u32 v12, v12, v20, v21
	s_delay_alu instid0(VALU_DEP_4) | instskip(NEXT) | instid1(VALU_DEP_4)
	v_add_co_u32 v4, vcc_lo, v4, v16
	v_add_co_ci_u32_e32 v5, vcc_lo, 0, v5, vcc_lo
	v_lshlrev_b32_e32 v19, 7, v7
	s_cselect_b32 vcc_lo, -1, 0
	s_add_i32 s9, s10, -1
	s_and_b32 s8, s10, 7
	s_cmp_gt_u32 s9, 6
	v_add_lshl_u32 v16, v10, v6, 2
	v_dual_cndmask_b32 v17, v17, v5 :: v_dual_cndmask_b32 v18, v14, v4
	v_mov_b32_e32 v4, s34
	v_lshlrev_b64 v[7:8], 2, v[8:9]
	v_lshlrev_b64 v[9:10], 2, v[2:3]
	;; [unrolled: 1-line block ×4, first 2 shown]
	s_cselect_b32 s9, -1, 0
	s_and_b32 s15, s10, -8
	v_lshl_add_u32 v20, v6, 7, 0x2000
	v_add_nc_u32_e32 v21, 0x1000, v19
	v_mov_b32_e32 v5, s35
	s_cmp_lg_u32 s8, 0
	s_mul_i32 s23, s10, s10
	s_cselect_b32 s22, -1, 0
	s_branch .LBB7_13
.LBB7_11:                               ;   in Loop: Header=BB7_13 Depth=1
	s_or_b32 exec_lo, exec_lo, s34
.LBB7_12:                               ;   in Loop: Header=BB7_13 Depth=1
	s_delay_alu instid0(SALU_CYCLE_1) | instskip(SKIP_2) | instid1(SALU_CYCLE_1)
	s_or_b32 exec_lo, exec_lo, s33
	s_add_u32 s30, s30, 1
	s_addc_u32 s31, s31, 0
	v_cmp_ge_i64_e64 s33, s[30:31], s[28:29]
	s_barrier
	buffer_gl0_inv
	s_and_b32 vcc_lo, exec_lo, s33
	s_cbranch_vccnz .LBB7_37
.LBB7_13:                               ; =>This Loop Header: Depth=1
                                        ;     Child Loop BB7_24 Depth 2
                                        ;     Child Loop BB7_28 Depth 2
	;; [unrolled: 1-line block ×4, first 2 shown]
	s_and_saveexec_b32 s33, s2
	s_cbranch_execz .LBB7_18
; %bb.14:                               ;   in Loop: Header=BB7_13 Depth=1
	s_lshl_b64 s[34:35], s[30:31], 2
	s_delay_alu instid0(SALU_CYCLE_1) | instskip(SKIP_4) | instid1(SALU_CYCLE_1)
	s_add_u32 s34, s20, s34
	s_addc_u32 s35, s21, s35
	s_load_b32 s34, s[34:35], 0x0
	s_waitcnt lgkmcnt(0)
	s_sub_i32 s34, s34, s17
	v_mad_u64_u32 v[22:23], null, s34, s10, v[6:7]
	s_delay_alu instid0(VALU_DEP_1) | instskip(SKIP_2) | instid1(VALU_DEP_3)
	v_ashrrev_i32_e32 v23, 31, v22
	v_mul_lo_u32 v1, v22, s27
	v_mad_u64_u32 v[24:25], null, v22, s26, 0
	v_mul_lo_u32 v3, v23, s26
	v_lshlrev_b64 v[22:23], 2, v[22:23]
	s_delay_alu instid0(VALU_DEP_2) | instskip(NEXT) | instid1(VALU_DEP_1)
	v_add3_u32 v25, v25, v1, v3
	v_lshlrev_b64 v[24:25], 2, v[24:25]
	s_delay_alu instid0(VALU_DEP_1) | instskip(NEXT) | instid1(VALU_DEP_2)
	v_add_co_u32 v1, vcc_lo, s24, v24
	v_add_co_ci_u32_e32 v3, vcc_lo, s25, v25, vcc_lo
	v_add_co_u32 v22, vcc_lo, s24, v22
	v_add_co_ci_u32_e32 v23, vcc_lo, s25, v23, vcc_lo
	s_and_saveexec_b32 s34, s3
	s_cbranch_execz .LBB7_16
; %bb.15:                               ;   in Loop: Header=BB7_13 Depth=1
	s_delay_alu instid0(VALU_DEP_2) | instskip(NEXT) | instid1(VALU_DEP_2)
	v_add_co_u32 v24, vcc_lo, v22, v7
	v_add_co_ci_u32_e32 v25, vcc_lo, v23, v8, vcc_lo
	v_add_co_u32 v26, vcc_lo, v1, v9
	v_add_co_ci_u32_e32 v27, vcc_lo, v3, v10, vcc_lo
	s_delay_alu instid0(VALU_DEP_2) | instskip(NEXT) | instid1(VALU_DEP_2)
	v_cndmask_b32_e64 v24, v26, v24, s5
	v_cndmask_b32_e64 v25, v27, v25, s5
	global_load_b32 v24, v[24:25], off
	s_waitcnt vmcnt(0)
	ds_store_b32 v16, v24
.LBB7_16:                               ;   in Loop: Header=BB7_13 Depth=1
	s_or_b32 exec_lo, exec_lo, s34
	s_delay_alu instid0(SALU_CYCLE_1)
	s_and_b32 exec_lo, exec_lo, s4
	s_cbranch_execz .LBB7_18
; %bb.17:                               ;   in Loop: Header=BB7_13 Depth=1
	v_add_co_u32 v22, vcc_lo, v22, v11
	v_add_co_ci_u32_e32 v23, vcc_lo, v23, v12, vcc_lo
	v_add_co_u32 v1, vcc_lo, v1, v13
	v_add_co_ci_u32_e32 v3, vcc_lo, v3, v14, vcc_lo
	s_delay_alu instid0(VALU_DEP_2) | instskip(NEXT) | instid1(VALU_DEP_2)
	v_cndmask_b32_e64 v22, v1, v22, s5
	v_cndmask_b32_e64 v23, v3, v23, s5
	global_load_b32 v1, v[22:23], off
	s_waitcnt vmcnt(0)
	ds_store_b32 v16, v1 offset:4096
.LBB7_18:                               ;   in Loop: Header=BB7_13 Depth=1
	s_or_b32 exec_lo, exec_lo, s33
	s_and_saveexec_b32 s33, s13
	s_cbranch_execz .LBB7_20
; %bb.19:                               ;   in Loop: Header=BB7_13 Depth=1
	s_mul_i32 s35, s31, s23
	s_mul_hi_u32 s36, s30, s23
	s_mul_i32 s34, s30, s23
	s_add_i32 s35, s36, s35
	s_delay_alu instid0(SALU_CYCLE_1) | instskip(NEXT) | instid1(SALU_CYCLE_1)
	s_lshl_b64 s[34:35], s[34:35], 2
	v_add_co_u32 v22, vcc_lo, v18, s34
	v_add_co_ci_u32_e32 v23, vcc_lo, s35, v17, vcc_lo
	global_load_b32 v1, v[22:23], off
	s_waitcnt vmcnt(0)
	ds_store_b32 v15, v1
.LBB7_20:                               ;   in Loop: Header=BB7_13 Depth=1
	s_or_b32 exec_lo, exec_lo, s33
	s_waitcnt lgkmcnt(0)
	s_barrier
	buffer_gl0_inv
	s_and_saveexec_b32 s33, s2
	s_cbranch_execz .LBB7_12
; %bb.21:                               ;   in Loop: Header=BB7_13 Depth=1
	s_and_saveexec_b32 s34, s3
	s_cbranch_execz .LBB7_29
; %bb.22:                               ;   in Loop: Header=BB7_13 Depth=1
	s_and_not1_b32 vcc_lo, exec_lo, s9
	s_cbranch_vccnz .LBB7_26
; %bb.23:                               ;   in Loop: Header=BB7_13 Depth=1
	v_mov_b32_e32 v1, v20
	v_mov_b32_e32 v3, v19
	s_mov_b32 s35, 0
	.p2align	6
.LBB7_24:                               ;   Parent Loop BB7_13 Depth=1
                                        ; =>  This Inner Loop Header: Depth=2
	ds_load_b128 v[22:25], v3
	ds_load_b128 v[26:29], v1
	ds_load_b128 v[30:33], v1 offset:16
	ds_load_b128 v[34:37], v3 offset:16
	s_add_i32 s35, s35, 8
	v_add_nc_u32_e32 v1, 32, v1
	s_cmp_lg_u32 s15, s35
	v_add_nc_u32_e32 v3, 32, v3
	s_waitcnt lgkmcnt(2)
	v_fma_f32 v4, v26, v22, v4
	s_delay_alu instid0(VALU_DEP_1) | instskip(NEXT) | instid1(VALU_DEP_1)
	v_fmac_f32_e32 v4, v27, v23
	v_fmac_f32_e32 v4, v28, v24
	s_delay_alu instid0(VALU_DEP_1) | instskip(SKIP_1) | instid1(VALU_DEP_1)
	v_fmac_f32_e32 v4, v29, v25
	s_waitcnt lgkmcnt(0)
	v_fmac_f32_e32 v4, v30, v34
	s_delay_alu instid0(VALU_DEP_1) | instskip(NEXT) | instid1(VALU_DEP_1)
	v_fmac_f32_e32 v4, v31, v35
	v_fmac_f32_e32 v4, v32, v36
	s_delay_alu instid0(VALU_DEP_1)
	v_fmac_f32_e32 v4, v33, v37
	s_cbranch_scc1 .LBB7_24
; %bb.25:                               ;   in Loop: Header=BB7_13 Depth=1
	s_mov_b32 s35, s15
	s_and_not1_b32 vcc_lo, exec_lo, s22
	s_cbranch_vccz .LBB7_27
	s_branch .LBB7_29
.LBB7_26:                               ;   in Loop: Header=BB7_13 Depth=1
	s_mov_b32 s35, 0
	s_and_not1_b32 vcc_lo, exec_lo, s22
	s_cbranch_vccnz .LBB7_29
.LBB7_27:                               ;   in Loop: Header=BB7_13 Depth=1
	s_lshl_b32 s35, s35, 2
	s_delay_alu instid0(SALU_CYCLE_1)
	v_add_nc_u32_e32 v1, s35, v19
	v_add_nc_u32_e32 v3, s35, v20
	s_mov_b32 s35, s8
.LBB7_28:                               ;   Parent Loop BB7_13 Depth=1
                                        ; =>  This Inner Loop Header: Depth=2
	ds_load_b32 v22, v3
	ds_load_b32 v23, v1
	v_add_nc_u32_e32 v1, 4, v1
	v_add_nc_u32_e32 v3, 4, v3
	s_add_i32 s35, s35, -1
	s_delay_alu instid0(SALU_CYCLE_1)
	s_cmp_lg_u32 s35, 0
	s_waitcnt lgkmcnt(0)
	v_fma_f32 v4, v22, v23, v4
	s_cbranch_scc1 .LBB7_28
.LBB7_29:                               ;   in Loop: Header=BB7_13 Depth=1
	s_or_b32 exec_lo, exec_lo, s34
	s_and_saveexec_b32 s34, s4
	s_cbranch_execz .LBB7_11
; %bb.30:                               ;   in Loop: Header=BB7_13 Depth=1
	s_and_not1_b32 vcc_lo, exec_lo, s9
	s_cbranch_vccnz .LBB7_34
; %bb.31:                               ;   in Loop: Header=BB7_13 Depth=1
	v_mov_b32_e32 v1, v20
	v_mov_b32_e32 v3, v21
	s_mov_b32 s35, 0
	.p2align	6
.LBB7_32:                               ;   Parent Loop BB7_13 Depth=1
                                        ; =>  This Inner Loop Header: Depth=2
	ds_load_b128 v[22:25], v3
	ds_load_b128 v[26:29], v1
	ds_load_b128 v[30:33], v1 offset:16
	ds_load_b128 v[34:37], v3 offset:16
	v_add_nc_u32_e32 v3, 32, v3
	v_add_nc_u32_e32 v1, 32, v1
	s_add_i32 s35, s35, 8
	s_delay_alu instid0(SALU_CYCLE_1) | instskip(SKIP_2) | instid1(VALU_DEP_1)
	s_cmp_lg_u32 s15, s35
	s_waitcnt lgkmcnt(2)
	v_fma_f32 v5, v26, v22, v5
	v_fmac_f32_e32 v5, v27, v23
	s_delay_alu instid0(VALU_DEP_1) | instskip(NEXT) | instid1(VALU_DEP_1)
	v_fmac_f32_e32 v5, v28, v24
	v_fmac_f32_e32 v5, v29, v25
	s_waitcnt lgkmcnt(0)
	s_delay_alu instid0(VALU_DEP_1) | instskip(NEXT) | instid1(VALU_DEP_1)
	v_fmac_f32_e32 v5, v30, v34
	v_fmac_f32_e32 v5, v31, v35
	s_delay_alu instid0(VALU_DEP_1) | instskip(NEXT) | instid1(VALU_DEP_1)
	v_fmac_f32_e32 v5, v32, v36
	v_fmac_f32_e32 v5, v33, v37
	s_cbranch_scc1 .LBB7_32
; %bb.33:                               ;   in Loop: Header=BB7_13 Depth=1
	s_mov_b32 s35, s15
	s_and_not1_b32 vcc_lo, exec_lo, s22
	s_cbranch_vccz .LBB7_35
	s_branch .LBB7_11
.LBB7_34:                               ;   in Loop: Header=BB7_13 Depth=1
	s_mov_b32 s35, 0
	s_and_not1_b32 vcc_lo, exec_lo, s22
	s_cbranch_vccnz .LBB7_11
.LBB7_35:                               ;   in Loop: Header=BB7_13 Depth=1
	s_lshl_b32 s35, s35, 2
	s_delay_alu instid0(SALU_CYCLE_1)
	v_add_nc_u32_e32 v1, s35, v21
	v_add_nc_u32_e32 v3, s35, v20
	s_mov_b32 s35, s8
.LBB7_36:                               ;   Parent Loop BB7_13 Depth=1
                                        ; =>  This Inner Loop Header: Depth=2
	ds_load_b32 v22, v3
	ds_load_b32 v23, v1
	v_add_nc_u32_e32 v1, 4, v1
	v_add_nc_u32_e32 v3, 4, v3
	s_add_i32 s35, s35, -1
	s_delay_alu instid0(SALU_CYCLE_1)
	s_cmp_lg_u32 s35, 0
	s_waitcnt lgkmcnt(0)
	v_fma_f32 v5, v22, v23, v5
	s_cbranch_scc1 .LBB7_36
	s_branch .LBB7_11
.LBB7_37:
	s_delay_alu instid0(VALU_DEP_1) | instskip(NEXT) | instid1(SALU_CYCLE_1)
	s_and_b32 s2, s7, s2
	s_and_saveexec_b32 s3, s2
	s_cbranch_execz .LBB7_57
; %bb.38:
	s_load_b64 s[2:3], s[0:1], 0x70
	v_mad_u64_u32 v[7:8], null, s14, s10, v[6:7]
	v_cmp_neq_f32_e64 s4, s12, 0
	s_cmp_lg_u32 s16, 1
	s_mov_b32 s0, exec_lo
	s_cselect_b32 s1, -1, 0
	s_delay_alu instid0(VALU_DEP_2) | instskip(SKIP_1) | instid1(VALU_DEP_1)
	v_ashrrev_i32_e32 v8, 31, v7
	s_waitcnt lgkmcnt(0)
	v_mul_lo_u32 v1, v8, s2
	v_mul_lo_u32 v3, v7, s3
	v_mad_u64_u32 v[9:10], null, v7, s2, 0
	v_lshlrev_b64 v[6:7], 2, v[7:8]
	s_delay_alu instid0(VALU_DEP_1) | instskip(NEXT) | instid1(VALU_DEP_3)
	v_add_co_u32 v6, vcc_lo, s18, v6
	v_add3_u32 v10, v10, v3, v1
	s_delay_alu instid0(VALU_DEP_3) | instskip(NEXT) | instid1(VALU_DEP_2)
	v_add_co_ci_u32_e32 v7, vcc_lo, s19, v7, vcc_lo
	v_lshlrev_b64 v[8:9], 2, v[9:10]
	s_delay_alu instid0(VALU_DEP_1) | instskip(NEXT) | instid1(VALU_DEP_2)
	v_add_co_u32 v8, vcc_lo, s18, v8
	v_add_co_ci_u32_e32 v9, vcc_lo, s19, v9, vcc_lo
	v_cmpx_gt_i32_e64 s11, v2
	s_cbranch_execz .LBB7_50
; %bb.39:
	v_ashrrev_i32_e32 v3, 31, v2
	s_and_b32 vcc_lo, exec_lo, s4
	s_cbranch_vccz .LBB7_45
; %bb.40:
	s_and_b32 vcc_lo, exec_lo, s1
	s_mov_b32 s5, -1
	s_cbranch_vccz .LBB7_42
; %bb.41:
	v_lshlrev_b64 v[10:11], 2, v[2:3]
	v_mul_f32_e32 v12, s6, v4
	s_mov_b32 s5, 0
	s_delay_alu instid0(VALU_DEP_2) | instskip(NEXT) | instid1(VALU_DEP_3)
	v_add_co_u32 v10, vcc_lo, v8, v10
	v_add_co_ci_u32_e32 v11, vcc_lo, v9, v11, vcc_lo
	global_load_b32 v1, v[10:11], off
	s_waitcnt vmcnt(0)
	v_fmac_f32_e32 v12, s12, v1
	global_store_b32 v[10:11], v12, off
.LBB7_42:
	s_and_not1_b32 vcc_lo, exec_lo, s5
	s_cbranch_vccnz .LBB7_44
; %bb.43:
	v_mul_lo_u32 v1, v3, s2
	v_mul_lo_u32 v12, v2, s3
	v_mad_u64_u32 v[10:11], null, v2, s2, 0
	s_delay_alu instid0(VALU_DEP_1) | instskip(SKIP_1) | instid1(VALU_DEP_2)
	v_add3_u32 v11, v11, v12, v1
	v_mul_f32_e32 v12, s6, v4
	v_lshlrev_b64 v[10:11], 2, v[10:11]
	s_delay_alu instid0(VALU_DEP_1) | instskip(NEXT) | instid1(VALU_DEP_2)
	v_add_co_u32 v10, vcc_lo, v6, v10
	v_add_co_ci_u32_e32 v11, vcc_lo, v7, v11, vcc_lo
	global_load_b32 v1, v[10:11], off
	s_waitcnt vmcnt(0)
	v_fmac_f32_e32 v12, s12, v1
	global_store_b32 v[10:11], v12, off
.LBB7_44:
	s_cbranch_execz .LBB7_46
	s_branch .LBB7_50
.LBB7_45:
.LBB7_46:
	v_mul_f32_e32 v1, s6, v4
	s_and_b32 vcc_lo, exec_lo, s1
	s_mov_b32 s5, -1
	s_cbranch_vccz .LBB7_48
; %bb.47:
	v_lshlrev_b64 v[10:11], 2, v[2:3]
	s_mov_b32 s5, 0
	s_delay_alu instid0(VALU_DEP_1) | instskip(NEXT) | instid1(VALU_DEP_2)
	v_add_co_u32 v10, vcc_lo, v8, v10
	v_add_co_ci_u32_e32 v11, vcc_lo, v9, v11, vcc_lo
	global_store_b32 v[10:11], v1, off
.LBB7_48:
	s_and_not1_b32 vcc_lo, exec_lo, s5
	s_cbranch_vccnz .LBB7_50
; %bb.49:
	v_mul_lo_u32 v10, v3, s2
	v_mul_lo_u32 v11, v2, s3
	v_mad_u64_u32 v[3:4], null, v2, s2, 0
	s_delay_alu instid0(VALU_DEP_1) | instskip(NEXT) | instid1(VALU_DEP_1)
	v_add3_u32 v4, v4, v11, v10
	v_lshlrev_b64 v[2:3], 2, v[3:4]
	s_delay_alu instid0(VALU_DEP_1) | instskip(NEXT) | instid1(VALU_DEP_2)
	v_add_co_u32 v2, vcc_lo, v6, v2
	v_add_co_ci_u32_e32 v3, vcc_lo, v7, v3, vcc_lo
	global_store_b32 v[2:3], v1, off
.LBB7_50:
	s_or_b32 exec_lo, exec_lo, s0
	v_cmp_gt_i32_e32 vcc_lo, s11, v0
	s_and_b32 exec_lo, exec_lo, vcc_lo
	s_cbranch_execz .LBB7_57
; %bb.51:
	v_cndmask_b32_e64 v2, 0, 1, s1
	v_ashrrev_i32_e32 v1, 31, v0
	s_and_not1_b32 vcc_lo, exec_lo, s4
	s_delay_alu instid0(VALU_DEP_2)
	v_cmp_ne_u32_e64 s0, 1, v2
	s_cbranch_vccnz .LBB7_58
; %bb.52:
	s_delay_alu instid0(VALU_DEP_1)
	s_and_b32 vcc_lo, exec_lo, s0
	s_mov_b32 s0, -1
	s_cbranch_vccnz .LBB7_54
; %bb.53:
	v_lshlrev_b64 v[2:3], 2, v[0:1]
	v_mul_f32_e32 v10, s6, v5
	s_mov_b32 s0, 0
	s_delay_alu instid0(VALU_DEP_2) | instskip(NEXT) | instid1(VALU_DEP_3)
	v_add_co_u32 v2, vcc_lo, v8, v2
	v_add_co_ci_u32_e32 v3, vcc_lo, v9, v3, vcc_lo
	global_load_b32 v4, v[2:3], off
	s_waitcnt vmcnt(0)
	v_fmac_f32_e32 v10, s12, v4
	global_store_b32 v[2:3], v10, off
.LBB7_54:
	s_and_not1_b32 vcc_lo, exec_lo, s0
	s_cbranch_vccnz .LBB7_56
; %bb.55:
	v_mul_lo_u32 v4, v1, s2
	v_mul_lo_u32 v10, v0, s3
	v_mad_u64_u32 v[2:3], null, v0, s2, 0
	s_delay_alu instid0(VALU_DEP_1) | instskip(SKIP_1) | instid1(VALU_DEP_2)
	v_add3_u32 v3, v3, v10, v4
	v_mul_f32_e32 v10, s6, v5
	v_lshlrev_b64 v[2:3], 2, v[2:3]
	s_delay_alu instid0(VALU_DEP_1) | instskip(NEXT) | instid1(VALU_DEP_2)
	v_add_co_u32 v2, vcc_lo, v6, v2
	v_add_co_ci_u32_e32 v3, vcc_lo, v7, v3, vcc_lo
	global_load_b32 v4, v[2:3], off
	s_waitcnt vmcnt(0)
	v_fmac_f32_e32 v10, s12, v4
	global_store_b32 v[2:3], v10, off
.LBB7_56:
	s_cbranch_execz .LBB7_59
.LBB7_57:
	s_nop 0
	s_sendmsg sendmsg(MSG_DEALLOC_VGPRS)
	s_endpgm
.LBB7_58:
.LBB7_59:
	v_mul_f32_e32 v2, s6, v5
	s_and_not1_b32 vcc_lo, exec_lo, s1
	s_mov_b32 s0, -1
	s_cbranch_vccnz .LBB7_61
; %bb.60:
	v_lshlrev_b64 v[3:4], 2, v[0:1]
	s_mov_b32 s0, 0
	s_delay_alu instid0(VALU_DEP_1) | instskip(NEXT) | instid1(VALU_DEP_2)
	v_add_co_u32 v3, vcc_lo, v8, v3
	v_add_co_ci_u32_e32 v4, vcc_lo, v9, v4, vcc_lo
	global_store_b32 v[3:4], v2, off
.LBB7_61:
	s_and_not1_b32 vcc_lo, exec_lo, s0
	s_cbranch_vccnz .LBB7_57
; %bb.62:
	v_mul_lo_u32 v1, v1, s2
	v_mul_lo_u32 v5, v0, s3
	v_mad_u64_u32 v[3:4], null, v0, s2, 0
	s_delay_alu instid0(VALU_DEP_1) | instskip(NEXT) | instid1(VALU_DEP_1)
	v_add3_u32 v4, v4, v5, v1
	v_lshlrev_b64 v[0:1], 2, v[3:4]
	s_delay_alu instid0(VALU_DEP_1) | instskip(NEXT) | instid1(VALU_DEP_2)
	v_add_co_u32 v0, vcc_lo, v6, v0
	v_add_co_ci_u32_e32 v1, vcc_lo, v7, v1, vcc_lo
	global_store_b32 v[0:1], v2, off
	s_nop 0
	s_sendmsg sendmsg(MSG_DEALLOC_VGPRS)
	s_endpgm
	.section	.rodata,"a",@progbits
	.p2align	6, 0x0
	.amdhsa_kernel _ZN9rocsparseL31bsrmm_large_blockdim_kernel_extILj32ELj32ELj2EliffffEEvb20rocsparse_direction_T3_S2_llNS_24const_host_device_scalarIT7_EEPKT2_PKS2_PKT4_S2_PKT5_llS5_PT6_ll16rocsparse_order_21rocsparse_index_base_b
		.amdhsa_group_segment_fixed_size 12288
		.amdhsa_private_segment_fixed_size 0
		.amdhsa_kernarg_size 140
		.amdhsa_user_sgpr_count 14
		.amdhsa_user_sgpr_dispatch_ptr 0
		.amdhsa_user_sgpr_queue_ptr 0
		.amdhsa_user_sgpr_kernarg_segment_ptr 1
		.amdhsa_user_sgpr_dispatch_id 0
		.amdhsa_user_sgpr_private_segment_size 0
		.amdhsa_wavefront_size32 1
		.amdhsa_uses_dynamic_stack 0
		.amdhsa_enable_private_segment 0
		.amdhsa_system_sgpr_workgroup_id_x 1
		.amdhsa_system_sgpr_workgroup_id_y 1
		.amdhsa_system_sgpr_workgroup_id_z 0
		.amdhsa_system_sgpr_workgroup_info 0
		.amdhsa_system_vgpr_workitem_id 1
		.amdhsa_next_free_vgpr 38
		.amdhsa_next_free_sgpr 37
		.amdhsa_reserve_vcc 1
		.amdhsa_float_round_mode_32 0
		.amdhsa_float_round_mode_16_64 0
		.amdhsa_float_denorm_mode_32 3
		.amdhsa_float_denorm_mode_16_64 3
		.amdhsa_dx10_clamp 1
		.amdhsa_ieee_mode 1
		.amdhsa_fp16_overflow 0
		.amdhsa_workgroup_processor_mode 1
		.amdhsa_memory_ordered 1
		.amdhsa_forward_progress 0
		.amdhsa_shared_vgpr_count 0
		.amdhsa_exception_fp_ieee_invalid_op 0
		.amdhsa_exception_fp_denorm_src 0
		.amdhsa_exception_fp_ieee_div_zero 0
		.amdhsa_exception_fp_ieee_overflow 0
		.amdhsa_exception_fp_ieee_underflow 0
		.amdhsa_exception_fp_ieee_inexact 0
		.amdhsa_exception_int_div_zero 0
	.end_amdhsa_kernel
	.section	.text._ZN9rocsparseL31bsrmm_large_blockdim_kernel_extILj32ELj32ELj2EliffffEEvb20rocsparse_direction_T3_S2_llNS_24const_host_device_scalarIT7_EEPKT2_PKS2_PKT4_S2_PKT5_llS5_PT6_ll16rocsparse_order_21rocsparse_index_base_b,"axG",@progbits,_ZN9rocsparseL31bsrmm_large_blockdim_kernel_extILj32ELj32ELj2EliffffEEvb20rocsparse_direction_T3_S2_llNS_24const_host_device_scalarIT7_EEPKT2_PKS2_PKT4_S2_PKT5_llS5_PT6_ll16rocsparse_order_21rocsparse_index_base_b,comdat
.Lfunc_end7:
	.size	_ZN9rocsparseL31bsrmm_large_blockdim_kernel_extILj32ELj32ELj2EliffffEEvb20rocsparse_direction_T3_S2_llNS_24const_host_device_scalarIT7_EEPKT2_PKS2_PKT4_S2_PKT5_llS5_PT6_ll16rocsparse_order_21rocsparse_index_base_b, .Lfunc_end7-_ZN9rocsparseL31bsrmm_large_blockdim_kernel_extILj32ELj32ELj2EliffffEEvb20rocsparse_direction_T3_S2_llNS_24const_host_device_scalarIT7_EEPKT2_PKS2_PKT4_S2_PKT5_llS5_PT6_ll16rocsparse_order_21rocsparse_index_base_b
                                        ; -- End function
	.section	.AMDGPU.csdata,"",@progbits
; Kernel info:
; codeLenInByte = 2508
; NumSgprs: 39
; NumVgprs: 38
; ScratchSize: 0
; MemoryBound: 0
; FloatMode: 240
; IeeeMode: 1
; LDSByteSize: 12288 bytes/workgroup (compile time only)
; SGPRBlocks: 4
; VGPRBlocks: 4
; NumSGPRsForWavesPerEU: 39
; NumVGPRsForWavesPerEU: 38
; Occupancy: 16
; WaveLimiterHint : 1
; COMPUTE_PGM_RSRC2:SCRATCH_EN: 0
; COMPUTE_PGM_RSRC2:USER_SGPR: 14
; COMPUTE_PGM_RSRC2:TRAP_HANDLER: 0
; COMPUTE_PGM_RSRC2:TGID_X_EN: 1
; COMPUTE_PGM_RSRC2:TGID_Y_EN: 1
; COMPUTE_PGM_RSRC2:TGID_Z_EN: 0
; COMPUTE_PGM_RSRC2:TIDIG_COMP_CNT: 1
	.section	.text._ZN9rocsparseL31bsrmm_large_blockdim_kernel_extILj8ELj8ELj2EllffffEEvb20rocsparse_direction_T3_S2_llNS_24const_host_device_scalarIT7_EEPKT2_PKS2_PKT4_S2_PKT5_llS5_PT6_ll16rocsparse_order_21rocsparse_index_base_b,"axG",@progbits,_ZN9rocsparseL31bsrmm_large_blockdim_kernel_extILj8ELj8ELj2EllffffEEvb20rocsparse_direction_T3_S2_llNS_24const_host_device_scalarIT7_EEPKT2_PKS2_PKT4_S2_PKT5_llS5_PT6_ll16rocsparse_order_21rocsparse_index_base_b,comdat
	.globl	_ZN9rocsparseL31bsrmm_large_blockdim_kernel_extILj8ELj8ELj2EllffffEEvb20rocsparse_direction_T3_S2_llNS_24const_host_device_scalarIT7_EEPKT2_PKS2_PKT4_S2_PKT5_llS5_PT6_ll16rocsparse_order_21rocsparse_index_base_b ; -- Begin function _ZN9rocsparseL31bsrmm_large_blockdim_kernel_extILj8ELj8ELj2EllffffEEvb20rocsparse_direction_T3_S2_llNS_24const_host_device_scalarIT7_EEPKT2_PKS2_PKT4_S2_PKT5_llS5_PT6_ll16rocsparse_order_21rocsparse_index_base_b
	.p2align	8
	.type	_ZN9rocsparseL31bsrmm_large_blockdim_kernel_extILj8ELj8ELj2EllffffEEvb20rocsparse_direction_T3_S2_llNS_24const_host_device_scalarIT7_EEPKT2_PKS2_PKT4_S2_PKT5_llS5_PT6_ll16rocsparse_order_21rocsparse_index_base_b,@function
_ZN9rocsparseL31bsrmm_large_blockdim_kernel_extILj8ELj8ELj2EllffffEEvb20rocsparse_direction_T3_S2_llNS_24const_host_device_scalarIT7_EEPKT2_PKS2_PKT4_S2_PKT5_llS5_PT6_ll16rocsparse_order_21rocsparse_index_base_b: ; @_ZN9rocsparseL31bsrmm_large_blockdim_kernel_extILj8ELj8ELj2EllffffEEvb20rocsparse_direction_T3_S2_llNS_24const_host_device_scalarIT7_EEPKT2_PKS2_PKT4_S2_PKT5_llS5_PT6_ll16rocsparse_order_21rocsparse_index_base_b
; %bb.0:
	s_clause 0x2
	s_load_b128 s[8:11], s[0:1], 0x88
	s_load_b64 s[12:13], s[0:1], 0x28
	s_load_b64 s[24:25], s[0:1], 0x68
	s_mov_b32 s2, s15
	s_waitcnt lgkmcnt(0)
	s_bitcmp1_b32 s10, 0
	s_cselect_b32 s3, -1, 0
	s_delay_alu instid0(SALU_CYCLE_1)
	s_and_b32 vcc_lo, exec_lo, s3
	s_xor_b32 s3, s3, -1
	s_cbranch_vccnz .LBB8_2
; %bb.1:
	s_load_b32 s12, s[12:13], 0x0
.LBB8_2:
	s_and_not1_b32 vcc_lo, exec_lo, s3
	s_cbranch_vccnz .LBB8_4
; %bb.3:
	s_load_b32 s24, s[24:25], 0x0
.LBB8_4:
	s_waitcnt lgkmcnt(0)
	v_cmp_eq_f32_e64 s3, s12, 0
	v_cmp_eq_f32_e64 s4, s24, 1.0
	s_delay_alu instid0(VALU_DEP_1) | instskip(NEXT) | instid1(SALU_CYCLE_1)
	s_and_b32 s3, s3, s4
	s_and_b32 vcc_lo, exec_lo, s3
	s_cbranch_vccnz .LBB8_57
; %bb.5:
	s_clause 0x1
	s_load_b128 s[4:7], s[0:1], 0x8
	s_load_b64 s[10:11], s[0:1], 0x30
	s_ashr_i32 s15, s14, 31
	s_mov_b64 s[26:27], 0
	s_mov_b64 s[28:29], 0
	s_waitcnt lgkmcnt(0)
	v_cmp_ge_i64_e64 s3, s[14:15], s[4:5]
	v_cmp_lt_i64_e64 s13, s[14:15], s[4:5]
	s_delay_alu instid0(VALU_DEP_2)
	s_and_b32 vcc_lo, exec_lo, s3
	s_cbranch_vccnz .LBB8_7
; %bb.6:
	s_lshl_b64 s[4:5], s[14:15], 3
	s_delay_alu instid0(SALU_CYCLE_1)
	s_add_u32 s4, s10, s4
	s_addc_u32 s5, s11, s5
	s_load_b64 s[4:5], s[4:5], 0x0
	s_waitcnt lgkmcnt(0)
	s_sub_u32 s28, s4, s9
	s_subb_u32 s29, s5, 0
.LBB8_7:
	s_delay_alu instid0(VALU_DEP_1)
	s_and_not1_b32 vcc_lo, exec_lo, s13
	s_cbranch_vccnz .LBB8_9
; %bb.8:
	s_lshl_b64 s[4:5], s[14:15], 3
	s_delay_alu instid0(SALU_CYCLE_1)
	s_add_u32 s4, s10, s4
	s_addc_u32 s5, s11, s5
	s_load_b64 s[4:5], s[4:5], 0x8
	s_waitcnt lgkmcnt(0)
	s_sub_u32 s26, s4, s9
	s_subb_u32 s27, s5, 0
.LBB8_9:
	s_clause 0x1
	s_load_b64 s[30:31], s[0:1], 0x48
	s_load_b64 s[10:11], s[0:1], 0x70
	v_bfe_u32 v8, v0, 10, 10
	v_dual_mov_b32 v3, 0 :: v_dual_and_b32 v6, 0x3ff, v0
	s_mov_b32 s36, 0
	s_delay_alu instid0(VALU_DEP_2) | instskip(SKIP_1) | instid1(VALU_DEP_3)
	v_lshl_add_u32 v2, s2, 4, v8
	v_cmp_ge_i64_e64 s2, s[28:29], s[26:27]
	v_mov_b32_e32 v1, v3
	s_mov_b32 s37, s36
	v_dual_mov_b32 v7, v3 :: v_dual_mov_b32 v4, s36
	v_add_nc_u32_e32 v0, 8, v2
	s_delay_alu instid0(VALU_DEP_4) | instskip(SKIP_2) | instid1(VALU_DEP_3)
	s_and_b32 vcc_lo, exec_lo, s2
	v_cmp_gt_i64_e64 s3, s[6:7], v[2:3]
	v_mov_b32_e32 v5, s37
	v_cmp_gt_i64_e64 s4, s[6:7], v[0:1]
	s_waitcnt lgkmcnt(0)
	v_cmp_gt_i64_e64 s2, s[30:31], v[6:7]
	s_cbranch_vccnz .LBB8_37
; %bb.10:
	v_mad_u64_u32 v[4:5], null, v8, s30, 0
	s_clause 0x2
	s_load_b64 s[34:35], s[0:1], 0x0
	s_load_b128 s[16:19], s[0:1], 0x38
	s_load_b128 s[20:23], s[0:1], 0x50
	v_mad_u64_u32 v[10:11], null, v6, s30, 0
	v_dual_mov_b32 v9, v3 :: v_dual_lshlrev_b32 v14, 2, v6
	v_lshl_add_u32 v20, v6, 3, v8
	v_mad_u64_u32 v[12:13], null, v8, s31, v[5:6]
	s_delay_alu instid0(VALU_DEP_3)
	v_cmp_gt_i64_e32 vcc_lo, s[30:31], v[8:9]
	v_mov_b32_e32 v9, v11
	s_mul_i32 s5, s30, s31
	s_mul_hi_u32 s25, s30, s30
	v_lshl_add_u32 v23, v6, 5, 0x200
	s_add_i32 s25, s25, s5
	s_delay_alu instid0(VALU_DEP_4) | instskip(SKIP_2) | instid1(VALU_DEP_2)
	v_dual_mov_b32 v5, v12 :: v_dual_lshlrev_b32 v22, 2, v8
	v_mad_u64_u32 v[11:12], null, v6, s31, v[9:10]
	s_and_b32 s33, s2, vcc_lo
	v_lshlrev_b64 v[4:5], 2, v[4:5]
	s_waitcnt lgkmcnt(0)
	v_mad_u64_u32 v[12:13], null, v0, s22, 0
	s_add_i32 s25, s25, s5
	s_bitcmp1_b32 s34, 0
	v_add_co_u32 v16, s34, s20, v14
	v_add_co_u32 v15, vcc_lo, s18, v4
	v_add_co_ci_u32_e32 v18, vcc_lo, s19, v5, vcc_lo
	v_lshlrev_b64 v[4:5], 2, v[10:11]
	s_delay_alu instid0(VALU_DEP_3) | instskip(SKIP_1) | instid1(VALU_DEP_4)
	v_add_co_u32 v11, vcc_lo, v15, v14
	v_mad_u64_u32 v[9:10], null, v2, s22, 0
	v_add_co_ci_u32_e32 v21, vcc_lo, 0, v18, vcc_lo
	v_lshl_add_u32 v18, v20, 2, 0x200
	v_add_co_u32 v20, vcc_lo, s18, v4
	v_add_co_ci_u32_e32 v5, vcc_lo, s19, v5, vcc_lo
	v_mov_b32_e32 v4, v13
	v_mad_u64_u32 v[13:14], null, v2, s23, v[10:11]
	v_cmp_gt_i64_e64 s18, s[30:31], 0
	s_cselect_b32 s5, -1, 0
	s_delay_alu instid0(VALU_DEP_3)
	v_mad_u64_u32 v[14:15], null, v0, s23, v[4:5]
	v_add_co_u32 v4, vcc_lo, v20, v22
	s_cmp_eq_u32 s35, 0
	v_add_co_ci_u32_e32 v5, vcc_lo, 0, v5, vcc_lo
	v_dual_mov_b32 v10, v13 :: v_dual_lshlrev_b32 v19, 3, v8
	s_cselect_b32 vcc_lo, -1, 0
	s_delay_alu instid0(VALU_DEP_2)
	v_dual_mov_b32 v13, v14 :: v_dual_cndmask_b32 v20, v21, v5
	s_and_b32 s38, s3, s18
	s_and_b32 s39, s4, s18
	v_lshlrev_b32_e32 v22, 5, v8
	s_add_u32 s40, s30, -1
	s_addc_u32 s41, s31, -1
	v_cndmask_b32_e32 v21, v11, v4, vcc_lo
	s_and_b32 s18, s30, 7
	s_mov_b32 s19, s36
	v_mov_b32_e32 v4, s36
	v_lshlrev_b64 v[8:9], 2, v[9:10]
	v_lshlrev_b64 v[10:11], 2, v[2:3]
	;; [unrolled: 1-line block ×4, first 2 shown]
	v_cmp_gt_u64_e64 s40, s[40:41], 6
	v_add_co_ci_u32_e64 v17, null, s21, 0, s34
	v_add_lshl_u32 v19, v19, v6, 2
	s_and_b32 s35, s31, 0x7fffffff
	s_and_b32 s34, s30, -8
	v_dual_mov_b32 v5, s37 :: v_dual_add_nc_u32 v24, 0x100, v22
	s_cmp_lg_u64 s[18:19], 0
	s_mul_i32 s15, s30, s30
	s_cselect_b32 s41, -1, 0
	s_branch .LBB8_13
.LBB8_11:                               ;   in Loop: Header=BB8_13 Depth=1
	s_or_b32 exec_lo, exec_lo, s43
.LBB8_12:                               ;   in Loop: Header=BB8_13 Depth=1
	s_delay_alu instid0(SALU_CYCLE_1) | instskip(SKIP_2) | instid1(SALU_CYCLE_1)
	s_or_b32 exec_lo, exec_lo, s42
	s_add_u32 s28, s28, 1
	s_addc_u32 s29, s29, 0
	v_cmp_ge_i64_e64 s36, s[28:29], s[26:27]
	s_barrier
	buffer_gl0_inv
	s_and_b32 vcc_lo, exec_lo, s36
	s_cbranch_vccnz .LBB8_37
.LBB8_13:                               ; =>This Loop Header: Depth=1
                                        ;     Child Loop BB8_24 Depth 2
                                        ;     Child Loop BB8_28 Depth 2
	;; [unrolled: 1-line block ×4, first 2 shown]
	s_and_saveexec_b32 s36, s2
	s_cbranch_execz .LBB8_18
; %bb.14:                               ;   in Loop: Header=BB8_13 Depth=1
	s_lshl_b64 s[42:43], s[28:29], 3
	s_delay_alu instid0(SALU_CYCLE_1)
	s_add_u32 s42, s16, s42
	s_addc_u32 s43, s17, s43
	s_load_b64 s[42:43], s[42:43], 0x0
	s_waitcnt lgkmcnt(0)
	s_sub_u32 s37, s42, s9
	s_subb_u32 s42, s43, 0
	s_mul_i32 s43, s37, s31
	s_mul_hi_u32 s44, s37, s30
	s_mul_i32 s45, s42, s30
	s_add_i32 s43, s44, s43
	s_mul_i32 s42, s37, s30
	s_add_i32 s43, s43, s45
	v_add_co_u32 v27, s37, s42, v6
	s_delay_alu instid0(VALU_DEP_1) | instskip(SKIP_1) | instid1(VALU_DEP_2)
	v_add_co_ci_u32_e64 v28, null, s43, 0, s37
	s_lshl_b64 s[42:43], s[42:43], 2
	v_mul_lo_u32 v29, v27, s23
	v_mad_u64_u32 v[25:26], null, v27, s22, 0
	s_delay_alu instid0(VALU_DEP_3) | instskip(NEXT) | instid1(VALU_DEP_1)
	v_mul_lo_u32 v27, v28, s22
	v_add3_u32 v26, v26, v29, v27
	s_delay_alu instid0(VALU_DEP_1) | instskip(NEXT) | instid1(VALU_DEP_1)
	v_lshlrev_b64 v[25:26], 2, v[25:26]
	v_add_co_u32 v25, vcc_lo, s20, v25
	s_delay_alu instid0(VALU_DEP_2)
	v_add_co_ci_u32_e32 v26, vcc_lo, s21, v26, vcc_lo
	v_add_co_u32 v27, vcc_lo, v16, s42
	v_add_co_ci_u32_e32 v28, vcc_lo, s43, v17, vcc_lo
	s_and_saveexec_b32 s37, s3
	s_cbranch_execz .LBB8_16
; %bb.15:                               ;   in Loop: Header=BB8_13 Depth=1
	s_delay_alu instid0(VALU_DEP_2) | instskip(NEXT) | instid1(VALU_DEP_2)
	v_add_co_u32 v29, vcc_lo, v27, v8
	v_add_co_ci_u32_e32 v30, vcc_lo, v28, v9, vcc_lo
	v_add_co_u32 v31, vcc_lo, v25, v10
	v_add_co_ci_u32_e32 v32, vcc_lo, v26, v11, vcc_lo
	s_delay_alu instid0(VALU_DEP_2) | instskip(NEXT) | instid1(VALU_DEP_2)
	v_cndmask_b32_e64 v29, v31, v29, s5
	v_cndmask_b32_e64 v30, v32, v30, s5
	global_load_b32 v29, v[29:30], off
	s_waitcnt vmcnt(0)
	ds_store_b32 v19, v29
.LBB8_16:                               ;   in Loop: Header=BB8_13 Depth=1
	s_or_b32 exec_lo, exec_lo, s37
	s_delay_alu instid0(SALU_CYCLE_1)
	s_and_b32 exec_lo, exec_lo, s4
	s_cbranch_execz .LBB8_18
; %bb.17:                               ;   in Loop: Header=BB8_13 Depth=1
	v_add_co_u32 v27, vcc_lo, v27, v12
	v_add_co_ci_u32_e32 v28, vcc_lo, v28, v13, vcc_lo
	v_add_co_u32 v25, vcc_lo, v25, v14
	v_add_co_ci_u32_e32 v26, vcc_lo, v26, v15, vcc_lo
	s_delay_alu instid0(VALU_DEP_2) | instskip(NEXT) | instid1(VALU_DEP_2)
	v_cndmask_b32_e64 v25, v25, v27, s5
	v_cndmask_b32_e64 v26, v26, v28, s5
	global_load_b32 v25, v[25:26], off
	s_waitcnt vmcnt(0)
	ds_store_b32 v19, v25 offset:256
.LBB8_18:                               ;   in Loop: Header=BB8_13 Depth=1
	s_or_b32 exec_lo, exec_lo, s36
	s_and_saveexec_b32 s36, s33
	s_cbranch_execz .LBB8_20
; %bb.19:                               ;   in Loop: Header=BB8_13 Depth=1
	s_mul_i32 s37, s15, s29
	s_mul_hi_u32 s42, s15, s28
	s_mul_i32 s43, s25, s28
	s_add_i32 s37, s42, s37
	s_mul_i32 s42, s15, s28
	s_add_i32 s43, s37, s43
	s_delay_alu instid0(SALU_CYCLE_1) | instskip(NEXT) | instid1(SALU_CYCLE_1)
	s_lshl_b64 s[42:43], s[42:43], 2
	v_add_co_u32 v25, vcc_lo, v21, s42
	v_add_co_ci_u32_e32 v26, vcc_lo, s43, v20, vcc_lo
	global_load_b32 v25, v[25:26], off
	s_waitcnt vmcnt(0)
	ds_store_b32 v18, v25
.LBB8_20:                               ;   in Loop: Header=BB8_13 Depth=1
	s_or_b32 exec_lo, exec_lo, s36
	s_waitcnt lgkmcnt(0)
	s_barrier
	buffer_gl0_inv
	s_and_saveexec_b32 s42, s2
	s_cbranch_execz .LBB8_12
; %bb.21:                               ;   in Loop: Header=BB8_13 Depth=1
	s_and_saveexec_b32 s43, s38
	s_cbranch_execz .LBB8_29
; %bb.22:                               ;   in Loop: Header=BB8_13 Depth=1
	s_and_not1_b32 vcc_lo, exec_lo, s40
	s_cbranch_vccnz .LBB8_26
; %bb.23:                               ;   in Loop: Header=BB8_13 Depth=1
	v_dual_mov_b32 v25, v23 :: v_dual_mov_b32 v26, v22
	s_mov_b64 s[36:37], 0
	.p2align	6
.LBB8_24:                               ;   Parent Loop BB8_13 Depth=1
                                        ; =>  This Inner Loop Header: Depth=2
	ds_load_b128 v[27:30], v26
	ds_load_b128 v[31:34], v25
	ds_load_b128 v[35:38], v25 offset:16
	ds_load_b128 v[39:42], v26 offset:16
	s_add_u32 s36, s36, 8
	v_add_nc_u32_e32 v26, 32, v26
	s_addc_u32 s37, s37, 0
	v_add_nc_u32_e32 v25, 32, v25
	s_cmp_lg_u64 s[34:35], s[36:37]
	s_waitcnt lgkmcnt(2)
	v_fma_f32 v4, v31, v27, v4
	s_delay_alu instid0(VALU_DEP_1) | instskip(NEXT) | instid1(VALU_DEP_1)
	v_fmac_f32_e32 v4, v32, v28
	v_fmac_f32_e32 v4, v33, v29
	s_delay_alu instid0(VALU_DEP_1) | instskip(SKIP_1) | instid1(VALU_DEP_1)
	v_fmac_f32_e32 v4, v34, v30
	s_waitcnt lgkmcnt(0)
	v_fmac_f32_e32 v4, v35, v39
	s_delay_alu instid0(VALU_DEP_1) | instskip(NEXT) | instid1(VALU_DEP_1)
	v_fmac_f32_e32 v4, v36, v40
	v_fmac_f32_e32 v4, v37, v41
	s_delay_alu instid0(VALU_DEP_1)
	v_fmac_f32_e32 v4, v38, v42
	s_cbranch_scc1 .LBB8_24
; %bb.25:                               ;   in Loop: Header=BB8_13 Depth=1
	s_mov_b64 s[36:37], s[34:35]
	s_and_not1_b32 vcc_lo, exec_lo, s41
	s_cbranch_vccz .LBB8_27
	s_branch .LBB8_29
.LBB8_26:                               ;   in Loop: Header=BB8_13 Depth=1
	s_mov_b64 s[36:37], 0
	s_and_not1_b32 vcc_lo, exec_lo, s41
	s_cbranch_vccnz .LBB8_29
.LBB8_27:                               ;   in Loop: Header=BB8_13 Depth=1
	s_lshl_b32 s36, s36, 2
	s_delay_alu instid0(SALU_CYCLE_1)
	v_add_nc_u32_e32 v25, s36, v22
	v_add_nc_u32_e32 v26, s36, v23
	s_mov_b64 s[36:37], s[18:19]
.LBB8_28:                               ;   Parent Loop BB8_13 Depth=1
                                        ; =>  This Inner Loop Header: Depth=2
	ds_load_b32 v27, v26
	ds_load_b32 v28, v25
	v_add_nc_u32_e32 v25, 4, v25
	v_add_nc_u32_e32 v26, 4, v26
	s_add_u32 s36, s36, -1
	s_addc_u32 s37, s37, -1
	s_delay_alu instid0(SALU_CYCLE_1)
	s_cmp_lg_u64 s[36:37], 0
	s_waitcnt lgkmcnt(0)
	v_fma_f32 v4, v27, v28, v4
	s_cbranch_scc1 .LBB8_28
.LBB8_29:                               ;   in Loop: Header=BB8_13 Depth=1
	s_or_b32 exec_lo, exec_lo, s43
	s_and_saveexec_b32 s43, s39
	s_cbranch_execz .LBB8_11
; %bb.30:                               ;   in Loop: Header=BB8_13 Depth=1
	s_and_not1_b32 vcc_lo, exec_lo, s40
	s_cbranch_vccnz .LBB8_34
; %bb.31:                               ;   in Loop: Header=BB8_13 Depth=1
	v_dual_mov_b32 v25, v23 :: v_dual_mov_b32 v26, v24
	s_mov_b64 s[36:37], 0
	.p2align	6
.LBB8_32:                               ;   Parent Loop BB8_13 Depth=1
                                        ; =>  This Inner Loop Header: Depth=2
	ds_load_b128 v[27:30], v26
	ds_load_b128 v[31:34], v25
	ds_load_b128 v[35:38], v25 offset:16
	ds_load_b128 v[39:42], v26 offset:16
	s_add_u32 s36, s36, 8
	v_add_nc_u32_e32 v25, 32, v25
	s_addc_u32 s37, s37, 0
	v_add_nc_u32_e32 v26, 32, v26
	s_cmp_lg_u64 s[34:35], s[36:37]
	s_waitcnt lgkmcnt(2)
	v_fma_f32 v5, v31, v27, v5
	s_delay_alu instid0(VALU_DEP_1) | instskip(NEXT) | instid1(VALU_DEP_1)
	v_fmac_f32_e32 v5, v32, v28
	v_fmac_f32_e32 v5, v33, v29
	s_delay_alu instid0(VALU_DEP_1) | instskip(SKIP_1) | instid1(VALU_DEP_1)
	v_fmac_f32_e32 v5, v34, v30
	s_waitcnt lgkmcnt(0)
	v_fmac_f32_e32 v5, v35, v39
	s_delay_alu instid0(VALU_DEP_1) | instskip(NEXT) | instid1(VALU_DEP_1)
	v_fmac_f32_e32 v5, v36, v40
	v_fmac_f32_e32 v5, v37, v41
	s_delay_alu instid0(VALU_DEP_1)
	v_fmac_f32_e32 v5, v38, v42
	s_cbranch_scc1 .LBB8_32
; %bb.33:                               ;   in Loop: Header=BB8_13 Depth=1
	s_mov_b64 s[36:37], s[34:35]
	s_and_not1_b32 vcc_lo, exec_lo, s41
	s_cbranch_vccz .LBB8_35
	s_branch .LBB8_11
.LBB8_34:                               ;   in Loop: Header=BB8_13 Depth=1
	s_mov_b64 s[36:37], 0
	s_and_not1_b32 vcc_lo, exec_lo, s41
	s_cbranch_vccnz .LBB8_11
.LBB8_35:                               ;   in Loop: Header=BB8_13 Depth=1
	s_lshl_b32 s36, s36, 2
	s_delay_alu instid0(SALU_CYCLE_1)
	v_add_nc_u32_e32 v25, s36, v24
	v_add_nc_u32_e32 v26, s36, v23
	s_mov_b64 s[36:37], s[18:19]
.LBB8_36:                               ;   Parent Loop BB8_13 Depth=1
                                        ; =>  This Inner Loop Header: Depth=2
	ds_load_b32 v27, v26
	ds_load_b32 v28, v25
	v_add_nc_u32_e32 v25, 4, v25
	v_add_nc_u32_e32 v26, 4, v26
	s_add_u32 s36, s36, -1
	s_addc_u32 s37, s37, -1
	s_delay_alu instid0(SALU_CYCLE_1)
	s_cmp_lg_u64 s[36:37], 0
	s_waitcnt lgkmcnt(0)
	v_fma_f32 v5, v27, v28, v5
	s_cbranch_scc1 .LBB8_36
	s_branch .LBB8_11
.LBB8_37:
	s_delay_alu instid0(VALU_DEP_1) | instskip(NEXT) | instid1(SALU_CYCLE_1)
	s_and_b32 s2, s13, s2
	s_and_saveexec_b32 s3, s2
	s_cbranch_execz .LBB8_57
; %bb.38:
	v_mad_u64_u32 v[8:9], null, s14, s30, v[6:7]
	s_load_b64 s[2:3], s[0:1], 0x78
	v_cmp_neq_f32_e64 s4, s24, 0
	s_cmp_lg_u32 s8, 1
	s_cselect_b32 s1, -1, 0
	s_delay_alu instid0(VALU_DEP_2) | instskip(NEXT) | instid1(VALU_DEP_1)
	v_mov_b32_e32 v6, v9
	v_mad_u64_u32 v[9:10], null, s14, s31, v[6:7]
	s_waitcnt lgkmcnt(0)
	v_mul_lo_u32 v10, v8, s3
	v_mad_u64_u32 v[6:7], null, v8, s2, 0
	s_delay_alu instid0(VALU_DEP_3) | instskip(NEXT) | instid1(VALU_DEP_1)
	v_mul_lo_u32 v11, v9, s2
	v_add3_u32 v7, v7, v10, v11
	v_lshlrev_b64 v[10:11], 2, v[8:9]
	s_delay_alu instid0(VALU_DEP_2) | instskip(NEXT) | instid1(VALU_DEP_1)
	v_lshlrev_b64 v[6:7], 2, v[6:7]
	v_add_co_u32 v8, s0, s10, v6
	s_delay_alu instid0(VALU_DEP_1) | instskip(NEXT) | instid1(VALU_DEP_4)
	v_add_co_ci_u32_e64 v9, s0, s11, v7, s0
	v_add_co_u32 v6, s0, s10, v10
	s_delay_alu instid0(VALU_DEP_1)
	v_add_co_ci_u32_e64 v7, s0, s11, v11, s0
	s_mov_b32 s0, exec_lo
	v_cmpx_gt_i64_e64 s[6:7], v[2:3]
	s_cbranch_execz .LBB8_50
; %bb.39:
	s_and_b32 vcc_lo, exec_lo, s4
	s_cbranch_vccz .LBB8_45
; %bb.40:
	s_and_b32 vcc_lo, exec_lo, s1
	s_mov_b32 s5, -1
	s_cbranch_vccz .LBB8_42
; %bb.41:
	v_lshlrev_b64 v[10:11], 2, v[2:3]
	v_mul_f32_e32 v13, s12, v4
	s_mov_b32 s5, 0
	s_delay_alu instid0(VALU_DEP_2) | instskip(NEXT) | instid1(VALU_DEP_3)
	v_add_co_u32 v10, vcc_lo, v8, v10
	v_add_co_ci_u32_e32 v11, vcc_lo, v9, v11, vcc_lo
	global_load_b32 v12, v[10:11], off
	s_waitcnt vmcnt(0)
	v_fmac_f32_e32 v13, s24, v12
	global_store_b32 v[10:11], v13, off
.LBB8_42:
	s_and_not1_b32 vcc_lo, exec_lo, s5
	s_cbranch_vccnz .LBB8_44
; %bb.43:
	v_mad_u64_u32 v[10:11], null, v2, s2, 0
	s_delay_alu instid0(VALU_DEP_1) | instskip(SKIP_1) | instid1(VALU_DEP_2)
	v_mad_u64_u32 v[12:13], null, v2, s3, v[11:12]
	v_mul_f32_e32 v13, s12, v4
	v_mov_b32_e32 v11, v12
	s_delay_alu instid0(VALU_DEP_1) | instskip(NEXT) | instid1(VALU_DEP_1)
	v_lshlrev_b64 v[10:11], 2, v[10:11]
	v_add_co_u32 v10, vcc_lo, v6, v10
	s_delay_alu instid0(VALU_DEP_2)
	v_add_co_ci_u32_e32 v11, vcc_lo, v7, v11, vcc_lo
	global_load_b32 v12, v[10:11], off
	s_waitcnt vmcnt(0)
	v_fmac_f32_e32 v13, s24, v12
	global_store_b32 v[10:11], v13, off
.LBB8_44:
	s_cbranch_execz .LBB8_46
	s_branch .LBB8_50
.LBB8_45:
.LBB8_46:
	v_mul_f32_e32 v4, s12, v4
	s_and_b32 vcc_lo, exec_lo, s1
	s_mov_b32 s5, -1
	s_cbranch_vccz .LBB8_48
; %bb.47:
	v_lshlrev_b64 v[10:11], 2, v[2:3]
	s_mov_b32 s5, 0
	s_delay_alu instid0(VALU_DEP_1) | instskip(NEXT) | instid1(VALU_DEP_2)
	v_add_co_u32 v10, vcc_lo, v8, v10
	v_add_co_ci_u32_e32 v11, vcc_lo, v9, v11, vcc_lo
	global_store_b32 v[10:11], v4, off
.LBB8_48:
	s_and_not1_b32 vcc_lo, exec_lo, s5
	s_cbranch_vccnz .LBB8_50
; %bb.49:
	v_mad_u64_u32 v[10:11], null, v2, s2, 0
	s_delay_alu instid0(VALU_DEP_1) | instskip(NEXT) | instid1(VALU_DEP_1)
	v_mov_b32_e32 v3, v11
	v_mad_u64_u32 v[11:12], null, v2, s3, v[3:4]
	s_delay_alu instid0(VALU_DEP_1) | instskip(NEXT) | instid1(VALU_DEP_1)
	v_lshlrev_b64 v[2:3], 2, v[10:11]
	v_add_co_u32 v2, vcc_lo, v6, v2
	s_delay_alu instid0(VALU_DEP_2)
	v_add_co_ci_u32_e32 v3, vcc_lo, v7, v3, vcc_lo
	global_store_b32 v[2:3], v4, off
.LBB8_50:
	s_or_b32 exec_lo, exec_lo, s0
	v_cmp_gt_i64_e32 vcc_lo, s[6:7], v[0:1]
	s_and_b32 exec_lo, exec_lo, vcc_lo
	s_cbranch_execz .LBB8_57
; %bb.51:
	v_cndmask_b32_e64 v2, 0, 1, s1
	s_and_not1_b32 vcc_lo, exec_lo, s4
	s_delay_alu instid0(VALU_DEP_1)
	v_cmp_ne_u32_e64 s0, 1, v2
	s_cbranch_vccnz .LBB8_58
; %bb.52:
	s_delay_alu instid0(VALU_DEP_1)
	s_and_b32 vcc_lo, exec_lo, s0
	s_mov_b32 s0, -1
	s_cbranch_vccnz .LBB8_54
; %bb.53:
	v_lshlrev_b64 v[2:3], 2, v[0:1]
	v_mul_f32_e32 v10, s12, v5
	s_mov_b32 s0, 0
	s_delay_alu instid0(VALU_DEP_2) | instskip(NEXT) | instid1(VALU_DEP_3)
	v_add_co_u32 v2, vcc_lo, v8, v2
	v_add_co_ci_u32_e32 v3, vcc_lo, v9, v3, vcc_lo
	global_load_b32 v4, v[2:3], off
	s_waitcnt vmcnt(0)
	v_fmac_f32_e32 v10, s24, v4
	global_store_b32 v[2:3], v10, off
.LBB8_54:
	s_and_not1_b32 vcc_lo, exec_lo, s0
	s_cbranch_vccnz .LBB8_56
; %bb.55:
	v_mad_u64_u32 v[2:3], null, v0, s2, 0
	s_delay_alu instid0(VALU_DEP_1) | instskip(NEXT) | instid1(VALU_DEP_1)
	v_mad_u64_u32 v[10:11], null, v0, s3, v[3:4]
	v_dual_mov_b32 v3, v10 :: v_dual_mul_f32 v10, s12, v5
	s_delay_alu instid0(VALU_DEP_1) | instskip(NEXT) | instid1(VALU_DEP_1)
	v_lshlrev_b64 v[2:3], 2, v[2:3]
	v_add_co_u32 v2, vcc_lo, v6, v2
	s_delay_alu instid0(VALU_DEP_2)
	v_add_co_ci_u32_e32 v3, vcc_lo, v7, v3, vcc_lo
	global_load_b32 v4, v[2:3], off
	s_waitcnt vmcnt(0)
	v_fmac_f32_e32 v10, s24, v4
	global_store_b32 v[2:3], v10, off
.LBB8_56:
	s_cbranch_execz .LBB8_59
.LBB8_57:
	s_nop 0
	s_sendmsg sendmsg(MSG_DEALLOC_VGPRS)
	s_endpgm
.LBB8_58:
.LBB8_59:
	v_mul_f32_e32 v2, s12, v5
	s_and_not1_b32 vcc_lo, exec_lo, s1
	s_mov_b32 s0, -1
	s_cbranch_vccnz .LBB8_61
; %bb.60:
	v_lshlrev_b64 v[3:4], 2, v[0:1]
	s_mov_b32 s0, 0
	s_delay_alu instid0(VALU_DEP_1) | instskip(NEXT) | instid1(VALU_DEP_2)
	v_add_co_u32 v3, vcc_lo, v8, v3
	v_add_co_ci_u32_e32 v4, vcc_lo, v9, v4, vcc_lo
	global_store_b32 v[3:4], v2, off
.LBB8_61:
	s_and_not1_b32 vcc_lo, exec_lo, s0
	s_cbranch_vccnz .LBB8_57
; %bb.62:
	v_mad_u64_u32 v[3:4], null, v0, s2, 0
	s_delay_alu instid0(VALU_DEP_1) | instskip(NEXT) | instid1(VALU_DEP_1)
	v_mov_b32_e32 v1, v4
	v_mad_u64_u32 v[4:5], null, v0, s3, v[1:2]
	s_delay_alu instid0(VALU_DEP_1) | instskip(NEXT) | instid1(VALU_DEP_1)
	v_lshlrev_b64 v[0:1], 2, v[3:4]
	v_add_co_u32 v0, vcc_lo, v6, v0
	s_delay_alu instid0(VALU_DEP_2)
	v_add_co_ci_u32_e32 v1, vcc_lo, v7, v1, vcc_lo
	global_store_b32 v[0:1], v2, off
	s_nop 0
	s_sendmsg sendmsg(MSG_DEALLOC_VGPRS)
	s_endpgm
	.section	.rodata,"a",@progbits
	.p2align	6, 0x0
	.amdhsa_kernel _ZN9rocsparseL31bsrmm_large_blockdim_kernel_extILj8ELj8ELj2EllffffEEvb20rocsparse_direction_T3_S2_llNS_24const_host_device_scalarIT7_EEPKT2_PKS2_PKT4_S2_PKT5_llS5_PT6_ll16rocsparse_order_21rocsparse_index_base_b
		.amdhsa_group_segment_fixed_size 768
		.amdhsa_private_segment_fixed_size 0
		.amdhsa_kernarg_size 148
		.amdhsa_user_sgpr_count 14
		.amdhsa_user_sgpr_dispatch_ptr 0
		.amdhsa_user_sgpr_queue_ptr 0
		.amdhsa_user_sgpr_kernarg_segment_ptr 1
		.amdhsa_user_sgpr_dispatch_id 0
		.amdhsa_user_sgpr_private_segment_size 0
		.amdhsa_wavefront_size32 1
		.amdhsa_uses_dynamic_stack 0
		.amdhsa_enable_private_segment 0
		.amdhsa_system_sgpr_workgroup_id_x 1
		.amdhsa_system_sgpr_workgroup_id_y 1
		.amdhsa_system_sgpr_workgroup_id_z 0
		.amdhsa_system_sgpr_workgroup_info 0
		.amdhsa_system_vgpr_workitem_id 1
		.amdhsa_next_free_vgpr 43
		.amdhsa_next_free_sgpr 46
		.amdhsa_reserve_vcc 1
		.amdhsa_float_round_mode_32 0
		.amdhsa_float_round_mode_16_64 0
		.amdhsa_float_denorm_mode_32 3
		.amdhsa_float_denorm_mode_16_64 3
		.amdhsa_dx10_clamp 1
		.amdhsa_ieee_mode 1
		.amdhsa_fp16_overflow 0
		.amdhsa_workgroup_processor_mode 1
		.amdhsa_memory_ordered 1
		.amdhsa_forward_progress 0
		.amdhsa_shared_vgpr_count 0
		.amdhsa_exception_fp_ieee_invalid_op 0
		.amdhsa_exception_fp_denorm_src 0
		.amdhsa_exception_fp_ieee_div_zero 0
		.amdhsa_exception_fp_ieee_overflow 0
		.amdhsa_exception_fp_ieee_underflow 0
		.amdhsa_exception_fp_ieee_inexact 0
		.amdhsa_exception_int_div_zero 0
	.end_amdhsa_kernel
	.section	.text._ZN9rocsparseL31bsrmm_large_blockdim_kernel_extILj8ELj8ELj2EllffffEEvb20rocsparse_direction_T3_S2_llNS_24const_host_device_scalarIT7_EEPKT2_PKS2_PKT4_S2_PKT5_llS5_PT6_ll16rocsparse_order_21rocsparse_index_base_b,"axG",@progbits,_ZN9rocsparseL31bsrmm_large_blockdim_kernel_extILj8ELj8ELj2EllffffEEvb20rocsparse_direction_T3_S2_llNS_24const_host_device_scalarIT7_EEPKT2_PKS2_PKT4_S2_PKT5_llS5_PT6_ll16rocsparse_order_21rocsparse_index_base_b,comdat
.Lfunc_end8:
	.size	_ZN9rocsparseL31bsrmm_large_blockdim_kernel_extILj8ELj8ELj2EllffffEEvb20rocsparse_direction_T3_S2_llNS_24const_host_device_scalarIT7_EEPKT2_PKS2_PKT4_S2_PKT5_llS5_PT6_ll16rocsparse_order_21rocsparse_index_base_b, .Lfunc_end8-_ZN9rocsparseL31bsrmm_large_blockdim_kernel_extILj8ELj8ELj2EllffffEEvb20rocsparse_direction_T3_S2_llNS_24const_host_device_scalarIT7_EEPKT2_PKS2_PKT4_S2_PKT5_llS5_PT6_ll16rocsparse_order_21rocsparse_index_base_b
                                        ; -- End function
	.section	.AMDGPU.csdata,"",@progbits
; Kernel info:
; codeLenInByte = 2640
; NumSgprs: 48
; NumVgprs: 43
; ScratchSize: 0
; MemoryBound: 0
; FloatMode: 240
; IeeeMode: 1
; LDSByteSize: 768 bytes/workgroup (compile time only)
; SGPRBlocks: 5
; VGPRBlocks: 5
; NumSGPRsForWavesPerEU: 48
; NumVGPRsForWavesPerEU: 43
; Occupancy: 16
; WaveLimiterHint : 1
; COMPUTE_PGM_RSRC2:SCRATCH_EN: 0
; COMPUTE_PGM_RSRC2:USER_SGPR: 14
; COMPUTE_PGM_RSRC2:TRAP_HANDLER: 0
; COMPUTE_PGM_RSRC2:TGID_X_EN: 1
; COMPUTE_PGM_RSRC2:TGID_Y_EN: 1
; COMPUTE_PGM_RSRC2:TGID_Z_EN: 0
; COMPUTE_PGM_RSRC2:TIDIG_COMP_CNT: 1
	.section	.text._ZN9rocsparseL31bsrmm_large_blockdim_kernel_extILj4ELj16ELj2EllffffEEvb20rocsparse_direction_T3_S2_llNS_24const_host_device_scalarIT7_EEPKT2_PKS2_PKT4_S2_PKT5_llS5_PT6_ll16rocsparse_order_21rocsparse_index_base_b,"axG",@progbits,_ZN9rocsparseL31bsrmm_large_blockdim_kernel_extILj4ELj16ELj2EllffffEEvb20rocsparse_direction_T3_S2_llNS_24const_host_device_scalarIT7_EEPKT2_PKS2_PKT4_S2_PKT5_llS5_PT6_ll16rocsparse_order_21rocsparse_index_base_b,comdat
	.globl	_ZN9rocsparseL31bsrmm_large_blockdim_kernel_extILj4ELj16ELj2EllffffEEvb20rocsparse_direction_T3_S2_llNS_24const_host_device_scalarIT7_EEPKT2_PKS2_PKT4_S2_PKT5_llS5_PT6_ll16rocsparse_order_21rocsparse_index_base_b ; -- Begin function _ZN9rocsparseL31bsrmm_large_blockdim_kernel_extILj4ELj16ELj2EllffffEEvb20rocsparse_direction_T3_S2_llNS_24const_host_device_scalarIT7_EEPKT2_PKS2_PKT4_S2_PKT5_llS5_PT6_ll16rocsparse_order_21rocsparse_index_base_b
	.p2align	8
	.type	_ZN9rocsparseL31bsrmm_large_blockdim_kernel_extILj4ELj16ELj2EllffffEEvb20rocsparse_direction_T3_S2_llNS_24const_host_device_scalarIT7_EEPKT2_PKS2_PKT4_S2_PKT5_llS5_PT6_ll16rocsparse_order_21rocsparse_index_base_b,@function
_ZN9rocsparseL31bsrmm_large_blockdim_kernel_extILj4ELj16ELj2EllffffEEvb20rocsparse_direction_T3_S2_llNS_24const_host_device_scalarIT7_EEPKT2_PKS2_PKT4_S2_PKT5_llS5_PT6_ll16rocsparse_order_21rocsparse_index_base_b: ; @_ZN9rocsparseL31bsrmm_large_blockdim_kernel_extILj4ELj16ELj2EllffffEEvb20rocsparse_direction_T3_S2_llNS_24const_host_device_scalarIT7_EEPKT2_PKS2_PKT4_S2_PKT5_llS5_PT6_ll16rocsparse_order_21rocsparse_index_base_b
; %bb.0:
	s_clause 0x2
	s_load_b128 s[8:11], s[0:1], 0x88
	s_load_b64 s[12:13], s[0:1], 0x28
	s_load_b64 s[24:25], s[0:1], 0x68
	s_mov_b32 s2, s15
	s_waitcnt lgkmcnt(0)
	s_bitcmp1_b32 s10, 0
	s_cselect_b32 s3, -1, 0
	s_delay_alu instid0(SALU_CYCLE_1)
	s_and_b32 vcc_lo, exec_lo, s3
	s_xor_b32 s3, s3, -1
	s_cbranch_vccnz .LBB9_2
; %bb.1:
	s_load_b32 s12, s[12:13], 0x0
.LBB9_2:
	s_and_not1_b32 vcc_lo, exec_lo, s3
	s_cbranch_vccnz .LBB9_4
; %bb.3:
	s_load_b32 s24, s[24:25], 0x0
.LBB9_4:
	s_waitcnt lgkmcnt(0)
	v_cmp_eq_f32_e64 s3, s12, 0
	v_cmp_eq_f32_e64 s4, s24, 1.0
	s_delay_alu instid0(VALU_DEP_1) | instskip(NEXT) | instid1(SALU_CYCLE_1)
	s_and_b32 s3, s3, s4
	s_and_b32 vcc_lo, exec_lo, s3
	s_cbranch_vccnz .LBB9_57
; %bb.5:
	s_clause 0x1
	s_load_b128 s[4:7], s[0:1], 0x8
	s_load_b64 s[10:11], s[0:1], 0x30
	s_ashr_i32 s15, s14, 31
	s_mov_b64 s[26:27], 0
	s_mov_b64 s[28:29], 0
	s_waitcnt lgkmcnt(0)
	v_cmp_ge_i64_e64 s3, s[14:15], s[4:5]
	v_cmp_lt_i64_e64 s13, s[14:15], s[4:5]
	s_delay_alu instid0(VALU_DEP_2)
	s_and_b32 vcc_lo, exec_lo, s3
	s_cbranch_vccnz .LBB9_7
; %bb.6:
	s_lshl_b64 s[4:5], s[14:15], 3
	s_delay_alu instid0(SALU_CYCLE_1)
	s_add_u32 s4, s10, s4
	s_addc_u32 s5, s11, s5
	s_load_b64 s[4:5], s[4:5], 0x0
	s_waitcnt lgkmcnt(0)
	s_sub_u32 s28, s4, s9
	s_subb_u32 s29, s5, 0
.LBB9_7:
	s_delay_alu instid0(VALU_DEP_1)
	s_and_not1_b32 vcc_lo, exec_lo, s13
	s_cbranch_vccnz .LBB9_9
; %bb.8:
	s_lshl_b64 s[4:5], s[14:15], 3
	s_delay_alu instid0(SALU_CYCLE_1)
	s_add_u32 s4, s10, s4
	s_addc_u32 s5, s11, s5
	s_load_b64 s[4:5], s[4:5], 0x8
	s_waitcnt lgkmcnt(0)
	s_sub_u32 s26, s4, s9
	s_subb_u32 s27, s5, 0
.LBB9_9:
	s_clause 0x1
	s_load_b64 s[30:31], s[0:1], 0x48
	s_load_b64 s[10:11], s[0:1], 0x70
	v_bfe_u32 v8, v0, 10, 10
	v_dual_mov_b32 v3, 0 :: v_dual_and_b32 v6, 0x3ff, v0
	s_mov_b32 s36, 0
	s_delay_alu instid0(VALU_DEP_2) | instskip(SKIP_1) | instid1(VALU_DEP_3)
	v_lshl_add_u32 v2, s2, 5, v8
	v_cmp_ge_i64_e64 s2, s[28:29], s[26:27]
	v_mov_b32_e32 v1, v3
	s_mov_b32 s37, s36
	v_dual_mov_b32 v7, v3 :: v_dual_mov_b32 v4, s36
	v_add_nc_u32_e32 v0, 16, v2
	s_delay_alu instid0(VALU_DEP_4) | instskip(SKIP_2) | instid1(VALU_DEP_3)
	s_and_b32 vcc_lo, exec_lo, s2
	v_cmp_gt_i64_e64 s3, s[6:7], v[2:3]
	v_mov_b32_e32 v5, s37
	v_cmp_gt_i64_e64 s4, s[6:7], v[0:1]
	s_waitcnt lgkmcnt(0)
	v_cmp_gt_i64_e64 s2, s[30:31], v[6:7]
	s_cbranch_vccnz .LBB9_37
; %bb.10:
	s_clause 0x1
	s_load_b128 s[16:19], s[0:1], 0x38
	s_load_b128 s[20:23], s[0:1], 0x50
	v_mad_u64_u32 v[4:5], null, v8, s30, 0
	v_mad_u64_u32 v[10:11], null, v6, s30, 0
	v_dual_mov_b32 v9, v3 :: v_dual_lshlrev_b32 v18, 2, v6
	s_load_b64 s[34:35], s[0:1], 0x0
	s_mul_i32 s5, s30, s31
	s_delay_alu instid0(VALU_DEP_3) | instskip(NEXT) | instid1(VALU_DEP_2)
	v_mad_u64_u32 v[12:13], null, v8, s31, v[5:6]
	v_cmp_gt_i64_e32 vcc_lo, s[30:31], v[8:9]
	s_delay_alu instid0(VALU_DEP_4)
	v_mov_b32_e32 v9, v11
	s_mul_hi_u32 s25, s30, s30
	v_add_nc_u32_e32 v21, v18, v8
	s_add_i32 s25, s25, s5
	v_lshl_add_u32 v23, v6, 4, 0x200
	s_and_b32 s33, s2, vcc_lo
	s_add_i32 s25, s25, s5
	s_mul_i32 s15, s30, s30
	s_waitcnt lgkmcnt(0)
	v_mad_u64_u32 v[14:15], null, v0, s22, 0
	v_mov_b32_e32 v5, v12
	v_mad_u64_u32 v[11:12], null, v6, s31, v[9:10]
	v_mad_u64_u32 v[12:13], null, v2, s22, 0
	s_delay_alu instid0(VALU_DEP_3) | instskip(SKIP_4) | instid1(VALU_DEP_2)
	v_lshlrev_b64 v[4:5], 2, v[4:5]
	s_bitcmp1_b32 s34, 0
	v_add_co_u32 v16, s34, s20, v18
	s_cselect_b32 s5, -1, 0
	s_cmp_eq_u32 s35, 0
	v_add_co_u32 v9, vcc_lo, s18, v4
	v_add_co_ci_u32_e32 v20, vcc_lo, s19, v5, vcc_lo
	v_lshlrev_b64 v[4:5], 2, v[10:11]
	v_mov_b32_e32 v10, v15
	s_delay_alu instid0(VALU_DEP_4)
	v_add_co_u32 v11, vcc_lo, v9, v18
	v_mov_b32_e32 v9, v13
	v_add_co_ci_u32_e32 v22, vcc_lo, 0, v20, vcc_lo
	v_lshlrev_b32_e32 v19, 2, v8
	v_add_co_u32 v13, vcc_lo, s18, v4
	v_add_co_ci_u32_e32 v15, vcc_lo, s19, v5, vcc_lo
	v_lshl_add_u32 v18, v21, 2, 0x200
	v_mad_u64_u32 v[4:5], null, v2, s23, v[9:10]
	v_mad_u64_u32 v[20:21], null, v0, s23, v[10:11]
	v_add_co_u32 v5, vcc_lo, v13, v19
	v_cmp_gt_i64_e64 s18, s[30:31], 0
	v_add_co_ci_u32_e32 v9, vcc_lo, 0, v15, vcc_lo
	s_cselect_b32 vcc_lo, -1, 0
	v_mov_b32_e32 v13, v4
	s_delay_alu instid0(VALU_DEP_2) | instskip(NEXT) | instid1(VALU_DEP_4)
	v_dual_mov_b32 v15, v20 :: v_dual_cndmask_b32 v20, v22, v9
	s_and_b32 s38, s3, s18
	s_and_b32 s39, s4, s18
	v_lshlrev_b32_e32 v22, 4, v8
	s_add_u32 s40, s30, -1
	s_addc_u32 s41, s31, -1
	v_cndmask_b32_e32 v21, v11, v5, vcc_lo
	s_and_b32 s18, s30, 7
	s_mov_b32 s19, s36
	v_mov_b32_e32 v4, s36
	v_lshlrev_b64 v[8:9], 2, v[12:13]
	v_lshlrev_b64 v[10:11], 2, v[14:15]
	;; [unrolled: 1-line block ×4, first 2 shown]
	v_cmp_gt_u64_e64 s40, s[40:41], 6
	v_add_co_ci_u32_e64 v17, null, s21, 0, s34
	v_add_lshl_u32 v19, v19, v6, 2
	s_and_b32 s35, s31, 0x7fffffff
	s_and_b32 s34, s30, -8
	v_dual_mov_b32 v5, s37 :: v_dual_add_nc_u32 v24, 0x100, v22
	s_cmp_lg_u64 s[18:19], 0
	s_cselect_b32 s41, -1, 0
	s_branch .LBB9_13
.LBB9_11:                               ;   in Loop: Header=BB9_13 Depth=1
	s_or_b32 exec_lo, exec_lo, s43
.LBB9_12:                               ;   in Loop: Header=BB9_13 Depth=1
	s_delay_alu instid0(SALU_CYCLE_1) | instskip(SKIP_2) | instid1(SALU_CYCLE_1)
	s_or_b32 exec_lo, exec_lo, s42
	s_add_u32 s28, s28, 1
	s_addc_u32 s29, s29, 0
	v_cmp_ge_i64_e64 s36, s[28:29], s[26:27]
	s_barrier
	buffer_gl0_inv
	s_and_b32 vcc_lo, exec_lo, s36
	s_cbranch_vccnz .LBB9_37
.LBB9_13:                               ; =>This Loop Header: Depth=1
                                        ;     Child Loop BB9_24 Depth 2
                                        ;     Child Loop BB9_28 Depth 2
	;; [unrolled: 1-line block ×4, first 2 shown]
	s_and_saveexec_b32 s36, s2
	s_cbranch_execz .LBB9_18
; %bb.14:                               ;   in Loop: Header=BB9_13 Depth=1
	s_lshl_b64 s[42:43], s[28:29], 3
	s_delay_alu instid0(SALU_CYCLE_1)
	s_add_u32 s42, s16, s42
	s_addc_u32 s43, s17, s43
	s_load_b64 s[42:43], s[42:43], 0x0
	s_waitcnt lgkmcnt(0)
	s_sub_u32 s37, s42, s9
	s_subb_u32 s42, s43, 0
	s_mul_i32 s43, s37, s31
	s_mul_hi_u32 s44, s37, s30
	s_mul_i32 s45, s42, s30
	s_add_i32 s43, s44, s43
	s_mul_i32 s42, s37, s30
	s_add_i32 s43, s43, s45
	v_add_co_u32 v27, s37, s42, v6
	s_delay_alu instid0(VALU_DEP_1) | instskip(SKIP_1) | instid1(VALU_DEP_2)
	v_add_co_ci_u32_e64 v28, null, s43, 0, s37
	s_lshl_b64 s[42:43], s[42:43], 2
	v_mul_lo_u32 v29, v27, s23
	v_mad_u64_u32 v[25:26], null, v27, s22, 0
	s_delay_alu instid0(VALU_DEP_3) | instskip(NEXT) | instid1(VALU_DEP_1)
	v_mul_lo_u32 v27, v28, s22
	v_add3_u32 v26, v26, v29, v27
	s_delay_alu instid0(VALU_DEP_1) | instskip(NEXT) | instid1(VALU_DEP_1)
	v_lshlrev_b64 v[25:26], 2, v[25:26]
	v_add_co_u32 v25, vcc_lo, s20, v25
	s_delay_alu instid0(VALU_DEP_2)
	v_add_co_ci_u32_e32 v26, vcc_lo, s21, v26, vcc_lo
	v_add_co_u32 v27, vcc_lo, v16, s42
	v_add_co_ci_u32_e32 v28, vcc_lo, s43, v17, vcc_lo
	s_and_saveexec_b32 s37, s3
	s_cbranch_execz .LBB9_16
; %bb.15:                               ;   in Loop: Header=BB9_13 Depth=1
	s_delay_alu instid0(VALU_DEP_2) | instskip(NEXT) | instid1(VALU_DEP_2)
	v_add_co_u32 v29, vcc_lo, v27, v8
	v_add_co_ci_u32_e32 v30, vcc_lo, v28, v9, vcc_lo
	v_add_co_u32 v31, vcc_lo, v25, v12
	v_add_co_ci_u32_e32 v32, vcc_lo, v26, v13, vcc_lo
	s_delay_alu instid0(VALU_DEP_2) | instskip(NEXT) | instid1(VALU_DEP_2)
	v_cndmask_b32_e64 v29, v31, v29, s5
	v_cndmask_b32_e64 v30, v32, v30, s5
	global_load_b32 v29, v[29:30], off
	s_waitcnt vmcnt(0)
	ds_store_b32 v19, v29
.LBB9_16:                               ;   in Loop: Header=BB9_13 Depth=1
	s_or_b32 exec_lo, exec_lo, s37
	s_delay_alu instid0(SALU_CYCLE_1)
	s_and_b32 exec_lo, exec_lo, s4
	s_cbranch_execz .LBB9_18
; %bb.17:                               ;   in Loop: Header=BB9_13 Depth=1
	v_add_co_u32 v27, vcc_lo, v27, v10
	v_add_co_ci_u32_e32 v28, vcc_lo, v28, v11, vcc_lo
	v_add_co_u32 v25, vcc_lo, v25, v14
	v_add_co_ci_u32_e32 v26, vcc_lo, v26, v15, vcc_lo
	s_delay_alu instid0(VALU_DEP_2) | instskip(NEXT) | instid1(VALU_DEP_2)
	v_cndmask_b32_e64 v25, v25, v27, s5
	v_cndmask_b32_e64 v26, v26, v28, s5
	global_load_b32 v25, v[25:26], off
	s_waitcnt vmcnt(0)
	ds_store_b32 v19, v25 offset:256
.LBB9_18:                               ;   in Loop: Header=BB9_13 Depth=1
	s_or_b32 exec_lo, exec_lo, s36
	s_and_saveexec_b32 s36, s33
	s_cbranch_execz .LBB9_20
; %bb.19:                               ;   in Loop: Header=BB9_13 Depth=1
	s_mul_i32 s37, s15, s29
	s_mul_hi_u32 s42, s15, s28
	s_mul_i32 s43, s25, s28
	s_add_i32 s37, s42, s37
	s_mul_i32 s42, s15, s28
	s_add_i32 s43, s37, s43
	s_delay_alu instid0(SALU_CYCLE_1) | instskip(NEXT) | instid1(SALU_CYCLE_1)
	s_lshl_b64 s[42:43], s[42:43], 2
	v_add_co_u32 v25, vcc_lo, v21, s42
	v_add_co_ci_u32_e32 v26, vcc_lo, s43, v20, vcc_lo
	global_load_b32 v25, v[25:26], off
	s_waitcnt vmcnt(0)
	ds_store_b32 v18, v25
.LBB9_20:                               ;   in Loop: Header=BB9_13 Depth=1
	s_or_b32 exec_lo, exec_lo, s36
	s_waitcnt lgkmcnt(0)
	s_barrier
	buffer_gl0_inv
	s_and_saveexec_b32 s42, s2
	s_cbranch_execz .LBB9_12
; %bb.21:                               ;   in Loop: Header=BB9_13 Depth=1
	s_and_saveexec_b32 s43, s38
	s_cbranch_execz .LBB9_29
; %bb.22:                               ;   in Loop: Header=BB9_13 Depth=1
	s_and_not1_b32 vcc_lo, exec_lo, s40
	s_cbranch_vccnz .LBB9_26
; %bb.23:                               ;   in Loop: Header=BB9_13 Depth=1
	v_dual_mov_b32 v25, v23 :: v_dual_mov_b32 v26, v22
	s_mov_b64 s[36:37], 0
	.p2align	6
.LBB9_24:                               ;   Parent Loop BB9_13 Depth=1
                                        ; =>  This Inner Loop Header: Depth=2
	ds_load_b128 v[27:30], v26
	ds_load_b128 v[31:34], v25
	ds_load_b128 v[35:38], v25 offset:16
	ds_load_b128 v[39:42], v26 offset:16
	s_add_u32 s36, s36, 8
	v_add_nc_u32_e32 v26, 32, v26
	s_addc_u32 s37, s37, 0
	v_add_nc_u32_e32 v25, 32, v25
	s_cmp_lg_u64 s[34:35], s[36:37]
	s_waitcnt lgkmcnt(2)
	v_fma_f32 v4, v31, v27, v4
	s_delay_alu instid0(VALU_DEP_1) | instskip(NEXT) | instid1(VALU_DEP_1)
	v_fmac_f32_e32 v4, v32, v28
	v_fmac_f32_e32 v4, v33, v29
	s_delay_alu instid0(VALU_DEP_1) | instskip(SKIP_1) | instid1(VALU_DEP_1)
	v_fmac_f32_e32 v4, v34, v30
	s_waitcnt lgkmcnt(0)
	v_fmac_f32_e32 v4, v35, v39
	s_delay_alu instid0(VALU_DEP_1) | instskip(NEXT) | instid1(VALU_DEP_1)
	v_fmac_f32_e32 v4, v36, v40
	v_fmac_f32_e32 v4, v37, v41
	s_delay_alu instid0(VALU_DEP_1)
	v_fmac_f32_e32 v4, v38, v42
	s_cbranch_scc1 .LBB9_24
; %bb.25:                               ;   in Loop: Header=BB9_13 Depth=1
	s_mov_b64 s[36:37], s[34:35]
	s_and_not1_b32 vcc_lo, exec_lo, s41
	s_cbranch_vccz .LBB9_27
	s_branch .LBB9_29
.LBB9_26:                               ;   in Loop: Header=BB9_13 Depth=1
	s_mov_b64 s[36:37], 0
	s_and_not1_b32 vcc_lo, exec_lo, s41
	s_cbranch_vccnz .LBB9_29
.LBB9_27:                               ;   in Loop: Header=BB9_13 Depth=1
	s_lshl_b32 s36, s36, 2
	s_delay_alu instid0(SALU_CYCLE_1)
	v_add_nc_u32_e32 v25, s36, v22
	v_add_nc_u32_e32 v26, s36, v23
	s_mov_b64 s[36:37], s[18:19]
.LBB9_28:                               ;   Parent Loop BB9_13 Depth=1
                                        ; =>  This Inner Loop Header: Depth=2
	ds_load_b32 v27, v26
	ds_load_b32 v28, v25
	v_add_nc_u32_e32 v25, 4, v25
	v_add_nc_u32_e32 v26, 4, v26
	s_add_u32 s36, s36, -1
	s_addc_u32 s37, s37, -1
	s_delay_alu instid0(SALU_CYCLE_1)
	s_cmp_lg_u64 s[36:37], 0
	s_waitcnt lgkmcnt(0)
	v_fma_f32 v4, v27, v28, v4
	s_cbranch_scc1 .LBB9_28
.LBB9_29:                               ;   in Loop: Header=BB9_13 Depth=1
	s_or_b32 exec_lo, exec_lo, s43
	s_and_saveexec_b32 s43, s39
	s_cbranch_execz .LBB9_11
; %bb.30:                               ;   in Loop: Header=BB9_13 Depth=1
	s_and_not1_b32 vcc_lo, exec_lo, s40
	s_cbranch_vccnz .LBB9_34
; %bb.31:                               ;   in Loop: Header=BB9_13 Depth=1
	v_dual_mov_b32 v25, v23 :: v_dual_mov_b32 v26, v24
	s_mov_b64 s[36:37], 0
	.p2align	6
.LBB9_32:                               ;   Parent Loop BB9_13 Depth=1
                                        ; =>  This Inner Loop Header: Depth=2
	ds_load_b128 v[27:30], v26
	ds_load_b128 v[31:34], v25
	ds_load_b128 v[35:38], v25 offset:16
	ds_load_b128 v[39:42], v26 offset:16
	s_add_u32 s36, s36, 8
	v_add_nc_u32_e32 v25, 32, v25
	s_addc_u32 s37, s37, 0
	v_add_nc_u32_e32 v26, 32, v26
	s_cmp_lg_u64 s[34:35], s[36:37]
	s_waitcnt lgkmcnt(2)
	v_fma_f32 v5, v31, v27, v5
	s_delay_alu instid0(VALU_DEP_1) | instskip(NEXT) | instid1(VALU_DEP_1)
	v_fmac_f32_e32 v5, v32, v28
	v_fmac_f32_e32 v5, v33, v29
	s_delay_alu instid0(VALU_DEP_1) | instskip(SKIP_1) | instid1(VALU_DEP_1)
	v_fmac_f32_e32 v5, v34, v30
	s_waitcnt lgkmcnt(0)
	v_fmac_f32_e32 v5, v35, v39
	s_delay_alu instid0(VALU_DEP_1) | instskip(NEXT) | instid1(VALU_DEP_1)
	v_fmac_f32_e32 v5, v36, v40
	v_fmac_f32_e32 v5, v37, v41
	s_delay_alu instid0(VALU_DEP_1)
	v_fmac_f32_e32 v5, v38, v42
	s_cbranch_scc1 .LBB9_32
; %bb.33:                               ;   in Loop: Header=BB9_13 Depth=1
	s_mov_b64 s[36:37], s[34:35]
	s_and_not1_b32 vcc_lo, exec_lo, s41
	s_cbranch_vccz .LBB9_35
	s_branch .LBB9_11
.LBB9_34:                               ;   in Loop: Header=BB9_13 Depth=1
	s_mov_b64 s[36:37], 0
	s_and_not1_b32 vcc_lo, exec_lo, s41
	s_cbranch_vccnz .LBB9_11
.LBB9_35:                               ;   in Loop: Header=BB9_13 Depth=1
	s_lshl_b32 s36, s36, 2
	s_delay_alu instid0(SALU_CYCLE_1)
	v_add_nc_u32_e32 v25, s36, v24
	v_add_nc_u32_e32 v26, s36, v23
	s_mov_b64 s[36:37], s[18:19]
.LBB9_36:                               ;   Parent Loop BB9_13 Depth=1
                                        ; =>  This Inner Loop Header: Depth=2
	ds_load_b32 v27, v26
	ds_load_b32 v28, v25
	v_add_nc_u32_e32 v25, 4, v25
	v_add_nc_u32_e32 v26, 4, v26
	s_add_u32 s36, s36, -1
	s_addc_u32 s37, s37, -1
	s_delay_alu instid0(SALU_CYCLE_1)
	s_cmp_lg_u64 s[36:37], 0
	s_waitcnt lgkmcnt(0)
	v_fma_f32 v5, v27, v28, v5
	s_cbranch_scc1 .LBB9_36
	s_branch .LBB9_11
.LBB9_37:
	s_delay_alu instid0(VALU_DEP_1) | instskip(NEXT) | instid1(SALU_CYCLE_1)
	s_and_b32 s2, s13, s2
	s_and_saveexec_b32 s3, s2
	s_cbranch_execz .LBB9_57
; %bb.38:
	v_mad_u64_u32 v[8:9], null, s14, s30, v[6:7]
	s_load_b64 s[2:3], s[0:1], 0x78
	v_cmp_neq_f32_e64 s4, s24, 0
	s_cmp_lg_u32 s8, 1
	s_cselect_b32 s1, -1, 0
	s_delay_alu instid0(VALU_DEP_2) | instskip(NEXT) | instid1(VALU_DEP_1)
	v_mov_b32_e32 v6, v9
	v_mad_u64_u32 v[9:10], null, s14, s31, v[6:7]
	s_waitcnt lgkmcnt(0)
	v_mul_lo_u32 v10, v8, s3
	v_mad_u64_u32 v[6:7], null, v8, s2, 0
	s_delay_alu instid0(VALU_DEP_3) | instskip(NEXT) | instid1(VALU_DEP_1)
	v_mul_lo_u32 v11, v9, s2
	v_add3_u32 v7, v7, v10, v11
	v_lshlrev_b64 v[10:11], 2, v[8:9]
	s_delay_alu instid0(VALU_DEP_2) | instskip(NEXT) | instid1(VALU_DEP_1)
	v_lshlrev_b64 v[6:7], 2, v[6:7]
	v_add_co_u32 v8, s0, s10, v6
	s_delay_alu instid0(VALU_DEP_1) | instskip(NEXT) | instid1(VALU_DEP_4)
	v_add_co_ci_u32_e64 v9, s0, s11, v7, s0
	v_add_co_u32 v6, s0, s10, v10
	s_delay_alu instid0(VALU_DEP_1)
	v_add_co_ci_u32_e64 v7, s0, s11, v11, s0
	s_mov_b32 s0, exec_lo
	v_cmpx_gt_i64_e64 s[6:7], v[2:3]
	s_cbranch_execz .LBB9_50
; %bb.39:
	s_and_b32 vcc_lo, exec_lo, s4
	s_cbranch_vccz .LBB9_45
; %bb.40:
	s_and_b32 vcc_lo, exec_lo, s1
	s_mov_b32 s5, -1
	s_cbranch_vccz .LBB9_42
; %bb.41:
	v_lshlrev_b64 v[10:11], 2, v[2:3]
	v_mul_f32_e32 v13, s12, v4
	s_mov_b32 s5, 0
	s_delay_alu instid0(VALU_DEP_2) | instskip(NEXT) | instid1(VALU_DEP_3)
	v_add_co_u32 v10, vcc_lo, v8, v10
	v_add_co_ci_u32_e32 v11, vcc_lo, v9, v11, vcc_lo
	global_load_b32 v12, v[10:11], off
	s_waitcnt vmcnt(0)
	v_fmac_f32_e32 v13, s24, v12
	global_store_b32 v[10:11], v13, off
.LBB9_42:
	s_and_not1_b32 vcc_lo, exec_lo, s5
	s_cbranch_vccnz .LBB9_44
; %bb.43:
	v_mad_u64_u32 v[10:11], null, v2, s2, 0
	s_delay_alu instid0(VALU_DEP_1) | instskip(SKIP_1) | instid1(VALU_DEP_2)
	v_mad_u64_u32 v[12:13], null, v2, s3, v[11:12]
	v_mul_f32_e32 v13, s12, v4
	v_mov_b32_e32 v11, v12
	s_delay_alu instid0(VALU_DEP_1) | instskip(NEXT) | instid1(VALU_DEP_1)
	v_lshlrev_b64 v[10:11], 2, v[10:11]
	v_add_co_u32 v10, vcc_lo, v6, v10
	s_delay_alu instid0(VALU_DEP_2)
	v_add_co_ci_u32_e32 v11, vcc_lo, v7, v11, vcc_lo
	global_load_b32 v12, v[10:11], off
	s_waitcnt vmcnt(0)
	v_fmac_f32_e32 v13, s24, v12
	global_store_b32 v[10:11], v13, off
.LBB9_44:
	s_cbranch_execz .LBB9_46
	s_branch .LBB9_50
.LBB9_45:
.LBB9_46:
	v_mul_f32_e32 v4, s12, v4
	s_and_b32 vcc_lo, exec_lo, s1
	s_mov_b32 s5, -1
	s_cbranch_vccz .LBB9_48
; %bb.47:
	v_lshlrev_b64 v[10:11], 2, v[2:3]
	s_mov_b32 s5, 0
	s_delay_alu instid0(VALU_DEP_1) | instskip(NEXT) | instid1(VALU_DEP_2)
	v_add_co_u32 v10, vcc_lo, v8, v10
	v_add_co_ci_u32_e32 v11, vcc_lo, v9, v11, vcc_lo
	global_store_b32 v[10:11], v4, off
.LBB9_48:
	s_and_not1_b32 vcc_lo, exec_lo, s5
	s_cbranch_vccnz .LBB9_50
; %bb.49:
	v_mad_u64_u32 v[10:11], null, v2, s2, 0
	s_delay_alu instid0(VALU_DEP_1) | instskip(NEXT) | instid1(VALU_DEP_1)
	v_mov_b32_e32 v3, v11
	v_mad_u64_u32 v[11:12], null, v2, s3, v[3:4]
	s_delay_alu instid0(VALU_DEP_1) | instskip(NEXT) | instid1(VALU_DEP_1)
	v_lshlrev_b64 v[2:3], 2, v[10:11]
	v_add_co_u32 v2, vcc_lo, v6, v2
	s_delay_alu instid0(VALU_DEP_2)
	v_add_co_ci_u32_e32 v3, vcc_lo, v7, v3, vcc_lo
	global_store_b32 v[2:3], v4, off
.LBB9_50:
	s_or_b32 exec_lo, exec_lo, s0
	v_cmp_gt_i64_e32 vcc_lo, s[6:7], v[0:1]
	s_and_b32 exec_lo, exec_lo, vcc_lo
	s_cbranch_execz .LBB9_57
; %bb.51:
	v_cndmask_b32_e64 v2, 0, 1, s1
	s_and_not1_b32 vcc_lo, exec_lo, s4
	s_delay_alu instid0(VALU_DEP_1)
	v_cmp_ne_u32_e64 s0, 1, v2
	s_cbranch_vccnz .LBB9_58
; %bb.52:
	s_delay_alu instid0(VALU_DEP_1)
	s_and_b32 vcc_lo, exec_lo, s0
	s_mov_b32 s0, -1
	s_cbranch_vccnz .LBB9_54
; %bb.53:
	v_lshlrev_b64 v[2:3], 2, v[0:1]
	v_mul_f32_e32 v10, s12, v5
	s_mov_b32 s0, 0
	s_delay_alu instid0(VALU_DEP_2) | instskip(NEXT) | instid1(VALU_DEP_3)
	v_add_co_u32 v2, vcc_lo, v8, v2
	v_add_co_ci_u32_e32 v3, vcc_lo, v9, v3, vcc_lo
	global_load_b32 v4, v[2:3], off
	s_waitcnt vmcnt(0)
	v_fmac_f32_e32 v10, s24, v4
	global_store_b32 v[2:3], v10, off
.LBB9_54:
	s_and_not1_b32 vcc_lo, exec_lo, s0
	s_cbranch_vccnz .LBB9_56
; %bb.55:
	v_mad_u64_u32 v[2:3], null, v0, s2, 0
	s_delay_alu instid0(VALU_DEP_1) | instskip(NEXT) | instid1(VALU_DEP_1)
	v_mad_u64_u32 v[10:11], null, v0, s3, v[3:4]
	v_dual_mov_b32 v3, v10 :: v_dual_mul_f32 v10, s12, v5
	s_delay_alu instid0(VALU_DEP_1) | instskip(NEXT) | instid1(VALU_DEP_1)
	v_lshlrev_b64 v[2:3], 2, v[2:3]
	v_add_co_u32 v2, vcc_lo, v6, v2
	s_delay_alu instid0(VALU_DEP_2)
	v_add_co_ci_u32_e32 v3, vcc_lo, v7, v3, vcc_lo
	global_load_b32 v4, v[2:3], off
	s_waitcnt vmcnt(0)
	v_fmac_f32_e32 v10, s24, v4
	global_store_b32 v[2:3], v10, off
.LBB9_56:
	s_cbranch_execz .LBB9_59
.LBB9_57:
	s_nop 0
	s_sendmsg sendmsg(MSG_DEALLOC_VGPRS)
	s_endpgm
.LBB9_58:
.LBB9_59:
	v_mul_f32_e32 v2, s12, v5
	s_and_not1_b32 vcc_lo, exec_lo, s1
	s_mov_b32 s0, -1
	s_cbranch_vccnz .LBB9_61
; %bb.60:
	v_lshlrev_b64 v[3:4], 2, v[0:1]
	s_mov_b32 s0, 0
	s_delay_alu instid0(VALU_DEP_1) | instskip(NEXT) | instid1(VALU_DEP_2)
	v_add_co_u32 v3, vcc_lo, v8, v3
	v_add_co_ci_u32_e32 v4, vcc_lo, v9, v4, vcc_lo
	global_store_b32 v[3:4], v2, off
.LBB9_61:
	s_and_not1_b32 vcc_lo, exec_lo, s0
	s_cbranch_vccnz .LBB9_57
; %bb.62:
	v_mad_u64_u32 v[3:4], null, v0, s2, 0
	s_delay_alu instid0(VALU_DEP_1) | instskip(NEXT) | instid1(VALU_DEP_1)
	v_mov_b32_e32 v1, v4
	v_mad_u64_u32 v[4:5], null, v0, s3, v[1:2]
	s_delay_alu instid0(VALU_DEP_1) | instskip(NEXT) | instid1(VALU_DEP_1)
	v_lshlrev_b64 v[0:1], 2, v[3:4]
	v_add_co_u32 v0, vcc_lo, v6, v0
	s_delay_alu instid0(VALU_DEP_2)
	v_add_co_ci_u32_e32 v1, vcc_lo, v7, v1, vcc_lo
	global_store_b32 v[0:1], v2, off
	s_nop 0
	s_sendmsg sendmsg(MSG_DEALLOC_VGPRS)
	s_endpgm
	.section	.rodata,"a",@progbits
	.p2align	6, 0x0
	.amdhsa_kernel _ZN9rocsparseL31bsrmm_large_blockdim_kernel_extILj4ELj16ELj2EllffffEEvb20rocsparse_direction_T3_S2_llNS_24const_host_device_scalarIT7_EEPKT2_PKS2_PKT4_S2_PKT5_llS5_PT6_ll16rocsparse_order_21rocsparse_index_base_b
		.amdhsa_group_segment_fixed_size 576
		.amdhsa_private_segment_fixed_size 0
		.amdhsa_kernarg_size 148
		.amdhsa_user_sgpr_count 14
		.amdhsa_user_sgpr_dispatch_ptr 0
		.amdhsa_user_sgpr_queue_ptr 0
		.amdhsa_user_sgpr_kernarg_segment_ptr 1
		.amdhsa_user_sgpr_dispatch_id 0
		.amdhsa_user_sgpr_private_segment_size 0
		.amdhsa_wavefront_size32 1
		.amdhsa_uses_dynamic_stack 0
		.amdhsa_enable_private_segment 0
		.amdhsa_system_sgpr_workgroup_id_x 1
		.amdhsa_system_sgpr_workgroup_id_y 1
		.amdhsa_system_sgpr_workgroup_id_z 0
		.amdhsa_system_sgpr_workgroup_info 0
		.amdhsa_system_vgpr_workitem_id 1
		.amdhsa_next_free_vgpr 43
		.amdhsa_next_free_sgpr 46
		.amdhsa_reserve_vcc 1
		.amdhsa_float_round_mode_32 0
		.amdhsa_float_round_mode_16_64 0
		.amdhsa_float_denorm_mode_32 3
		.amdhsa_float_denorm_mode_16_64 3
		.amdhsa_dx10_clamp 1
		.amdhsa_ieee_mode 1
		.amdhsa_fp16_overflow 0
		.amdhsa_workgroup_processor_mode 1
		.amdhsa_memory_ordered 1
		.amdhsa_forward_progress 0
		.amdhsa_shared_vgpr_count 0
		.amdhsa_exception_fp_ieee_invalid_op 0
		.amdhsa_exception_fp_denorm_src 0
		.amdhsa_exception_fp_ieee_div_zero 0
		.amdhsa_exception_fp_ieee_overflow 0
		.amdhsa_exception_fp_ieee_underflow 0
		.amdhsa_exception_fp_ieee_inexact 0
		.amdhsa_exception_int_div_zero 0
	.end_amdhsa_kernel
	.section	.text._ZN9rocsparseL31bsrmm_large_blockdim_kernel_extILj4ELj16ELj2EllffffEEvb20rocsparse_direction_T3_S2_llNS_24const_host_device_scalarIT7_EEPKT2_PKS2_PKT4_S2_PKT5_llS5_PT6_ll16rocsparse_order_21rocsparse_index_base_b,"axG",@progbits,_ZN9rocsparseL31bsrmm_large_blockdim_kernel_extILj4ELj16ELj2EllffffEEvb20rocsparse_direction_T3_S2_llNS_24const_host_device_scalarIT7_EEPKT2_PKS2_PKT4_S2_PKT5_llS5_PT6_ll16rocsparse_order_21rocsparse_index_base_b,comdat
.Lfunc_end9:
	.size	_ZN9rocsparseL31bsrmm_large_blockdim_kernel_extILj4ELj16ELj2EllffffEEvb20rocsparse_direction_T3_S2_llNS_24const_host_device_scalarIT7_EEPKT2_PKS2_PKT4_S2_PKT5_llS5_PT6_ll16rocsparse_order_21rocsparse_index_base_b, .Lfunc_end9-_ZN9rocsparseL31bsrmm_large_blockdim_kernel_extILj4ELj16ELj2EllffffEEvb20rocsparse_direction_T3_S2_llNS_24const_host_device_scalarIT7_EEPKT2_PKS2_PKT4_S2_PKT5_llS5_PT6_ll16rocsparse_order_21rocsparse_index_base_b
                                        ; -- End function
	.section	.AMDGPU.csdata,"",@progbits
; Kernel info:
; codeLenInByte = 2636
; NumSgprs: 48
; NumVgprs: 43
; ScratchSize: 0
; MemoryBound: 0
; FloatMode: 240
; IeeeMode: 1
; LDSByteSize: 576 bytes/workgroup (compile time only)
; SGPRBlocks: 5
; VGPRBlocks: 5
; NumSGPRsForWavesPerEU: 48
; NumVGPRsForWavesPerEU: 43
; Occupancy: 16
; WaveLimiterHint : 1
; COMPUTE_PGM_RSRC2:SCRATCH_EN: 0
; COMPUTE_PGM_RSRC2:USER_SGPR: 14
; COMPUTE_PGM_RSRC2:TRAP_HANDLER: 0
; COMPUTE_PGM_RSRC2:TGID_X_EN: 1
; COMPUTE_PGM_RSRC2:TGID_Y_EN: 1
; COMPUTE_PGM_RSRC2:TGID_Z_EN: 0
; COMPUTE_PGM_RSRC2:TIDIG_COMP_CNT: 1
	.section	.text._ZN9rocsparseL31bsrmm_large_blockdim_kernel_extILj16ELj16ELj2EllffffEEvb20rocsparse_direction_T3_S2_llNS_24const_host_device_scalarIT7_EEPKT2_PKS2_PKT4_S2_PKT5_llS5_PT6_ll16rocsparse_order_21rocsparse_index_base_b,"axG",@progbits,_ZN9rocsparseL31bsrmm_large_blockdim_kernel_extILj16ELj16ELj2EllffffEEvb20rocsparse_direction_T3_S2_llNS_24const_host_device_scalarIT7_EEPKT2_PKS2_PKT4_S2_PKT5_llS5_PT6_ll16rocsparse_order_21rocsparse_index_base_b,comdat
	.globl	_ZN9rocsparseL31bsrmm_large_blockdim_kernel_extILj16ELj16ELj2EllffffEEvb20rocsparse_direction_T3_S2_llNS_24const_host_device_scalarIT7_EEPKT2_PKS2_PKT4_S2_PKT5_llS5_PT6_ll16rocsparse_order_21rocsparse_index_base_b ; -- Begin function _ZN9rocsparseL31bsrmm_large_blockdim_kernel_extILj16ELj16ELj2EllffffEEvb20rocsparse_direction_T3_S2_llNS_24const_host_device_scalarIT7_EEPKT2_PKS2_PKT4_S2_PKT5_llS5_PT6_ll16rocsparse_order_21rocsparse_index_base_b
	.p2align	8
	.type	_ZN9rocsparseL31bsrmm_large_blockdim_kernel_extILj16ELj16ELj2EllffffEEvb20rocsparse_direction_T3_S2_llNS_24const_host_device_scalarIT7_EEPKT2_PKS2_PKT4_S2_PKT5_llS5_PT6_ll16rocsparse_order_21rocsparse_index_base_b,@function
_ZN9rocsparseL31bsrmm_large_blockdim_kernel_extILj16ELj16ELj2EllffffEEvb20rocsparse_direction_T3_S2_llNS_24const_host_device_scalarIT7_EEPKT2_PKS2_PKT4_S2_PKT5_llS5_PT6_ll16rocsparse_order_21rocsparse_index_base_b: ; @_ZN9rocsparseL31bsrmm_large_blockdim_kernel_extILj16ELj16ELj2EllffffEEvb20rocsparse_direction_T3_S2_llNS_24const_host_device_scalarIT7_EEPKT2_PKS2_PKT4_S2_PKT5_llS5_PT6_ll16rocsparse_order_21rocsparse_index_base_b
; %bb.0:
	s_clause 0x2
	s_load_b128 s[8:11], s[0:1], 0x88
	s_load_b64 s[12:13], s[0:1], 0x28
	s_load_b64 s[24:25], s[0:1], 0x68
	s_mov_b32 s2, s15
	s_waitcnt lgkmcnt(0)
	s_bitcmp1_b32 s10, 0
	s_cselect_b32 s3, -1, 0
	s_delay_alu instid0(SALU_CYCLE_1)
	s_and_b32 vcc_lo, exec_lo, s3
	s_xor_b32 s3, s3, -1
	s_cbranch_vccnz .LBB10_2
; %bb.1:
	s_load_b32 s12, s[12:13], 0x0
.LBB10_2:
	s_and_not1_b32 vcc_lo, exec_lo, s3
	s_cbranch_vccnz .LBB10_4
; %bb.3:
	s_load_b32 s24, s[24:25], 0x0
.LBB10_4:
	s_waitcnt lgkmcnt(0)
	v_cmp_eq_f32_e64 s3, s12, 0
	v_cmp_eq_f32_e64 s4, s24, 1.0
	s_delay_alu instid0(VALU_DEP_1) | instskip(NEXT) | instid1(SALU_CYCLE_1)
	s_and_b32 s3, s3, s4
	s_and_b32 vcc_lo, exec_lo, s3
	s_cbranch_vccnz .LBB10_57
; %bb.5:
	s_clause 0x1
	s_load_b128 s[4:7], s[0:1], 0x8
	s_load_b64 s[10:11], s[0:1], 0x30
	s_ashr_i32 s15, s14, 31
	s_mov_b64 s[26:27], 0
	s_mov_b64 s[28:29], 0
	s_waitcnt lgkmcnt(0)
	v_cmp_ge_i64_e64 s3, s[14:15], s[4:5]
	v_cmp_lt_i64_e64 s13, s[14:15], s[4:5]
	s_delay_alu instid0(VALU_DEP_2)
	s_and_b32 vcc_lo, exec_lo, s3
	s_cbranch_vccnz .LBB10_7
; %bb.6:
	s_lshl_b64 s[4:5], s[14:15], 3
	s_delay_alu instid0(SALU_CYCLE_1)
	s_add_u32 s4, s10, s4
	s_addc_u32 s5, s11, s5
	s_load_b64 s[4:5], s[4:5], 0x0
	s_waitcnt lgkmcnt(0)
	s_sub_u32 s28, s4, s9
	s_subb_u32 s29, s5, 0
.LBB10_7:
	s_delay_alu instid0(VALU_DEP_1)
	s_and_not1_b32 vcc_lo, exec_lo, s13
	s_cbranch_vccnz .LBB10_9
; %bb.8:
	s_lshl_b64 s[4:5], s[14:15], 3
	s_delay_alu instid0(SALU_CYCLE_1)
	s_add_u32 s4, s10, s4
	s_addc_u32 s5, s11, s5
	s_load_b64 s[4:5], s[4:5], 0x8
	s_waitcnt lgkmcnt(0)
	s_sub_u32 s26, s4, s9
	s_subb_u32 s27, s5, 0
.LBB10_9:
	s_clause 0x1
	s_load_b64 s[30:31], s[0:1], 0x48
	s_load_b64 s[10:11], s[0:1], 0x70
	v_bfe_u32 v8, v0, 10, 10
	v_dual_mov_b32 v3, 0 :: v_dual_and_b32 v6, 0x3ff, v0
	s_mov_b32 s36, 0
	s_delay_alu instid0(VALU_DEP_2) | instskip(SKIP_1) | instid1(VALU_DEP_3)
	v_lshl_add_u32 v2, s2, 5, v8
	v_cmp_ge_i64_e64 s2, s[28:29], s[26:27]
	v_mov_b32_e32 v1, v3
	s_mov_b32 s37, s36
	v_dual_mov_b32 v7, v3 :: v_dual_mov_b32 v4, s36
	v_add_nc_u32_e32 v0, 16, v2
	s_delay_alu instid0(VALU_DEP_4) | instskip(SKIP_2) | instid1(VALU_DEP_3)
	s_and_b32 vcc_lo, exec_lo, s2
	v_cmp_gt_i64_e64 s3, s[6:7], v[2:3]
	v_mov_b32_e32 v5, s37
	v_cmp_gt_i64_e64 s4, s[6:7], v[0:1]
	s_waitcnt lgkmcnt(0)
	v_cmp_gt_i64_e64 s2, s[30:31], v[6:7]
	s_cbranch_vccnz .LBB10_37
; %bb.10:
	v_mad_u64_u32 v[4:5], null, v8, s30, 0
	s_clause 0x2
	s_load_b64 s[34:35], s[0:1], 0x0
	s_load_b128 s[16:19], s[0:1], 0x38
	s_load_b128 s[20:23], s[0:1], 0x50
	v_mad_u64_u32 v[10:11], null, v6, s30, 0
	v_dual_mov_b32 v9, v3 :: v_dual_lshlrev_b32 v14, 2, v6
	v_lshl_add_u32 v20, v6, 4, v8
	v_mad_u64_u32 v[12:13], null, v8, s31, v[5:6]
	s_delay_alu instid0(VALU_DEP_3)
	v_cmp_gt_i64_e32 vcc_lo, s[30:31], v[8:9]
	v_mov_b32_e32 v9, v11
	s_mul_i32 s5, s30, s31
	s_mul_hi_u32 s25, s30, s30
	v_lshl_add_u32 v23, v6, 6, 0x800
	s_add_i32 s25, s25, s5
	s_delay_alu instid0(VALU_DEP_4) | instskip(SKIP_2) | instid1(VALU_DEP_2)
	v_dual_mov_b32 v5, v12 :: v_dual_lshlrev_b32 v22, 2, v8
	v_mad_u64_u32 v[11:12], null, v6, s31, v[9:10]
	s_and_b32 s33, s2, vcc_lo
	v_lshlrev_b64 v[4:5], 2, v[4:5]
	s_waitcnt lgkmcnt(0)
	v_mad_u64_u32 v[12:13], null, v0, s22, 0
	s_add_i32 s25, s25, s5
	s_bitcmp1_b32 s34, 0
	v_add_co_u32 v16, s34, s20, v14
	v_add_co_u32 v15, vcc_lo, s18, v4
	v_add_co_ci_u32_e32 v18, vcc_lo, s19, v5, vcc_lo
	v_lshlrev_b64 v[4:5], 2, v[10:11]
	s_delay_alu instid0(VALU_DEP_3) | instskip(SKIP_1) | instid1(VALU_DEP_4)
	v_add_co_u32 v11, vcc_lo, v15, v14
	v_mad_u64_u32 v[9:10], null, v2, s22, 0
	v_add_co_ci_u32_e32 v21, vcc_lo, 0, v18, vcc_lo
	v_lshl_add_u32 v18, v20, 2, 0x800
	v_add_co_u32 v20, vcc_lo, s18, v4
	v_add_co_ci_u32_e32 v5, vcc_lo, s19, v5, vcc_lo
	v_mov_b32_e32 v4, v13
	v_mad_u64_u32 v[13:14], null, v2, s23, v[10:11]
	v_cmp_gt_i64_e64 s18, s[30:31], 0
	s_cselect_b32 s5, -1, 0
	s_delay_alu instid0(VALU_DEP_3)
	v_mad_u64_u32 v[14:15], null, v0, s23, v[4:5]
	v_add_co_u32 v4, vcc_lo, v20, v22
	s_cmp_eq_u32 s35, 0
	v_add_co_ci_u32_e32 v5, vcc_lo, 0, v5, vcc_lo
	v_dual_mov_b32 v10, v13 :: v_dual_lshlrev_b32 v19, 4, v8
	s_cselect_b32 vcc_lo, -1, 0
	s_delay_alu instid0(VALU_DEP_2)
	v_dual_mov_b32 v13, v14 :: v_dual_cndmask_b32 v20, v21, v5
	s_and_b32 s38, s3, s18
	s_and_b32 s39, s4, s18
	v_lshlrev_b32_e32 v22, 6, v8
	s_add_u32 s40, s30, -1
	s_addc_u32 s41, s31, -1
	v_cndmask_b32_e32 v21, v11, v4, vcc_lo
	s_and_b32 s18, s30, 7
	s_mov_b32 s19, s36
	v_mov_b32_e32 v4, s36
	v_lshlrev_b64 v[8:9], 2, v[9:10]
	v_lshlrev_b64 v[10:11], 2, v[2:3]
	;; [unrolled: 1-line block ×4, first 2 shown]
	v_cmp_gt_u64_e64 s40, s[40:41], 6
	v_add_co_ci_u32_e64 v17, null, s21, 0, s34
	v_add_lshl_u32 v19, v19, v6, 2
	s_and_b32 s35, s31, 0x7fffffff
	s_and_b32 s34, s30, -8
	v_dual_mov_b32 v5, s37 :: v_dual_add_nc_u32 v24, 0x400, v22
	s_cmp_lg_u64 s[18:19], 0
	s_mul_i32 s15, s30, s30
	s_cselect_b32 s41, -1, 0
	s_branch .LBB10_13
.LBB10_11:                              ;   in Loop: Header=BB10_13 Depth=1
	s_or_b32 exec_lo, exec_lo, s43
.LBB10_12:                              ;   in Loop: Header=BB10_13 Depth=1
	s_delay_alu instid0(SALU_CYCLE_1) | instskip(SKIP_2) | instid1(SALU_CYCLE_1)
	s_or_b32 exec_lo, exec_lo, s42
	s_add_u32 s28, s28, 1
	s_addc_u32 s29, s29, 0
	v_cmp_ge_i64_e64 s36, s[28:29], s[26:27]
	s_barrier
	buffer_gl0_inv
	s_and_b32 vcc_lo, exec_lo, s36
	s_cbranch_vccnz .LBB10_37
.LBB10_13:                              ; =>This Loop Header: Depth=1
                                        ;     Child Loop BB10_24 Depth 2
                                        ;     Child Loop BB10_28 Depth 2
	;; [unrolled: 1-line block ×4, first 2 shown]
	s_and_saveexec_b32 s36, s2
	s_cbranch_execz .LBB10_18
; %bb.14:                               ;   in Loop: Header=BB10_13 Depth=1
	s_lshl_b64 s[42:43], s[28:29], 3
	s_delay_alu instid0(SALU_CYCLE_1)
	s_add_u32 s42, s16, s42
	s_addc_u32 s43, s17, s43
	s_load_b64 s[42:43], s[42:43], 0x0
	s_waitcnt lgkmcnt(0)
	s_sub_u32 s37, s42, s9
	s_subb_u32 s42, s43, 0
	s_mul_i32 s43, s37, s31
	s_mul_hi_u32 s44, s37, s30
	s_mul_i32 s45, s42, s30
	s_add_i32 s43, s44, s43
	s_mul_i32 s42, s37, s30
	s_add_i32 s43, s43, s45
	v_add_co_u32 v27, s37, s42, v6
	s_delay_alu instid0(VALU_DEP_1) | instskip(SKIP_1) | instid1(VALU_DEP_2)
	v_add_co_ci_u32_e64 v28, null, s43, 0, s37
	s_lshl_b64 s[42:43], s[42:43], 2
	v_mul_lo_u32 v29, v27, s23
	v_mad_u64_u32 v[25:26], null, v27, s22, 0
	s_delay_alu instid0(VALU_DEP_3) | instskip(NEXT) | instid1(VALU_DEP_1)
	v_mul_lo_u32 v27, v28, s22
	v_add3_u32 v26, v26, v29, v27
	s_delay_alu instid0(VALU_DEP_1) | instskip(NEXT) | instid1(VALU_DEP_1)
	v_lshlrev_b64 v[25:26], 2, v[25:26]
	v_add_co_u32 v25, vcc_lo, s20, v25
	s_delay_alu instid0(VALU_DEP_2)
	v_add_co_ci_u32_e32 v26, vcc_lo, s21, v26, vcc_lo
	v_add_co_u32 v27, vcc_lo, v16, s42
	v_add_co_ci_u32_e32 v28, vcc_lo, s43, v17, vcc_lo
	s_and_saveexec_b32 s37, s3
	s_cbranch_execz .LBB10_16
; %bb.15:                               ;   in Loop: Header=BB10_13 Depth=1
	s_delay_alu instid0(VALU_DEP_2) | instskip(NEXT) | instid1(VALU_DEP_2)
	v_add_co_u32 v29, vcc_lo, v27, v8
	v_add_co_ci_u32_e32 v30, vcc_lo, v28, v9, vcc_lo
	v_add_co_u32 v31, vcc_lo, v25, v10
	v_add_co_ci_u32_e32 v32, vcc_lo, v26, v11, vcc_lo
	s_delay_alu instid0(VALU_DEP_2) | instskip(NEXT) | instid1(VALU_DEP_2)
	v_cndmask_b32_e64 v29, v31, v29, s5
	v_cndmask_b32_e64 v30, v32, v30, s5
	global_load_b32 v29, v[29:30], off
	s_waitcnt vmcnt(0)
	ds_store_b32 v19, v29
.LBB10_16:                              ;   in Loop: Header=BB10_13 Depth=1
	s_or_b32 exec_lo, exec_lo, s37
	s_delay_alu instid0(SALU_CYCLE_1)
	s_and_b32 exec_lo, exec_lo, s4
	s_cbranch_execz .LBB10_18
; %bb.17:                               ;   in Loop: Header=BB10_13 Depth=1
	v_add_co_u32 v27, vcc_lo, v27, v12
	v_add_co_ci_u32_e32 v28, vcc_lo, v28, v13, vcc_lo
	v_add_co_u32 v25, vcc_lo, v25, v14
	v_add_co_ci_u32_e32 v26, vcc_lo, v26, v15, vcc_lo
	s_delay_alu instid0(VALU_DEP_2) | instskip(NEXT) | instid1(VALU_DEP_2)
	v_cndmask_b32_e64 v25, v25, v27, s5
	v_cndmask_b32_e64 v26, v26, v28, s5
	global_load_b32 v25, v[25:26], off
	s_waitcnt vmcnt(0)
	ds_store_b32 v19, v25 offset:1024
.LBB10_18:                              ;   in Loop: Header=BB10_13 Depth=1
	s_or_b32 exec_lo, exec_lo, s36
	s_and_saveexec_b32 s36, s33
	s_cbranch_execz .LBB10_20
; %bb.19:                               ;   in Loop: Header=BB10_13 Depth=1
	s_mul_i32 s37, s15, s29
	s_mul_hi_u32 s42, s15, s28
	s_mul_i32 s43, s25, s28
	s_add_i32 s37, s42, s37
	s_mul_i32 s42, s15, s28
	s_add_i32 s43, s37, s43
	s_delay_alu instid0(SALU_CYCLE_1) | instskip(NEXT) | instid1(SALU_CYCLE_1)
	s_lshl_b64 s[42:43], s[42:43], 2
	v_add_co_u32 v25, vcc_lo, v21, s42
	v_add_co_ci_u32_e32 v26, vcc_lo, s43, v20, vcc_lo
	global_load_b32 v25, v[25:26], off
	s_waitcnt vmcnt(0)
	ds_store_b32 v18, v25
.LBB10_20:                              ;   in Loop: Header=BB10_13 Depth=1
	s_or_b32 exec_lo, exec_lo, s36
	s_waitcnt lgkmcnt(0)
	s_barrier
	buffer_gl0_inv
	s_and_saveexec_b32 s42, s2
	s_cbranch_execz .LBB10_12
; %bb.21:                               ;   in Loop: Header=BB10_13 Depth=1
	s_and_saveexec_b32 s43, s38
	s_cbranch_execz .LBB10_29
; %bb.22:                               ;   in Loop: Header=BB10_13 Depth=1
	s_and_not1_b32 vcc_lo, exec_lo, s40
	s_cbranch_vccnz .LBB10_26
; %bb.23:                               ;   in Loop: Header=BB10_13 Depth=1
	v_dual_mov_b32 v25, v23 :: v_dual_mov_b32 v26, v22
	s_mov_b64 s[36:37], 0
	.p2align	6
.LBB10_24:                              ;   Parent Loop BB10_13 Depth=1
                                        ; =>  This Inner Loop Header: Depth=2
	ds_load_b128 v[27:30], v26
	ds_load_b128 v[31:34], v25
	ds_load_b128 v[35:38], v25 offset:16
	ds_load_b128 v[39:42], v26 offset:16
	s_add_u32 s36, s36, 8
	v_add_nc_u32_e32 v26, 32, v26
	s_addc_u32 s37, s37, 0
	v_add_nc_u32_e32 v25, 32, v25
	s_cmp_lg_u64 s[34:35], s[36:37]
	s_waitcnt lgkmcnt(2)
	v_fma_f32 v4, v31, v27, v4
	s_delay_alu instid0(VALU_DEP_1) | instskip(NEXT) | instid1(VALU_DEP_1)
	v_fmac_f32_e32 v4, v32, v28
	v_fmac_f32_e32 v4, v33, v29
	s_delay_alu instid0(VALU_DEP_1) | instskip(SKIP_1) | instid1(VALU_DEP_1)
	v_fmac_f32_e32 v4, v34, v30
	s_waitcnt lgkmcnt(0)
	v_fmac_f32_e32 v4, v35, v39
	s_delay_alu instid0(VALU_DEP_1) | instskip(NEXT) | instid1(VALU_DEP_1)
	v_fmac_f32_e32 v4, v36, v40
	v_fmac_f32_e32 v4, v37, v41
	s_delay_alu instid0(VALU_DEP_1)
	v_fmac_f32_e32 v4, v38, v42
	s_cbranch_scc1 .LBB10_24
; %bb.25:                               ;   in Loop: Header=BB10_13 Depth=1
	s_mov_b64 s[36:37], s[34:35]
	s_and_not1_b32 vcc_lo, exec_lo, s41
	s_cbranch_vccz .LBB10_27
	s_branch .LBB10_29
.LBB10_26:                              ;   in Loop: Header=BB10_13 Depth=1
	s_mov_b64 s[36:37], 0
	s_and_not1_b32 vcc_lo, exec_lo, s41
	s_cbranch_vccnz .LBB10_29
.LBB10_27:                              ;   in Loop: Header=BB10_13 Depth=1
	s_lshl_b32 s36, s36, 2
	s_delay_alu instid0(SALU_CYCLE_1)
	v_add_nc_u32_e32 v25, s36, v22
	v_add_nc_u32_e32 v26, s36, v23
	s_mov_b64 s[36:37], s[18:19]
.LBB10_28:                              ;   Parent Loop BB10_13 Depth=1
                                        ; =>  This Inner Loop Header: Depth=2
	ds_load_b32 v27, v26
	ds_load_b32 v28, v25
	v_add_nc_u32_e32 v25, 4, v25
	v_add_nc_u32_e32 v26, 4, v26
	s_add_u32 s36, s36, -1
	s_addc_u32 s37, s37, -1
	s_delay_alu instid0(SALU_CYCLE_1)
	s_cmp_lg_u64 s[36:37], 0
	s_waitcnt lgkmcnt(0)
	v_fma_f32 v4, v27, v28, v4
	s_cbranch_scc1 .LBB10_28
.LBB10_29:                              ;   in Loop: Header=BB10_13 Depth=1
	s_or_b32 exec_lo, exec_lo, s43
	s_and_saveexec_b32 s43, s39
	s_cbranch_execz .LBB10_11
; %bb.30:                               ;   in Loop: Header=BB10_13 Depth=1
	s_and_not1_b32 vcc_lo, exec_lo, s40
	s_cbranch_vccnz .LBB10_34
; %bb.31:                               ;   in Loop: Header=BB10_13 Depth=1
	v_dual_mov_b32 v25, v23 :: v_dual_mov_b32 v26, v24
	s_mov_b64 s[36:37], 0
	.p2align	6
.LBB10_32:                              ;   Parent Loop BB10_13 Depth=1
                                        ; =>  This Inner Loop Header: Depth=2
	ds_load_b128 v[27:30], v26
	ds_load_b128 v[31:34], v25
	ds_load_b128 v[35:38], v25 offset:16
	ds_load_b128 v[39:42], v26 offset:16
	s_add_u32 s36, s36, 8
	v_add_nc_u32_e32 v25, 32, v25
	s_addc_u32 s37, s37, 0
	v_add_nc_u32_e32 v26, 32, v26
	s_cmp_lg_u64 s[34:35], s[36:37]
	s_waitcnt lgkmcnt(2)
	v_fma_f32 v5, v31, v27, v5
	s_delay_alu instid0(VALU_DEP_1) | instskip(NEXT) | instid1(VALU_DEP_1)
	v_fmac_f32_e32 v5, v32, v28
	v_fmac_f32_e32 v5, v33, v29
	s_delay_alu instid0(VALU_DEP_1) | instskip(SKIP_1) | instid1(VALU_DEP_1)
	v_fmac_f32_e32 v5, v34, v30
	s_waitcnt lgkmcnt(0)
	v_fmac_f32_e32 v5, v35, v39
	s_delay_alu instid0(VALU_DEP_1) | instskip(NEXT) | instid1(VALU_DEP_1)
	v_fmac_f32_e32 v5, v36, v40
	v_fmac_f32_e32 v5, v37, v41
	s_delay_alu instid0(VALU_DEP_1)
	v_fmac_f32_e32 v5, v38, v42
	s_cbranch_scc1 .LBB10_32
; %bb.33:                               ;   in Loop: Header=BB10_13 Depth=1
	s_mov_b64 s[36:37], s[34:35]
	s_and_not1_b32 vcc_lo, exec_lo, s41
	s_cbranch_vccz .LBB10_35
	s_branch .LBB10_11
.LBB10_34:                              ;   in Loop: Header=BB10_13 Depth=1
	s_mov_b64 s[36:37], 0
	s_and_not1_b32 vcc_lo, exec_lo, s41
	s_cbranch_vccnz .LBB10_11
.LBB10_35:                              ;   in Loop: Header=BB10_13 Depth=1
	s_lshl_b32 s36, s36, 2
	s_delay_alu instid0(SALU_CYCLE_1)
	v_add_nc_u32_e32 v25, s36, v24
	v_add_nc_u32_e32 v26, s36, v23
	s_mov_b64 s[36:37], s[18:19]
.LBB10_36:                              ;   Parent Loop BB10_13 Depth=1
                                        ; =>  This Inner Loop Header: Depth=2
	ds_load_b32 v27, v26
	ds_load_b32 v28, v25
	v_add_nc_u32_e32 v25, 4, v25
	v_add_nc_u32_e32 v26, 4, v26
	s_add_u32 s36, s36, -1
	s_addc_u32 s37, s37, -1
	s_delay_alu instid0(SALU_CYCLE_1)
	s_cmp_lg_u64 s[36:37], 0
	s_waitcnt lgkmcnt(0)
	v_fma_f32 v5, v27, v28, v5
	s_cbranch_scc1 .LBB10_36
	s_branch .LBB10_11
.LBB10_37:
	s_delay_alu instid0(VALU_DEP_1) | instskip(NEXT) | instid1(SALU_CYCLE_1)
	s_and_b32 s2, s13, s2
	s_and_saveexec_b32 s3, s2
	s_cbranch_execz .LBB10_57
; %bb.38:
	v_mad_u64_u32 v[8:9], null, s14, s30, v[6:7]
	s_load_b64 s[2:3], s[0:1], 0x78
	v_cmp_neq_f32_e64 s4, s24, 0
	s_cmp_lg_u32 s8, 1
	s_cselect_b32 s1, -1, 0
	s_delay_alu instid0(VALU_DEP_2) | instskip(NEXT) | instid1(VALU_DEP_1)
	v_mov_b32_e32 v6, v9
	v_mad_u64_u32 v[9:10], null, s14, s31, v[6:7]
	s_waitcnt lgkmcnt(0)
	v_mul_lo_u32 v10, v8, s3
	v_mad_u64_u32 v[6:7], null, v8, s2, 0
	s_delay_alu instid0(VALU_DEP_3) | instskip(NEXT) | instid1(VALU_DEP_1)
	v_mul_lo_u32 v11, v9, s2
	v_add3_u32 v7, v7, v10, v11
	v_lshlrev_b64 v[10:11], 2, v[8:9]
	s_delay_alu instid0(VALU_DEP_2) | instskip(NEXT) | instid1(VALU_DEP_1)
	v_lshlrev_b64 v[6:7], 2, v[6:7]
	v_add_co_u32 v8, s0, s10, v6
	s_delay_alu instid0(VALU_DEP_1) | instskip(NEXT) | instid1(VALU_DEP_4)
	v_add_co_ci_u32_e64 v9, s0, s11, v7, s0
	v_add_co_u32 v6, s0, s10, v10
	s_delay_alu instid0(VALU_DEP_1)
	v_add_co_ci_u32_e64 v7, s0, s11, v11, s0
	s_mov_b32 s0, exec_lo
	v_cmpx_gt_i64_e64 s[6:7], v[2:3]
	s_cbranch_execz .LBB10_50
; %bb.39:
	s_and_b32 vcc_lo, exec_lo, s4
	s_cbranch_vccz .LBB10_45
; %bb.40:
	s_and_b32 vcc_lo, exec_lo, s1
	s_mov_b32 s5, -1
	s_cbranch_vccz .LBB10_42
; %bb.41:
	v_lshlrev_b64 v[10:11], 2, v[2:3]
	v_mul_f32_e32 v13, s12, v4
	s_mov_b32 s5, 0
	s_delay_alu instid0(VALU_DEP_2) | instskip(NEXT) | instid1(VALU_DEP_3)
	v_add_co_u32 v10, vcc_lo, v8, v10
	v_add_co_ci_u32_e32 v11, vcc_lo, v9, v11, vcc_lo
	global_load_b32 v12, v[10:11], off
	s_waitcnt vmcnt(0)
	v_fmac_f32_e32 v13, s24, v12
	global_store_b32 v[10:11], v13, off
.LBB10_42:
	s_and_not1_b32 vcc_lo, exec_lo, s5
	s_cbranch_vccnz .LBB10_44
; %bb.43:
	v_mad_u64_u32 v[10:11], null, v2, s2, 0
	s_delay_alu instid0(VALU_DEP_1) | instskip(SKIP_1) | instid1(VALU_DEP_2)
	v_mad_u64_u32 v[12:13], null, v2, s3, v[11:12]
	v_mul_f32_e32 v13, s12, v4
	v_mov_b32_e32 v11, v12
	s_delay_alu instid0(VALU_DEP_1) | instskip(NEXT) | instid1(VALU_DEP_1)
	v_lshlrev_b64 v[10:11], 2, v[10:11]
	v_add_co_u32 v10, vcc_lo, v6, v10
	s_delay_alu instid0(VALU_DEP_2)
	v_add_co_ci_u32_e32 v11, vcc_lo, v7, v11, vcc_lo
	global_load_b32 v12, v[10:11], off
	s_waitcnt vmcnt(0)
	v_fmac_f32_e32 v13, s24, v12
	global_store_b32 v[10:11], v13, off
.LBB10_44:
	s_cbranch_execz .LBB10_46
	s_branch .LBB10_50
.LBB10_45:
.LBB10_46:
	v_mul_f32_e32 v4, s12, v4
	s_and_b32 vcc_lo, exec_lo, s1
	s_mov_b32 s5, -1
	s_cbranch_vccz .LBB10_48
; %bb.47:
	v_lshlrev_b64 v[10:11], 2, v[2:3]
	s_mov_b32 s5, 0
	s_delay_alu instid0(VALU_DEP_1) | instskip(NEXT) | instid1(VALU_DEP_2)
	v_add_co_u32 v10, vcc_lo, v8, v10
	v_add_co_ci_u32_e32 v11, vcc_lo, v9, v11, vcc_lo
	global_store_b32 v[10:11], v4, off
.LBB10_48:
	s_and_not1_b32 vcc_lo, exec_lo, s5
	s_cbranch_vccnz .LBB10_50
; %bb.49:
	v_mad_u64_u32 v[10:11], null, v2, s2, 0
	s_delay_alu instid0(VALU_DEP_1) | instskip(NEXT) | instid1(VALU_DEP_1)
	v_mov_b32_e32 v3, v11
	v_mad_u64_u32 v[11:12], null, v2, s3, v[3:4]
	s_delay_alu instid0(VALU_DEP_1) | instskip(NEXT) | instid1(VALU_DEP_1)
	v_lshlrev_b64 v[2:3], 2, v[10:11]
	v_add_co_u32 v2, vcc_lo, v6, v2
	s_delay_alu instid0(VALU_DEP_2)
	v_add_co_ci_u32_e32 v3, vcc_lo, v7, v3, vcc_lo
	global_store_b32 v[2:3], v4, off
.LBB10_50:
	s_or_b32 exec_lo, exec_lo, s0
	v_cmp_gt_i64_e32 vcc_lo, s[6:7], v[0:1]
	s_and_b32 exec_lo, exec_lo, vcc_lo
	s_cbranch_execz .LBB10_57
; %bb.51:
	v_cndmask_b32_e64 v2, 0, 1, s1
	s_and_not1_b32 vcc_lo, exec_lo, s4
	s_delay_alu instid0(VALU_DEP_1)
	v_cmp_ne_u32_e64 s0, 1, v2
	s_cbranch_vccnz .LBB10_58
; %bb.52:
	s_delay_alu instid0(VALU_DEP_1)
	s_and_b32 vcc_lo, exec_lo, s0
	s_mov_b32 s0, -1
	s_cbranch_vccnz .LBB10_54
; %bb.53:
	v_lshlrev_b64 v[2:3], 2, v[0:1]
	v_mul_f32_e32 v10, s12, v5
	s_mov_b32 s0, 0
	s_delay_alu instid0(VALU_DEP_2) | instskip(NEXT) | instid1(VALU_DEP_3)
	v_add_co_u32 v2, vcc_lo, v8, v2
	v_add_co_ci_u32_e32 v3, vcc_lo, v9, v3, vcc_lo
	global_load_b32 v4, v[2:3], off
	s_waitcnt vmcnt(0)
	v_fmac_f32_e32 v10, s24, v4
	global_store_b32 v[2:3], v10, off
.LBB10_54:
	s_and_not1_b32 vcc_lo, exec_lo, s0
	s_cbranch_vccnz .LBB10_56
; %bb.55:
	v_mad_u64_u32 v[2:3], null, v0, s2, 0
	s_delay_alu instid0(VALU_DEP_1) | instskip(NEXT) | instid1(VALU_DEP_1)
	v_mad_u64_u32 v[10:11], null, v0, s3, v[3:4]
	v_dual_mov_b32 v3, v10 :: v_dual_mul_f32 v10, s12, v5
	s_delay_alu instid0(VALU_DEP_1) | instskip(NEXT) | instid1(VALU_DEP_1)
	v_lshlrev_b64 v[2:3], 2, v[2:3]
	v_add_co_u32 v2, vcc_lo, v6, v2
	s_delay_alu instid0(VALU_DEP_2)
	v_add_co_ci_u32_e32 v3, vcc_lo, v7, v3, vcc_lo
	global_load_b32 v4, v[2:3], off
	s_waitcnt vmcnt(0)
	v_fmac_f32_e32 v10, s24, v4
	global_store_b32 v[2:3], v10, off
.LBB10_56:
	s_cbranch_execz .LBB10_59
.LBB10_57:
	s_nop 0
	s_sendmsg sendmsg(MSG_DEALLOC_VGPRS)
	s_endpgm
.LBB10_58:
.LBB10_59:
	v_mul_f32_e32 v2, s12, v5
	s_and_not1_b32 vcc_lo, exec_lo, s1
	s_mov_b32 s0, -1
	s_cbranch_vccnz .LBB10_61
; %bb.60:
	v_lshlrev_b64 v[3:4], 2, v[0:1]
	s_mov_b32 s0, 0
	s_delay_alu instid0(VALU_DEP_1) | instskip(NEXT) | instid1(VALU_DEP_2)
	v_add_co_u32 v3, vcc_lo, v8, v3
	v_add_co_ci_u32_e32 v4, vcc_lo, v9, v4, vcc_lo
	global_store_b32 v[3:4], v2, off
.LBB10_61:
	s_and_not1_b32 vcc_lo, exec_lo, s0
	s_cbranch_vccnz .LBB10_57
; %bb.62:
	v_mad_u64_u32 v[3:4], null, v0, s2, 0
	s_delay_alu instid0(VALU_DEP_1) | instskip(NEXT) | instid1(VALU_DEP_1)
	v_mov_b32_e32 v1, v4
	v_mad_u64_u32 v[4:5], null, v0, s3, v[1:2]
	s_delay_alu instid0(VALU_DEP_1) | instskip(NEXT) | instid1(VALU_DEP_1)
	v_lshlrev_b64 v[0:1], 2, v[3:4]
	v_add_co_u32 v0, vcc_lo, v6, v0
	s_delay_alu instid0(VALU_DEP_2)
	v_add_co_ci_u32_e32 v1, vcc_lo, v7, v1, vcc_lo
	global_store_b32 v[0:1], v2, off
	s_nop 0
	s_sendmsg sendmsg(MSG_DEALLOC_VGPRS)
	s_endpgm
	.section	.rodata,"a",@progbits
	.p2align	6, 0x0
	.amdhsa_kernel _ZN9rocsparseL31bsrmm_large_blockdim_kernel_extILj16ELj16ELj2EllffffEEvb20rocsparse_direction_T3_S2_llNS_24const_host_device_scalarIT7_EEPKT2_PKS2_PKT4_S2_PKT5_llS5_PT6_ll16rocsparse_order_21rocsparse_index_base_b
		.amdhsa_group_segment_fixed_size 3072
		.amdhsa_private_segment_fixed_size 0
		.amdhsa_kernarg_size 148
		.amdhsa_user_sgpr_count 14
		.amdhsa_user_sgpr_dispatch_ptr 0
		.amdhsa_user_sgpr_queue_ptr 0
		.amdhsa_user_sgpr_kernarg_segment_ptr 1
		.amdhsa_user_sgpr_dispatch_id 0
		.amdhsa_user_sgpr_private_segment_size 0
		.amdhsa_wavefront_size32 1
		.amdhsa_uses_dynamic_stack 0
		.amdhsa_enable_private_segment 0
		.amdhsa_system_sgpr_workgroup_id_x 1
		.amdhsa_system_sgpr_workgroup_id_y 1
		.amdhsa_system_sgpr_workgroup_id_z 0
		.amdhsa_system_sgpr_workgroup_info 0
		.amdhsa_system_vgpr_workitem_id 1
		.amdhsa_next_free_vgpr 43
		.amdhsa_next_free_sgpr 46
		.amdhsa_reserve_vcc 1
		.amdhsa_float_round_mode_32 0
		.amdhsa_float_round_mode_16_64 0
		.amdhsa_float_denorm_mode_32 3
		.amdhsa_float_denorm_mode_16_64 3
		.amdhsa_dx10_clamp 1
		.amdhsa_ieee_mode 1
		.amdhsa_fp16_overflow 0
		.amdhsa_workgroup_processor_mode 1
		.amdhsa_memory_ordered 1
		.amdhsa_forward_progress 0
		.amdhsa_shared_vgpr_count 0
		.amdhsa_exception_fp_ieee_invalid_op 0
		.amdhsa_exception_fp_denorm_src 0
		.amdhsa_exception_fp_ieee_div_zero 0
		.amdhsa_exception_fp_ieee_overflow 0
		.amdhsa_exception_fp_ieee_underflow 0
		.amdhsa_exception_fp_ieee_inexact 0
		.amdhsa_exception_int_div_zero 0
	.end_amdhsa_kernel
	.section	.text._ZN9rocsparseL31bsrmm_large_blockdim_kernel_extILj16ELj16ELj2EllffffEEvb20rocsparse_direction_T3_S2_llNS_24const_host_device_scalarIT7_EEPKT2_PKS2_PKT4_S2_PKT5_llS5_PT6_ll16rocsparse_order_21rocsparse_index_base_b,"axG",@progbits,_ZN9rocsparseL31bsrmm_large_blockdim_kernel_extILj16ELj16ELj2EllffffEEvb20rocsparse_direction_T3_S2_llNS_24const_host_device_scalarIT7_EEPKT2_PKS2_PKT4_S2_PKT5_llS5_PT6_ll16rocsparse_order_21rocsparse_index_base_b,comdat
.Lfunc_end10:
	.size	_ZN9rocsparseL31bsrmm_large_blockdim_kernel_extILj16ELj16ELj2EllffffEEvb20rocsparse_direction_T3_S2_llNS_24const_host_device_scalarIT7_EEPKT2_PKS2_PKT4_S2_PKT5_llS5_PT6_ll16rocsparse_order_21rocsparse_index_base_b, .Lfunc_end10-_ZN9rocsparseL31bsrmm_large_blockdim_kernel_extILj16ELj16ELj2EllffffEEvb20rocsparse_direction_T3_S2_llNS_24const_host_device_scalarIT7_EEPKT2_PKS2_PKT4_S2_PKT5_llS5_PT6_ll16rocsparse_order_21rocsparse_index_base_b
                                        ; -- End function
	.section	.AMDGPU.csdata,"",@progbits
; Kernel info:
; codeLenInByte = 2640
; NumSgprs: 48
; NumVgprs: 43
; ScratchSize: 0
; MemoryBound: 0
; FloatMode: 240
; IeeeMode: 1
; LDSByteSize: 3072 bytes/workgroup (compile time only)
; SGPRBlocks: 5
; VGPRBlocks: 5
; NumSGPRsForWavesPerEU: 48
; NumVGPRsForWavesPerEU: 43
; Occupancy: 16
; WaveLimiterHint : 1
; COMPUTE_PGM_RSRC2:SCRATCH_EN: 0
; COMPUTE_PGM_RSRC2:USER_SGPR: 14
; COMPUTE_PGM_RSRC2:TRAP_HANDLER: 0
; COMPUTE_PGM_RSRC2:TGID_X_EN: 1
; COMPUTE_PGM_RSRC2:TGID_Y_EN: 1
; COMPUTE_PGM_RSRC2:TGID_Z_EN: 0
; COMPUTE_PGM_RSRC2:TIDIG_COMP_CNT: 1
	.section	.text._ZN9rocsparseL31bsrmm_large_blockdim_kernel_extILj32ELj32ELj2EllffffEEvb20rocsparse_direction_T3_S2_llNS_24const_host_device_scalarIT7_EEPKT2_PKS2_PKT4_S2_PKT5_llS5_PT6_ll16rocsparse_order_21rocsparse_index_base_b,"axG",@progbits,_ZN9rocsparseL31bsrmm_large_blockdim_kernel_extILj32ELj32ELj2EllffffEEvb20rocsparse_direction_T3_S2_llNS_24const_host_device_scalarIT7_EEPKT2_PKS2_PKT4_S2_PKT5_llS5_PT6_ll16rocsparse_order_21rocsparse_index_base_b,comdat
	.globl	_ZN9rocsparseL31bsrmm_large_blockdim_kernel_extILj32ELj32ELj2EllffffEEvb20rocsparse_direction_T3_S2_llNS_24const_host_device_scalarIT7_EEPKT2_PKS2_PKT4_S2_PKT5_llS5_PT6_ll16rocsparse_order_21rocsparse_index_base_b ; -- Begin function _ZN9rocsparseL31bsrmm_large_blockdim_kernel_extILj32ELj32ELj2EllffffEEvb20rocsparse_direction_T3_S2_llNS_24const_host_device_scalarIT7_EEPKT2_PKS2_PKT4_S2_PKT5_llS5_PT6_ll16rocsparse_order_21rocsparse_index_base_b
	.p2align	8
	.type	_ZN9rocsparseL31bsrmm_large_blockdim_kernel_extILj32ELj32ELj2EllffffEEvb20rocsparse_direction_T3_S2_llNS_24const_host_device_scalarIT7_EEPKT2_PKS2_PKT4_S2_PKT5_llS5_PT6_ll16rocsparse_order_21rocsparse_index_base_b,@function
_ZN9rocsparseL31bsrmm_large_blockdim_kernel_extILj32ELj32ELj2EllffffEEvb20rocsparse_direction_T3_S2_llNS_24const_host_device_scalarIT7_EEPKT2_PKS2_PKT4_S2_PKT5_llS5_PT6_ll16rocsparse_order_21rocsparse_index_base_b: ; @_ZN9rocsparseL31bsrmm_large_blockdim_kernel_extILj32ELj32ELj2EllffffEEvb20rocsparse_direction_T3_S2_llNS_24const_host_device_scalarIT7_EEPKT2_PKS2_PKT4_S2_PKT5_llS5_PT6_ll16rocsparse_order_21rocsparse_index_base_b
; %bb.0:
	s_clause 0x2
	s_load_b128 s[8:11], s[0:1], 0x88
	s_load_b64 s[12:13], s[0:1], 0x28
	s_load_b64 s[24:25], s[0:1], 0x68
	s_mov_b32 s2, s15
	s_waitcnt lgkmcnt(0)
	s_bitcmp1_b32 s10, 0
	s_cselect_b32 s3, -1, 0
	s_delay_alu instid0(SALU_CYCLE_1)
	s_and_b32 vcc_lo, exec_lo, s3
	s_xor_b32 s3, s3, -1
	s_cbranch_vccnz .LBB11_2
; %bb.1:
	s_load_b32 s12, s[12:13], 0x0
.LBB11_2:
	s_and_not1_b32 vcc_lo, exec_lo, s3
	s_cbranch_vccnz .LBB11_4
; %bb.3:
	s_load_b32 s24, s[24:25], 0x0
.LBB11_4:
	s_waitcnt lgkmcnt(0)
	v_cmp_eq_f32_e64 s3, s12, 0
	v_cmp_eq_f32_e64 s4, s24, 1.0
	s_delay_alu instid0(VALU_DEP_1) | instskip(NEXT) | instid1(SALU_CYCLE_1)
	s_and_b32 s3, s3, s4
	s_and_b32 vcc_lo, exec_lo, s3
	s_cbranch_vccnz .LBB11_57
; %bb.5:
	s_clause 0x1
	s_load_b128 s[4:7], s[0:1], 0x8
	s_load_b64 s[10:11], s[0:1], 0x30
	s_ashr_i32 s15, s14, 31
	s_mov_b64 s[26:27], 0
	s_mov_b64 s[28:29], 0
	s_waitcnt lgkmcnt(0)
	v_cmp_ge_i64_e64 s3, s[14:15], s[4:5]
	v_cmp_lt_i64_e64 s13, s[14:15], s[4:5]
	s_delay_alu instid0(VALU_DEP_2)
	s_and_b32 vcc_lo, exec_lo, s3
	s_cbranch_vccnz .LBB11_7
; %bb.6:
	s_lshl_b64 s[4:5], s[14:15], 3
	s_delay_alu instid0(SALU_CYCLE_1)
	s_add_u32 s4, s10, s4
	s_addc_u32 s5, s11, s5
	s_load_b64 s[4:5], s[4:5], 0x0
	s_waitcnt lgkmcnt(0)
	s_sub_u32 s28, s4, s9
	s_subb_u32 s29, s5, 0
.LBB11_7:
	s_delay_alu instid0(VALU_DEP_1)
	s_and_not1_b32 vcc_lo, exec_lo, s13
	s_cbranch_vccnz .LBB11_9
; %bb.8:
	s_lshl_b64 s[4:5], s[14:15], 3
	s_delay_alu instid0(SALU_CYCLE_1)
	s_add_u32 s4, s10, s4
	s_addc_u32 s5, s11, s5
	s_load_b64 s[4:5], s[4:5], 0x8
	s_waitcnt lgkmcnt(0)
	s_sub_u32 s26, s4, s9
	s_subb_u32 s27, s5, 0
.LBB11_9:
	s_clause 0x1
	s_load_b64 s[30:31], s[0:1], 0x48
	s_load_b64 s[10:11], s[0:1], 0x70
	v_bfe_u32 v8, v0, 10, 10
	v_dual_mov_b32 v3, 0 :: v_dual_and_b32 v6, 0x3ff, v0
	s_mov_b32 s36, 0
	s_delay_alu instid0(VALU_DEP_2) | instskip(SKIP_1) | instid1(VALU_DEP_3)
	v_lshl_add_u32 v2, s2, 6, v8
	v_cmp_ge_i64_e64 s2, s[28:29], s[26:27]
	v_mov_b32_e32 v1, v3
	s_mov_b32 s37, s36
	v_dual_mov_b32 v7, v3 :: v_dual_mov_b32 v4, s36
	v_add_nc_u32_e32 v0, 32, v2
	s_delay_alu instid0(VALU_DEP_4) | instskip(SKIP_2) | instid1(VALU_DEP_3)
	s_and_b32 vcc_lo, exec_lo, s2
	v_cmp_gt_i64_e64 s3, s[6:7], v[2:3]
	v_mov_b32_e32 v5, s37
	v_cmp_gt_i64_e64 s4, s[6:7], v[0:1]
	s_waitcnt lgkmcnt(0)
	v_cmp_gt_i64_e64 s2, s[30:31], v[6:7]
	s_cbranch_vccnz .LBB11_37
; %bb.10:
	v_mad_u64_u32 v[4:5], null, v8, s30, 0
	s_clause 0x2
	s_load_b64 s[34:35], s[0:1], 0x0
	s_load_b128 s[16:19], s[0:1], 0x38
	s_load_b128 s[20:23], s[0:1], 0x50
	v_mad_u64_u32 v[10:11], null, v6, s30, 0
	v_dual_mov_b32 v9, v3 :: v_dual_lshlrev_b32 v14, 2, v6
	v_lshl_add_u32 v20, v6, 5, v8
	v_mad_u64_u32 v[12:13], null, v8, s31, v[5:6]
	s_delay_alu instid0(VALU_DEP_3)
	v_cmp_gt_i64_e32 vcc_lo, s[30:31], v[8:9]
	v_mov_b32_e32 v9, v11
	s_mul_i32 s5, s30, s31
	s_mul_hi_u32 s25, s30, s30
	v_lshl_add_u32 v23, v6, 7, 0x2000
	s_add_i32 s25, s25, s5
	s_delay_alu instid0(VALU_DEP_4) | instskip(SKIP_2) | instid1(VALU_DEP_2)
	v_dual_mov_b32 v5, v12 :: v_dual_lshlrev_b32 v22, 2, v8
	v_mad_u64_u32 v[11:12], null, v6, s31, v[9:10]
	s_and_b32 s33, s2, vcc_lo
	v_lshlrev_b64 v[4:5], 2, v[4:5]
	s_waitcnt lgkmcnt(0)
	v_mad_u64_u32 v[12:13], null, v0, s22, 0
	s_add_i32 s25, s25, s5
	s_bitcmp1_b32 s34, 0
	v_add_co_u32 v16, s34, s20, v14
	v_add_co_u32 v15, vcc_lo, s18, v4
	v_add_co_ci_u32_e32 v18, vcc_lo, s19, v5, vcc_lo
	v_lshlrev_b64 v[4:5], 2, v[10:11]
	s_delay_alu instid0(VALU_DEP_3) | instskip(SKIP_1) | instid1(VALU_DEP_4)
	v_add_co_u32 v11, vcc_lo, v15, v14
	v_mad_u64_u32 v[9:10], null, v2, s22, 0
	v_add_co_ci_u32_e32 v21, vcc_lo, 0, v18, vcc_lo
	v_lshl_add_u32 v18, v20, 2, 0x2000
	v_add_co_u32 v20, vcc_lo, s18, v4
	v_add_co_ci_u32_e32 v5, vcc_lo, s19, v5, vcc_lo
	v_mov_b32_e32 v4, v13
	v_mad_u64_u32 v[13:14], null, v2, s23, v[10:11]
	v_cmp_gt_i64_e64 s18, s[30:31], 0
	s_cselect_b32 s5, -1, 0
	s_delay_alu instid0(VALU_DEP_3)
	v_mad_u64_u32 v[14:15], null, v0, s23, v[4:5]
	v_add_co_u32 v4, vcc_lo, v20, v22
	s_cmp_eq_u32 s35, 0
	v_add_co_ci_u32_e32 v5, vcc_lo, 0, v5, vcc_lo
	v_dual_mov_b32 v10, v13 :: v_dual_lshlrev_b32 v19, 5, v8
	s_cselect_b32 vcc_lo, -1, 0
	s_delay_alu instid0(VALU_DEP_2)
	v_dual_mov_b32 v13, v14 :: v_dual_cndmask_b32 v20, v21, v5
	s_and_b32 s38, s3, s18
	s_and_b32 s39, s4, s18
	v_lshlrev_b32_e32 v22, 7, v8
	s_add_u32 s40, s30, -1
	s_addc_u32 s41, s31, -1
	v_cndmask_b32_e32 v21, v11, v4, vcc_lo
	s_and_b32 s18, s30, 7
	s_mov_b32 s19, s36
	v_mov_b32_e32 v4, s36
	v_lshlrev_b64 v[8:9], 2, v[9:10]
	v_lshlrev_b64 v[10:11], 2, v[2:3]
	;; [unrolled: 1-line block ×4, first 2 shown]
	v_cmp_gt_u64_e64 s40, s[40:41], 6
	v_add_co_ci_u32_e64 v17, null, s21, 0, s34
	v_add_lshl_u32 v19, v19, v6, 2
	s_and_b32 s35, s31, 0x7fffffff
	s_and_b32 s34, s30, -8
	v_dual_mov_b32 v5, s37 :: v_dual_add_nc_u32 v24, 0x1000, v22
	s_cmp_lg_u64 s[18:19], 0
	s_mul_i32 s15, s30, s30
	s_cselect_b32 s41, -1, 0
	s_branch .LBB11_13
.LBB11_11:                              ;   in Loop: Header=BB11_13 Depth=1
	s_or_b32 exec_lo, exec_lo, s43
.LBB11_12:                              ;   in Loop: Header=BB11_13 Depth=1
	s_delay_alu instid0(SALU_CYCLE_1) | instskip(SKIP_2) | instid1(SALU_CYCLE_1)
	s_or_b32 exec_lo, exec_lo, s42
	s_add_u32 s28, s28, 1
	s_addc_u32 s29, s29, 0
	v_cmp_ge_i64_e64 s36, s[28:29], s[26:27]
	s_barrier
	buffer_gl0_inv
	s_and_b32 vcc_lo, exec_lo, s36
	s_cbranch_vccnz .LBB11_37
.LBB11_13:                              ; =>This Loop Header: Depth=1
                                        ;     Child Loop BB11_24 Depth 2
                                        ;     Child Loop BB11_28 Depth 2
	;; [unrolled: 1-line block ×4, first 2 shown]
	s_and_saveexec_b32 s36, s2
	s_cbranch_execz .LBB11_18
; %bb.14:                               ;   in Loop: Header=BB11_13 Depth=1
	s_lshl_b64 s[42:43], s[28:29], 3
	s_delay_alu instid0(SALU_CYCLE_1)
	s_add_u32 s42, s16, s42
	s_addc_u32 s43, s17, s43
	s_load_b64 s[42:43], s[42:43], 0x0
	s_waitcnt lgkmcnt(0)
	s_sub_u32 s37, s42, s9
	s_subb_u32 s42, s43, 0
	s_mul_i32 s43, s37, s31
	s_mul_hi_u32 s44, s37, s30
	s_mul_i32 s45, s42, s30
	s_add_i32 s43, s44, s43
	s_mul_i32 s42, s37, s30
	s_add_i32 s43, s43, s45
	v_add_co_u32 v27, s37, s42, v6
	s_delay_alu instid0(VALU_DEP_1) | instskip(SKIP_1) | instid1(VALU_DEP_2)
	v_add_co_ci_u32_e64 v28, null, s43, 0, s37
	s_lshl_b64 s[42:43], s[42:43], 2
	v_mul_lo_u32 v29, v27, s23
	v_mad_u64_u32 v[25:26], null, v27, s22, 0
	s_delay_alu instid0(VALU_DEP_3) | instskip(NEXT) | instid1(VALU_DEP_1)
	v_mul_lo_u32 v27, v28, s22
	v_add3_u32 v26, v26, v29, v27
	s_delay_alu instid0(VALU_DEP_1) | instskip(NEXT) | instid1(VALU_DEP_1)
	v_lshlrev_b64 v[25:26], 2, v[25:26]
	v_add_co_u32 v25, vcc_lo, s20, v25
	s_delay_alu instid0(VALU_DEP_2)
	v_add_co_ci_u32_e32 v26, vcc_lo, s21, v26, vcc_lo
	v_add_co_u32 v27, vcc_lo, v16, s42
	v_add_co_ci_u32_e32 v28, vcc_lo, s43, v17, vcc_lo
	s_and_saveexec_b32 s37, s3
	s_cbranch_execz .LBB11_16
; %bb.15:                               ;   in Loop: Header=BB11_13 Depth=1
	s_delay_alu instid0(VALU_DEP_2) | instskip(NEXT) | instid1(VALU_DEP_2)
	v_add_co_u32 v29, vcc_lo, v27, v8
	v_add_co_ci_u32_e32 v30, vcc_lo, v28, v9, vcc_lo
	v_add_co_u32 v31, vcc_lo, v25, v10
	v_add_co_ci_u32_e32 v32, vcc_lo, v26, v11, vcc_lo
	s_delay_alu instid0(VALU_DEP_2) | instskip(NEXT) | instid1(VALU_DEP_2)
	v_cndmask_b32_e64 v29, v31, v29, s5
	v_cndmask_b32_e64 v30, v32, v30, s5
	global_load_b32 v29, v[29:30], off
	s_waitcnt vmcnt(0)
	ds_store_b32 v19, v29
.LBB11_16:                              ;   in Loop: Header=BB11_13 Depth=1
	s_or_b32 exec_lo, exec_lo, s37
	s_delay_alu instid0(SALU_CYCLE_1)
	s_and_b32 exec_lo, exec_lo, s4
	s_cbranch_execz .LBB11_18
; %bb.17:                               ;   in Loop: Header=BB11_13 Depth=1
	v_add_co_u32 v27, vcc_lo, v27, v12
	v_add_co_ci_u32_e32 v28, vcc_lo, v28, v13, vcc_lo
	v_add_co_u32 v25, vcc_lo, v25, v14
	v_add_co_ci_u32_e32 v26, vcc_lo, v26, v15, vcc_lo
	s_delay_alu instid0(VALU_DEP_2) | instskip(NEXT) | instid1(VALU_DEP_2)
	v_cndmask_b32_e64 v25, v25, v27, s5
	v_cndmask_b32_e64 v26, v26, v28, s5
	global_load_b32 v25, v[25:26], off
	s_waitcnt vmcnt(0)
	ds_store_b32 v19, v25 offset:4096
.LBB11_18:                              ;   in Loop: Header=BB11_13 Depth=1
	s_or_b32 exec_lo, exec_lo, s36
	s_and_saveexec_b32 s36, s33
	s_cbranch_execz .LBB11_20
; %bb.19:                               ;   in Loop: Header=BB11_13 Depth=1
	s_mul_i32 s37, s15, s29
	s_mul_hi_u32 s42, s15, s28
	s_mul_i32 s43, s25, s28
	s_add_i32 s37, s42, s37
	s_mul_i32 s42, s15, s28
	s_add_i32 s43, s37, s43
	s_delay_alu instid0(SALU_CYCLE_1) | instskip(NEXT) | instid1(SALU_CYCLE_1)
	s_lshl_b64 s[42:43], s[42:43], 2
	v_add_co_u32 v25, vcc_lo, v21, s42
	v_add_co_ci_u32_e32 v26, vcc_lo, s43, v20, vcc_lo
	global_load_b32 v25, v[25:26], off
	s_waitcnt vmcnt(0)
	ds_store_b32 v18, v25
.LBB11_20:                              ;   in Loop: Header=BB11_13 Depth=1
	s_or_b32 exec_lo, exec_lo, s36
	s_waitcnt lgkmcnt(0)
	s_barrier
	buffer_gl0_inv
	s_and_saveexec_b32 s42, s2
	s_cbranch_execz .LBB11_12
; %bb.21:                               ;   in Loop: Header=BB11_13 Depth=1
	s_and_saveexec_b32 s43, s38
	s_cbranch_execz .LBB11_29
; %bb.22:                               ;   in Loop: Header=BB11_13 Depth=1
	s_and_not1_b32 vcc_lo, exec_lo, s40
	s_cbranch_vccnz .LBB11_26
; %bb.23:                               ;   in Loop: Header=BB11_13 Depth=1
	v_dual_mov_b32 v25, v23 :: v_dual_mov_b32 v26, v22
	s_mov_b64 s[36:37], 0
	.p2align	6
.LBB11_24:                              ;   Parent Loop BB11_13 Depth=1
                                        ; =>  This Inner Loop Header: Depth=2
	ds_load_b128 v[27:30], v26
	ds_load_b128 v[31:34], v25
	ds_load_b128 v[35:38], v25 offset:16
	ds_load_b128 v[39:42], v26 offset:16
	s_add_u32 s36, s36, 8
	v_add_nc_u32_e32 v26, 32, v26
	s_addc_u32 s37, s37, 0
	v_add_nc_u32_e32 v25, 32, v25
	s_cmp_lg_u64 s[34:35], s[36:37]
	s_waitcnt lgkmcnt(2)
	v_fma_f32 v4, v31, v27, v4
	s_delay_alu instid0(VALU_DEP_1) | instskip(NEXT) | instid1(VALU_DEP_1)
	v_fmac_f32_e32 v4, v32, v28
	v_fmac_f32_e32 v4, v33, v29
	s_delay_alu instid0(VALU_DEP_1) | instskip(SKIP_1) | instid1(VALU_DEP_1)
	v_fmac_f32_e32 v4, v34, v30
	s_waitcnt lgkmcnt(0)
	v_fmac_f32_e32 v4, v35, v39
	s_delay_alu instid0(VALU_DEP_1) | instskip(NEXT) | instid1(VALU_DEP_1)
	v_fmac_f32_e32 v4, v36, v40
	v_fmac_f32_e32 v4, v37, v41
	s_delay_alu instid0(VALU_DEP_1)
	v_fmac_f32_e32 v4, v38, v42
	s_cbranch_scc1 .LBB11_24
; %bb.25:                               ;   in Loop: Header=BB11_13 Depth=1
	s_mov_b64 s[36:37], s[34:35]
	s_and_not1_b32 vcc_lo, exec_lo, s41
	s_cbranch_vccz .LBB11_27
	s_branch .LBB11_29
.LBB11_26:                              ;   in Loop: Header=BB11_13 Depth=1
	s_mov_b64 s[36:37], 0
	s_and_not1_b32 vcc_lo, exec_lo, s41
	s_cbranch_vccnz .LBB11_29
.LBB11_27:                              ;   in Loop: Header=BB11_13 Depth=1
	s_lshl_b32 s36, s36, 2
	s_delay_alu instid0(SALU_CYCLE_1)
	v_add_nc_u32_e32 v25, s36, v22
	v_add_nc_u32_e32 v26, s36, v23
	s_mov_b64 s[36:37], s[18:19]
.LBB11_28:                              ;   Parent Loop BB11_13 Depth=1
                                        ; =>  This Inner Loop Header: Depth=2
	ds_load_b32 v27, v26
	ds_load_b32 v28, v25
	v_add_nc_u32_e32 v25, 4, v25
	v_add_nc_u32_e32 v26, 4, v26
	s_add_u32 s36, s36, -1
	s_addc_u32 s37, s37, -1
	s_delay_alu instid0(SALU_CYCLE_1)
	s_cmp_lg_u64 s[36:37], 0
	s_waitcnt lgkmcnt(0)
	v_fma_f32 v4, v27, v28, v4
	s_cbranch_scc1 .LBB11_28
.LBB11_29:                              ;   in Loop: Header=BB11_13 Depth=1
	s_or_b32 exec_lo, exec_lo, s43
	s_and_saveexec_b32 s43, s39
	s_cbranch_execz .LBB11_11
; %bb.30:                               ;   in Loop: Header=BB11_13 Depth=1
	s_and_not1_b32 vcc_lo, exec_lo, s40
	s_cbranch_vccnz .LBB11_34
; %bb.31:                               ;   in Loop: Header=BB11_13 Depth=1
	v_dual_mov_b32 v25, v23 :: v_dual_mov_b32 v26, v24
	s_mov_b64 s[36:37], 0
	.p2align	6
.LBB11_32:                              ;   Parent Loop BB11_13 Depth=1
                                        ; =>  This Inner Loop Header: Depth=2
	ds_load_b128 v[27:30], v26
	ds_load_b128 v[31:34], v25
	ds_load_b128 v[35:38], v25 offset:16
	ds_load_b128 v[39:42], v26 offset:16
	s_add_u32 s36, s36, 8
	v_add_nc_u32_e32 v25, 32, v25
	s_addc_u32 s37, s37, 0
	v_add_nc_u32_e32 v26, 32, v26
	s_cmp_lg_u64 s[34:35], s[36:37]
	s_waitcnt lgkmcnt(2)
	v_fma_f32 v5, v31, v27, v5
	s_delay_alu instid0(VALU_DEP_1) | instskip(NEXT) | instid1(VALU_DEP_1)
	v_fmac_f32_e32 v5, v32, v28
	v_fmac_f32_e32 v5, v33, v29
	s_delay_alu instid0(VALU_DEP_1) | instskip(SKIP_1) | instid1(VALU_DEP_1)
	v_fmac_f32_e32 v5, v34, v30
	s_waitcnt lgkmcnt(0)
	v_fmac_f32_e32 v5, v35, v39
	s_delay_alu instid0(VALU_DEP_1) | instskip(NEXT) | instid1(VALU_DEP_1)
	v_fmac_f32_e32 v5, v36, v40
	v_fmac_f32_e32 v5, v37, v41
	s_delay_alu instid0(VALU_DEP_1)
	v_fmac_f32_e32 v5, v38, v42
	s_cbranch_scc1 .LBB11_32
; %bb.33:                               ;   in Loop: Header=BB11_13 Depth=1
	s_mov_b64 s[36:37], s[34:35]
	s_and_not1_b32 vcc_lo, exec_lo, s41
	s_cbranch_vccz .LBB11_35
	s_branch .LBB11_11
.LBB11_34:                              ;   in Loop: Header=BB11_13 Depth=1
	s_mov_b64 s[36:37], 0
	s_and_not1_b32 vcc_lo, exec_lo, s41
	s_cbranch_vccnz .LBB11_11
.LBB11_35:                              ;   in Loop: Header=BB11_13 Depth=1
	s_lshl_b32 s36, s36, 2
	s_delay_alu instid0(SALU_CYCLE_1)
	v_add_nc_u32_e32 v25, s36, v24
	v_add_nc_u32_e32 v26, s36, v23
	s_mov_b64 s[36:37], s[18:19]
.LBB11_36:                              ;   Parent Loop BB11_13 Depth=1
                                        ; =>  This Inner Loop Header: Depth=2
	ds_load_b32 v27, v26
	ds_load_b32 v28, v25
	v_add_nc_u32_e32 v25, 4, v25
	v_add_nc_u32_e32 v26, 4, v26
	s_add_u32 s36, s36, -1
	s_addc_u32 s37, s37, -1
	s_delay_alu instid0(SALU_CYCLE_1)
	s_cmp_lg_u64 s[36:37], 0
	s_waitcnt lgkmcnt(0)
	v_fma_f32 v5, v27, v28, v5
	s_cbranch_scc1 .LBB11_36
	s_branch .LBB11_11
.LBB11_37:
	s_delay_alu instid0(VALU_DEP_1) | instskip(NEXT) | instid1(SALU_CYCLE_1)
	s_and_b32 s2, s13, s2
	s_and_saveexec_b32 s3, s2
	s_cbranch_execz .LBB11_57
; %bb.38:
	v_mad_u64_u32 v[8:9], null, s14, s30, v[6:7]
	s_load_b64 s[2:3], s[0:1], 0x78
	v_cmp_neq_f32_e64 s4, s24, 0
	s_cmp_lg_u32 s8, 1
	s_cselect_b32 s1, -1, 0
	s_delay_alu instid0(VALU_DEP_2) | instskip(NEXT) | instid1(VALU_DEP_1)
	v_mov_b32_e32 v6, v9
	v_mad_u64_u32 v[9:10], null, s14, s31, v[6:7]
	s_waitcnt lgkmcnt(0)
	v_mul_lo_u32 v10, v8, s3
	v_mad_u64_u32 v[6:7], null, v8, s2, 0
	s_delay_alu instid0(VALU_DEP_3) | instskip(NEXT) | instid1(VALU_DEP_1)
	v_mul_lo_u32 v11, v9, s2
	v_add3_u32 v7, v7, v10, v11
	v_lshlrev_b64 v[10:11], 2, v[8:9]
	s_delay_alu instid0(VALU_DEP_2) | instskip(NEXT) | instid1(VALU_DEP_1)
	v_lshlrev_b64 v[6:7], 2, v[6:7]
	v_add_co_u32 v8, s0, s10, v6
	s_delay_alu instid0(VALU_DEP_1) | instskip(NEXT) | instid1(VALU_DEP_4)
	v_add_co_ci_u32_e64 v9, s0, s11, v7, s0
	v_add_co_u32 v6, s0, s10, v10
	s_delay_alu instid0(VALU_DEP_1)
	v_add_co_ci_u32_e64 v7, s0, s11, v11, s0
	s_mov_b32 s0, exec_lo
	v_cmpx_gt_i64_e64 s[6:7], v[2:3]
	s_cbranch_execz .LBB11_50
; %bb.39:
	s_and_b32 vcc_lo, exec_lo, s4
	s_cbranch_vccz .LBB11_45
; %bb.40:
	s_and_b32 vcc_lo, exec_lo, s1
	s_mov_b32 s5, -1
	s_cbranch_vccz .LBB11_42
; %bb.41:
	v_lshlrev_b64 v[10:11], 2, v[2:3]
	v_mul_f32_e32 v13, s12, v4
	s_mov_b32 s5, 0
	s_delay_alu instid0(VALU_DEP_2) | instskip(NEXT) | instid1(VALU_DEP_3)
	v_add_co_u32 v10, vcc_lo, v8, v10
	v_add_co_ci_u32_e32 v11, vcc_lo, v9, v11, vcc_lo
	global_load_b32 v12, v[10:11], off
	s_waitcnt vmcnt(0)
	v_fmac_f32_e32 v13, s24, v12
	global_store_b32 v[10:11], v13, off
.LBB11_42:
	s_and_not1_b32 vcc_lo, exec_lo, s5
	s_cbranch_vccnz .LBB11_44
; %bb.43:
	v_mad_u64_u32 v[10:11], null, v2, s2, 0
	s_delay_alu instid0(VALU_DEP_1) | instskip(SKIP_1) | instid1(VALU_DEP_2)
	v_mad_u64_u32 v[12:13], null, v2, s3, v[11:12]
	v_mul_f32_e32 v13, s12, v4
	v_mov_b32_e32 v11, v12
	s_delay_alu instid0(VALU_DEP_1) | instskip(NEXT) | instid1(VALU_DEP_1)
	v_lshlrev_b64 v[10:11], 2, v[10:11]
	v_add_co_u32 v10, vcc_lo, v6, v10
	s_delay_alu instid0(VALU_DEP_2)
	v_add_co_ci_u32_e32 v11, vcc_lo, v7, v11, vcc_lo
	global_load_b32 v12, v[10:11], off
	s_waitcnt vmcnt(0)
	v_fmac_f32_e32 v13, s24, v12
	global_store_b32 v[10:11], v13, off
.LBB11_44:
	s_cbranch_execz .LBB11_46
	s_branch .LBB11_50
.LBB11_45:
.LBB11_46:
	v_mul_f32_e32 v4, s12, v4
	s_and_b32 vcc_lo, exec_lo, s1
	s_mov_b32 s5, -1
	s_cbranch_vccz .LBB11_48
; %bb.47:
	v_lshlrev_b64 v[10:11], 2, v[2:3]
	s_mov_b32 s5, 0
	s_delay_alu instid0(VALU_DEP_1) | instskip(NEXT) | instid1(VALU_DEP_2)
	v_add_co_u32 v10, vcc_lo, v8, v10
	v_add_co_ci_u32_e32 v11, vcc_lo, v9, v11, vcc_lo
	global_store_b32 v[10:11], v4, off
.LBB11_48:
	s_and_not1_b32 vcc_lo, exec_lo, s5
	s_cbranch_vccnz .LBB11_50
; %bb.49:
	v_mad_u64_u32 v[10:11], null, v2, s2, 0
	s_delay_alu instid0(VALU_DEP_1) | instskip(NEXT) | instid1(VALU_DEP_1)
	v_mov_b32_e32 v3, v11
	v_mad_u64_u32 v[11:12], null, v2, s3, v[3:4]
	s_delay_alu instid0(VALU_DEP_1) | instskip(NEXT) | instid1(VALU_DEP_1)
	v_lshlrev_b64 v[2:3], 2, v[10:11]
	v_add_co_u32 v2, vcc_lo, v6, v2
	s_delay_alu instid0(VALU_DEP_2)
	v_add_co_ci_u32_e32 v3, vcc_lo, v7, v3, vcc_lo
	global_store_b32 v[2:3], v4, off
.LBB11_50:
	s_or_b32 exec_lo, exec_lo, s0
	v_cmp_gt_i64_e32 vcc_lo, s[6:7], v[0:1]
	s_and_b32 exec_lo, exec_lo, vcc_lo
	s_cbranch_execz .LBB11_57
; %bb.51:
	v_cndmask_b32_e64 v2, 0, 1, s1
	s_and_not1_b32 vcc_lo, exec_lo, s4
	s_delay_alu instid0(VALU_DEP_1)
	v_cmp_ne_u32_e64 s0, 1, v2
	s_cbranch_vccnz .LBB11_58
; %bb.52:
	s_delay_alu instid0(VALU_DEP_1)
	s_and_b32 vcc_lo, exec_lo, s0
	s_mov_b32 s0, -1
	s_cbranch_vccnz .LBB11_54
; %bb.53:
	v_lshlrev_b64 v[2:3], 2, v[0:1]
	v_mul_f32_e32 v10, s12, v5
	s_mov_b32 s0, 0
	s_delay_alu instid0(VALU_DEP_2) | instskip(NEXT) | instid1(VALU_DEP_3)
	v_add_co_u32 v2, vcc_lo, v8, v2
	v_add_co_ci_u32_e32 v3, vcc_lo, v9, v3, vcc_lo
	global_load_b32 v4, v[2:3], off
	s_waitcnt vmcnt(0)
	v_fmac_f32_e32 v10, s24, v4
	global_store_b32 v[2:3], v10, off
.LBB11_54:
	s_and_not1_b32 vcc_lo, exec_lo, s0
	s_cbranch_vccnz .LBB11_56
; %bb.55:
	v_mad_u64_u32 v[2:3], null, v0, s2, 0
	s_delay_alu instid0(VALU_DEP_1) | instskip(NEXT) | instid1(VALU_DEP_1)
	v_mad_u64_u32 v[10:11], null, v0, s3, v[3:4]
	v_dual_mov_b32 v3, v10 :: v_dual_mul_f32 v10, s12, v5
	s_delay_alu instid0(VALU_DEP_1) | instskip(NEXT) | instid1(VALU_DEP_1)
	v_lshlrev_b64 v[2:3], 2, v[2:3]
	v_add_co_u32 v2, vcc_lo, v6, v2
	s_delay_alu instid0(VALU_DEP_2)
	v_add_co_ci_u32_e32 v3, vcc_lo, v7, v3, vcc_lo
	global_load_b32 v4, v[2:3], off
	s_waitcnt vmcnt(0)
	v_fmac_f32_e32 v10, s24, v4
	global_store_b32 v[2:3], v10, off
.LBB11_56:
	s_cbranch_execz .LBB11_59
.LBB11_57:
	s_nop 0
	s_sendmsg sendmsg(MSG_DEALLOC_VGPRS)
	s_endpgm
.LBB11_58:
.LBB11_59:
	v_mul_f32_e32 v2, s12, v5
	s_and_not1_b32 vcc_lo, exec_lo, s1
	s_mov_b32 s0, -1
	s_cbranch_vccnz .LBB11_61
; %bb.60:
	v_lshlrev_b64 v[3:4], 2, v[0:1]
	s_mov_b32 s0, 0
	s_delay_alu instid0(VALU_DEP_1) | instskip(NEXT) | instid1(VALU_DEP_2)
	v_add_co_u32 v3, vcc_lo, v8, v3
	v_add_co_ci_u32_e32 v4, vcc_lo, v9, v4, vcc_lo
	global_store_b32 v[3:4], v2, off
.LBB11_61:
	s_and_not1_b32 vcc_lo, exec_lo, s0
	s_cbranch_vccnz .LBB11_57
; %bb.62:
	v_mad_u64_u32 v[3:4], null, v0, s2, 0
	s_delay_alu instid0(VALU_DEP_1) | instskip(NEXT) | instid1(VALU_DEP_1)
	v_mov_b32_e32 v1, v4
	v_mad_u64_u32 v[4:5], null, v0, s3, v[1:2]
	s_delay_alu instid0(VALU_DEP_1) | instskip(NEXT) | instid1(VALU_DEP_1)
	v_lshlrev_b64 v[0:1], 2, v[3:4]
	v_add_co_u32 v0, vcc_lo, v6, v0
	s_delay_alu instid0(VALU_DEP_2)
	v_add_co_ci_u32_e32 v1, vcc_lo, v7, v1, vcc_lo
	global_store_b32 v[0:1], v2, off
	s_nop 0
	s_sendmsg sendmsg(MSG_DEALLOC_VGPRS)
	s_endpgm
	.section	.rodata,"a",@progbits
	.p2align	6, 0x0
	.amdhsa_kernel _ZN9rocsparseL31bsrmm_large_blockdim_kernel_extILj32ELj32ELj2EllffffEEvb20rocsparse_direction_T3_S2_llNS_24const_host_device_scalarIT7_EEPKT2_PKS2_PKT4_S2_PKT5_llS5_PT6_ll16rocsparse_order_21rocsparse_index_base_b
		.amdhsa_group_segment_fixed_size 12288
		.amdhsa_private_segment_fixed_size 0
		.amdhsa_kernarg_size 148
		.amdhsa_user_sgpr_count 14
		.amdhsa_user_sgpr_dispatch_ptr 0
		.amdhsa_user_sgpr_queue_ptr 0
		.amdhsa_user_sgpr_kernarg_segment_ptr 1
		.amdhsa_user_sgpr_dispatch_id 0
		.amdhsa_user_sgpr_private_segment_size 0
		.amdhsa_wavefront_size32 1
		.amdhsa_uses_dynamic_stack 0
		.amdhsa_enable_private_segment 0
		.amdhsa_system_sgpr_workgroup_id_x 1
		.amdhsa_system_sgpr_workgroup_id_y 1
		.amdhsa_system_sgpr_workgroup_id_z 0
		.amdhsa_system_sgpr_workgroup_info 0
		.amdhsa_system_vgpr_workitem_id 1
		.amdhsa_next_free_vgpr 43
		.amdhsa_next_free_sgpr 46
		.amdhsa_reserve_vcc 1
		.amdhsa_float_round_mode_32 0
		.amdhsa_float_round_mode_16_64 0
		.amdhsa_float_denorm_mode_32 3
		.amdhsa_float_denorm_mode_16_64 3
		.amdhsa_dx10_clamp 1
		.amdhsa_ieee_mode 1
		.amdhsa_fp16_overflow 0
		.amdhsa_workgroup_processor_mode 1
		.amdhsa_memory_ordered 1
		.amdhsa_forward_progress 0
		.amdhsa_shared_vgpr_count 0
		.amdhsa_exception_fp_ieee_invalid_op 0
		.amdhsa_exception_fp_denorm_src 0
		.amdhsa_exception_fp_ieee_div_zero 0
		.amdhsa_exception_fp_ieee_overflow 0
		.amdhsa_exception_fp_ieee_underflow 0
		.amdhsa_exception_fp_ieee_inexact 0
		.amdhsa_exception_int_div_zero 0
	.end_amdhsa_kernel
	.section	.text._ZN9rocsparseL31bsrmm_large_blockdim_kernel_extILj32ELj32ELj2EllffffEEvb20rocsparse_direction_T3_S2_llNS_24const_host_device_scalarIT7_EEPKT2_PKS2_PKT4_S2_PKT5_llS5_PT6_ll16rocsparse_order_21rocsparse_index_base_b,"axG",@progbits,_ZN9rocsparseL31bsrmm_large_blockdim_kernel_extILj32ELj32ELj2EllffffEEvb20rocsparse_direction_T3_S2_llNS_24const_host_device_scalarIT7_EEPKT2_PKS2_PKT4_S2_PKT5_llS5_PT6_ll16rocsparse_order_21rocsparse_index_base_b,comdat
.Lfunc_end11:
	.size	_ZN9rocsparseL31bsrmm_large_blockdim_kernel_extILj32ELj32ELj2EllffffEEvb20rocsparse_direction_T3_S2_llNS_24const_host_device_scalarIT7_EEPKT2_PKS2_PKT4_S2_PKT5_llS5_PT6_ll16rocsparse_order_21rocsparse_index_base_b, .Lfunc_end11-_ZN9rocsparseL31bsrmm_large_blockdim_kernel_extILj32ELj32ELj2EllffffEEvb20rocsparse_direction_T3_S2_llNS_24const_host_device_scalarIT7_EEPKT2_PKS2_PKT4_S2_PKT5_llS5_PT6_ll16rocsparse_order_21rocsparse_index_base_b
                                        ; -- End function
	.section	.AMDGPU.csdata,"",@progbits
; Kernel info:
; codeLenInByte = 2640
; NumSgprs: 48
; NumVgprs: 43
; ScratchSize: 0
; MemoryBound: 0
; FloatMode: 240
; IeeeMode: 1
; LDSByteSize: 12288 bytes/workgroup (compile time only)
; SGPRBlocks: 5
; VGPRBlocks: 5
; NumSGPRsForWavesPerEU: 48
; NumVGPRsForWavesPerEU: 43
; Occupancy: 16
; WaveLimiterHint : 1
; COMPUTE_PGM_RSRC2:SCRATCH_EN: 0
; COMPUTE_PGM_RSRC2:USER_SGPR: 14
; COMPUTE_PGM_RSRC2:TRAP_HANDLER: 0
; COMPUTE_PGM_RSRC2:TGID_X_EN: 1
; COMPUTE_PGM_RSRC2:TGID_Y_EN: 1
; COMPUTE_PGM_RSRC2:TGID_Z_EN: 0
; COMPUTE_PGM_RSRC2:TIDIG_COMP_CNT: 1
	.section	.text._ZN9rocsparseL31bsrmm_large_blockdim_kernel_extILj8ELj8ELj2EiiddddEEvb20rocsparse_direction_T3_S2_llNS_24const_host_device_scalarIT7_EEPKT2_PKS2_PKT4_S2_PKT5_llS5_PT6_ll16rocsparse_order_21rocsparse_index_base_b,"axG",@progbits,_ZN9rocsparseL31bsrmm_large_blockdim_kernel_extILj8ELj8ELj2EiiddddEEvb20rocsparse_direction_T3_S2_llNS_24const_host_device_scalarIT7_EEPKT2_PKS2_PKT4_S2_PKT5_llS5_PT6_ll16rocsparse_order_21rocsparse_index_base_b,comdat
	.globl	_ZN9rocsparseL31bsrmm_large_blockdim_kernel_extILj8ELj8ELj2EiiddddEEvb20rocsparse_direction_T3_S2_llNS_24const_host_device_scalarIT7_EEPKT2_PKS2_PKT4_S2_PKT5_llS5_PT6_ll16rocsparse_order_21rocsparse_index_base_b ; -- Begin function _ZN9rocsparseL31bsrmm_large_blockdim_kernel_extILj8ELj8ELj2EiiddddEEvb20rocsparse_direction_T3_S2_llNS_24const_host_device_scalarIT7_EEPKT2_PKS2_PKT4_S2_PKT5_llS5_PT6_ll16rocsparse_order_21rocsparse_index_base_b
	.p2align	8
	.type	_ZN9rocsparseL31bsrmm_large_blockdim_kernel_extILj8ELj8ELj2EiiddddEEvb20rocsparse_direction_T3_S2_llNS_24const_host_device_scalarIT7_EEPKT2_PKS2_PKT4_S2_PKT5_llS5_PT6_ll16rocsparse_order_21rocsparse_index_base_b,@function
_ZN9rocsparseL31bsrmm_large_blockdim_kernel_extILj8ELj8ELj2EiiddddEEvb20rocsparse_direction_T3_S2_llNS_24const_host_device_scalarIT7_EEPKT2_PKS2_PKT4_S2_PKT5_llS5_PT6_ll16rocsparse_order_21rocsparse_index_base_b: ; @_ZN9rocsparseL31bsrmm_large_blockdim_kernel_extILj8ELj8ELj2EiiddddEEvb20rocsparse_direction_T3_S2_llNS_24const_host_device_scalarIT7_EEPKT2_PKS2_PKT4_S2_PKT5_llS5_PT6_ll16rocsparse_order_21rocsparse_index_base_b
; %bb.0:
	s_clause 0x2
	s_load_b128 s[16:19], s[0:1], 0x80
	s_load_b64 s[6:7], s[0:1], 0x20
	s_load_b64 s[4:5], s[0:1], 0x60
	s_mov_b32 s2, s15
	s_waitcnt lgkmcnt(0)
	s_bitcmp1_b32 s18, 0
	v_dual_mov_b32 v4, s6 :: v_dual_mov_b32 v5, s7
	s_cselect_b32 s3, -1, 0
	s_delay_alu instid0(SALU_CYCLE_1)
	s_and_b32 vcc_lo, exec_lo, s3
	s_xor_b32 s3, s3, -1
	s_cbranch_vccnz .LBB12_2
; %bb.1:
	v_dual_mov_b32 v1, s6 :: v_dual_mov_b32 v2, s7
	flat_load_b64 v[4:5], v[1:2]
.LBB12_2:
	v_dual_mov_b32 v7, s5 :: v_dual_mov_b32 v6, s4
	s_and_not1_b32 vcc_lo, exec_lo, s3
	s_cbranch_vccnz .LBB12_4
; %bb.3:
	v_dual_mov_b32 v1, s4 :: v_dual_mov_b32 v2, s5
	flat_load_b64 v[6:7], v[1:2]
.LBB12_4:
	s_waitcnt vmcnt(0) lgkmcnt(0)
	v_cmp_neq_f64_e32 vcc_lo, 0, v[4:5]
	v_cmp_neq_f64_e64 s3, 1.0, v[6:7]
	s_delay_alu instid0(VALU_DEP_1) | instskip(NEXT) | instid1(SALU_CYCLE_1)
	s_or_b32 s3, vcc_lo, s3
	s_and_saveexec_b32 s4, s3
	s_cbranch_execz .LBB12_60
; %bb.5:
	s_clause 0x1
	s_load_b128 s[8:11], s[0:1], 0x0
	s_load_b64 s[4:5], s[0:1], 0x28
	s_mov_b32 s19, 0
	s_mov_b32 s12, 0
	s_waitcnt lgkmcnt(0)
	s_cmp_lt_i32 s14, s10
	s_cselect_b32 s18, -1, 0
	s_cmp_ge_i32 s14, s10
	s_cbranch_scc1 .LBB12_7
; %bb.6:
	s_ashr_i32 s15, s14, 31
	s_delay_alu instid0(SALU_CYCLE_1) | instskip(NEXT) | instid1(SALU_CYCLE_1)
	s_lshl_b64 s[6:7], s[14:15], 2
	s_add_u32 s6, s4, s6
	s_addc_u32 s7, s5, s7
	s_load_b32 s3, s[6:7], 0x0
	s_waitcnt lgkmcnt(0)
	s_sub_i32 s12, s3, s17
.LBB12_7:
	s_and_not1_b32 vcc_lo, exec_lo, s18
	s_cbranch_vccnz .LBB12_9
; %bb.8:
	s_ashr_i32 s15, s14, 31
	s_delay_alu instid0(SALU_CYCLE_1) | instskip(NEXT) | instid1(SALU_CYCLE_1)
	s_lshl_b64 s[6:7], s[14:15], 2
	s_add_u32 s4, s4, s6
	s_addc_u32 s5, s5, s7
	s_load_b32 s3, s[4:5], 0x4
	s_waitcnt lgkmcnt(0)
	s_sub_i32 s19, s3, s17
.LBB12_9:
	s_clause 0x1
	s_load_b32 s10, s[0:1], 0x40
	s_load_b64 s[6:7], s[0:1], 0x68
	v_bfe_u32 v13, v0, 10, 10
	s_mov_b32 s28, 0
	s_cmp_ge_i32 s12, s19
	s_mov_b32 s29, s28
	s_mov_b32 s30, s28
	v_lshl_add_u32 v10, s2, 4, v13
	s_mov_b32 s31, s28
	v_and_b32_e32 v12, 0x3ff, v0
	v_dual_mov_b32 v0, s28 :: v_dual_mov_b32 v1, s29
	s_delay_alu instid0(VALU_DEP_3) | instskip(SKIP_2) | instid1(VALU_DEP_3)
	v_dual_mov_b32 v3, s31 :: v_dual_add_nc_u32 v8, 8, v10
	v_mov_b32_e32 v2, s30
	v_cmp_gt_i32_e64 s3, s11, v10
	v_cmp_gt_i32_e64 s4, s11, v8
	s_waitcnt lgkmcnt(0)
	v_cmp_gt_i32_e64 s2, s10, v12
	s_cbranch_scc1 .LBB12_37
; %bb.10:
	s_clause 0x1
	s_load_b128 s[20:23], s[0:1], 0x48
	s_load_b128 s[24:27], s[0:1], 0x30
	v_ashrrev_i32_e32 v11, 31, v10
	v_ashrrev_i32_e32 v9, 31, v8
	v_mad_u64_u32 v[0:1], null, v13, s10, v[12:13]
	v_mad_u64_u32 v[1:2], null, v12, s10, v[13:14]
	v_cmp_gt_i32_e32 vcc_lo, s10, v13
	v_lshlrev_b32_e32 v3, 3, v13
	v_lshl_add_u32 v16, v12, 3, v13
	v_lshlrev_b32_e32 v24, 6, v13
	v_lshl_add_u32 v25, v12, 6, 0x400
	s_and_b32 s15, s2, vcc_lo
	s_bitcmp1_b32 s8, 0
	v_lshl_add_u32 v22, v16, 3, 0x400
	s_cselect_b32 s5, -1, 0
	s_cmp_eq_u32 s9, 0
	v_add_lshl_u32 v23, v3, v12, 3
	s_cselect_b32 vcc_lo, -1, 0
	s_waitcnt lgkmcnt(0)
	v_mul_lo_u32 v2, v10, s23
	v_mul_lo_u32 v17, v11, s22
	v_mad_u64_u32 v[14:15], null, v10, s22, 0
	v_mul_lo_u32 v20, v8, s23
	v_mul_lo_u32 v21, v9, s22
	v_mad_u64_u32 v[18:19], null, v8, s22, 0
	s_add_i32 s9, s10, -1
	s_and_b32 s8, s10, 7
	s_delay_alu instid0(VALU_DEP_4) | instskip(SKIP_3) | instid1(VALU_DEP_4)
	v_add3_u32 v15, v15, v2, v17
	s_cmp_gt_u32 s9, 6
	v_dual_cndmask_b32 v13, v0, v1 :: v_dual_mov_b32 v0, s28
	v_mov_b32_e32 v3, s31
	v_add3_u32 v19, v19, v20, v21
	v_lshlrev_b64 v[14:15], 3, v[14:15]
	v_lshlrev_b64 v[16:17], 3, v[10:11]
	;; [unrolled: 1-line block ×3, first 2 shown]
	s_cselect_b32 s9, -1, 0
	v_lshlrev_b64 v[18:19], 3, v[18:19]
	s_and_b32 s33, s10, -8
	v_dual_mov_b32 v1, s29 :: v_dual_add_nc_u32 v26, 0x200, v24
	v_mov_b32_e32 v2, s30
	s_cmp_lg_u32 s8, 0
	s_mul_i32 s28, s10, s10
	s_cselect_b32 s29, -1, 0
	s_branch .LBB12_13
.LBB12_11:                              ;   in Loop: Header=BB12_13 Depth=1
	s_or_b32 exec_lo, exec_lo, s30
.LBB12_12:                              ;   in Loop: Header=BB12_13 Depth=1
	s_delay_alu instid0(SALU_CYCLE_1) | instskip(SKIP_1) | instid1(SALU_CYCLE_1)
	s_or_b32 exec_lo, exec_lo, s13
	s_add_i32 s12, s12, 1
	s_cmp_ge_i32 s12, s19
	s_barrier
	buffer_gl0_inv
	s_cbranch_scc1 .LBB12_37
.LBB12_13:                              ; =>This Loop Header: Depth=1
                                        ;     Child Loop BB12_24 Depth 2
                                        ;     Child Loop BB12_28 Depth 2
	;; [unrolled: 1-line block ×4, first 2 shown]
	s_and_saveexec_b32 s30, s2
	s_cbranch_execz .LBB12_18
; %bb.14:                               ;   in Loop: Header=BB12_13 Depth=1
	s_ashr_i32 s13, s12, 31
	s_delay_alu instid0(SALU_CYCLE_1) | instskip(NEXT) | instid1(SALU_CYCLE_1)
	s_lshl_b64 s[34:35], s[12:13], 2
	s_add_u32 s34, s24, s34
	s_addc_u32 s35, s25, s35
	s_load_b32 s13, s[34:35], 0x0
	s_waitcnt lgkmcnt(0)
	s_sub_i32 s13, s13, s17
	s_delay_alu instid0(SALU_CYCLE_1) | instskip(NEXT) | instid1(VALU_DEP_1)
	v_mad_u64_u32 v[27:28], null, s13, s10, v[12:13]
	v_ashrrev_i32_e32 v28, 31, v27
	v_mul_lo_u32 v9, v27, s23
	v_mad_u64_u32 v[29:30], null, v27, s22, 0
	s_delay_alu instid0(VALU_DEP_3) | instskip(SKIP_1) | instid1(VALU_DEP_2)
	v_mul_lo_u32 v11, v28, s22
	v_lshlrev_b64 v[27:28], 3, v[27:28]
	v_add3_u32 v30, v30, v9, v11
	s_delay_alu instid0(VALU_DEP_1) | instskip(NEXT) | instid1(VALU_DEP_1)
	v_lshlrev_b64 v[29:30], 3, v[29:30]
	v_add_co_u32 v9, vcc_lo, s20, v29
	s_delay_alu instid0(VALU_DEP_2)
	v_add_co_ci_u32_e32 v11, vcc_lo, s21, v30, vcc_lo
	v_add_co_u32 v27, vcc_lo, s20, v27
	v_add_co_ci_u32_e32 v28, vcc_lo, s21, v28, vcc_lo
	s_and_saveexec_b32 s13, s3
	s_cbranch_execz .LBB12_16
; %bb.15:                               ;   in Loop: Header=BB12_13 Depth=1
	s_delay_alu instid0(VALU_DEP_2) | instskip(NEXT) | instid1(VALU_DEP_2)
	v_add_co_u32 v29, vcc_lo, v27, v14
	v_add_co_ci_u32_e32 v30, vcc_lo, v28, v15, vcc_lo
	v_add_co_u32 v31, vcc_lo, v9, v16
	v_add_co_ci_u32_e32 v32, vcc_lo, v11, v17, vcc_lo
	s_delay_alu instid0(VALU_DEP_2) | instskip(NEXT) | instid1(VALU_DEP_2)
	v_cndmask_b32_e64 v29, v31, v29, s5
	v_cndmask_b32_e64 v30, v32, v30, s5
	global_load_b64 v[29:30], v[29:30], off
	s_waitcnt vmcnt(0)
	ds_store_b64 v23, v[29:30]
.LBB12_16:                              ;   in Loop: Header=BB12_13 Depth=1
	s_or_b32 exec_lo, exec_lo, s13
	s_delay_alu instid0(SALU_CYCLE_1)
	s_and_b32 exec_lo, exec_lo, s4
	s_cbranch_execz .LBB12_18
; %bb.17:                               ;   in Loop: Header=BB12_13 Depth=1
	v_add_co_u32 v27, vcc_lo, v27, v18
	v_add_co_ci_u32_e32 v28, vcc_lo, v28, v19, vcc_lo
	v_add_co_u32 v9, vcc_lo, v9, v20
	v_add_co_ci_u32_e32 v11, vcc_lo, v11, v21, vcc_lo
	s_delay_alu instid0(VALU_DEP_2) | instskip(NEXT) | instid1(VALU_DEP_2)
	v_cndmask_b32_e64 v27, v9, v27, s5
	v_cndmask_b32_e64 v28, v11, v28, s5
	global_load_b64 v[27:28], v[27:28], off
	s_waitcnt vmcnt(0)
	ds_store_b64 v23, v[27:28] offset:512
.LBB12_18:                              ;   in Loop: Header=BB12_13 Depth=1
	s_or_b32 exec_lo, exec_lo, s30
	s_and_saveexec_b32 s13, s15
	s_cbranch_execz .LBB12_20
; %bb.19:                               ;   in Loop: Header=BB12_13 Depth=1
	v_mad_u64_u32 v[27:28], null, s28, s12, v[13:14]
	s_delay_alu instid0(VALU_DEP_1) | instskip(NEXT) | instid1(VALU_DEP_1)
	v_ashrrev_i32_e32 v28, 31, v27
	v_lshlrev_b64 v[27:28], 3, v[27:28]
	s_delay_alu instid0(VALU_DEP_1) | instskip(NEXT) | instid1(VALU_DEP_2)
	v_add_co_u32 v27, vcc_lo, s26, v27
	v_add_co_ci_u32_e32 v28, vcc_lo, s27, v28, vcc_lo
	global_load_b64 v[27:28], v[27:28], off
	s_waitcnt vmcnt(0)
	ds_store_b64 v22, v[27:28]
.LBB12_20:                              ;   in Loop: Header=BB12_13 Depth=1
	s_or_b32 exec_lo, exec_lo, s13
	s_waitcnt lgkmcnt(0)
	s_barrier
	buffer_gl0_inv
	s_and_saveexec_b32 s13, s2
	s_cbranch_execz .LBB12_12
; %bb.21:                               ;   in Loop: Header=BB12_13 Depth=1
	s_and_saveexec_b32 s30, s3
	s_cbranch_execz .LBB12_29
; %bb.22:                               ;   in Loop: Header=BB12_13 Depth=1
	s_and_not1_b32 vcc_lo, exec_lo, s9
	s_cbranch_vccnz .LBB12_26
; %bb.23:                               ;   in Loop: Header=BB12_13 Depth=1
	v_mov_b32_e32 v9, v25
	v_mov_b32_e32 v11, v24
	s_mov_b32 s31, 0
	s_set_inst_prefetch_distance 0x1
	.p2align	6
.LBB12_24:                              ;   Parent Loop BB12_13 Depth=1
                                        ; =>  This Inner Loop Header: Depth=2
	ds_load_b128 v[27:30], v11
	ds_load_b128 v[31:34], v9
	ds_load_b128 v[35:38], v9 offset:16
	ds_load_b128 v[39:42], v11 offset:16
	s_add_i32 s31, s31, 8
	s_delay_alu instid0(SALU_CYCLE_1) | instskip(SKIP_2) | instid1(VALU_DEP_1)
	s_cmp_lg_u32 s33, s31
	s_waitcnt lgkmcnt(2)
	v_fma_f64 v[0:1], v[31:32], v[27:28], v[0:1]
	v_fma_f64 v[0:1], v[33:34], v[29:30], v[0:1]
	s_waitcnt lgkmcnt(0)
	s_delay_alu instid0(VALU_DEP_1) | instskip(NEXT) | instid1(VALU_DEP_1)
	v_fma_f64 v[0:1], v[35:36], v[39:40], v[0:1]
	v_fma_f64 v[0:1], v[37:38], v[41:42], v[0:1]
	ds_load_b128 v[27:30], v11 offset:32
	ds_load_b128 v[31:34], v9 offset:32
	;; [unrolled: 1-line block ×4, first 2 shown]
	v_add_nc_u32_e32 v11, 64, v11
	v_add_nc_u32_e32 v9, 64, v9
	s_waitcnt lgkmcnt(2)
	v_fma_f64 v[0:1], v[31:32], v[27:28], v[0:1]
	s_delay_alu instid0(VALU_DEP_1) | instskip(SKIP_1) | instid1(VALU_DEP_1)
	v_fma_f64 v[0:1], v[33:34], v[29:30], v[0:1]
	s_waitcnt lgkmcnt(0)
	v_fma_f64 v[0:1], v[35:36], v[39:40], v[0:1]
	s_delay_alu instid0(VALU_DEP_1)
	v_fma_f64 v[0:1], v[37:38], v[41:42], v[0:1]
	s_cbranch_scc1 .LBB12_24
; %bb.25:                               ;   in Loop: Header=BB12_13 Depth=1
	s_set_inst_prefetch_distance 0x2
	s_mov_b32 s31, s33
	s_and_not1_b32 vcc_lo, exec_lo, s29
	s_cbranch_vccz .LBB12_27
	s_branch .LBB12_29
.LBB12_26:                              ;   in Loop: Header=BB12_13 Depth=1
	s_mov_b32 s31, 0
	s_and_not1_b32 vcc_lo, exec_lo, s29
	s_cbranch_vccnz .LBB12_29
.LBB12_27:                              ;   in Loop: Header=BB12_13 Depth=1
	s_lshl_b32 s31, s31, 3
	s_delay_alu instid0(SALU_CYCLE_1)
	v_add_nc_u32_e32 v9, s31, v24
	v_add_nc_u32_e32 v11, s31, v25
	s_mov_b32 s31, s8
.LBB12_28:                              ;   Parent Loop BB12_13 Depth=1
                                        ; =>  This Inner Loop Header: Depth=2
	ds_load_b64 v[27:28], v11
	ds_load_b64 v[29:30], v9
	v_add_nc_u32_e32 v9, 8, v9
	v_add_nc_u32_e32 v11, 8, v11
	s_add_i32 s31, s31, -1
	s_delay_alu instid0(SALU_CYCLE_1)
	s_cmp_lg_u32 s31, 0
	s_waitcnt lgkmcnt(0)
	v_fma_f64 v[0:1], v[27:28], v[29:30], v[0:1]
	s_cbranch_scc1 .LBB12_28
.LBB12_29:                              ;   in Loop: Header=BB12_13 Depth=1
	s_or_b32 exec_lo, exec_lo, s30
	s_and_saveexec_b32 s30, s4
	s_cbranch_execz .LBB12_11
; %bb.30:                               ;   in Loop: Header=BB12_13 Depth=1
	s_and_not1_b32 vcc_lo, exec_lo, s9
	s_cbranch_vccnz .LBB12_34
; %bb.31:                               ;   in Loop: Header=BB12_13 Depth=1
	v_mov_b32_e32 v9, v25
	v_mov_b32_e32 v11, v26
	s_mov_b32 s31, 0
	s_set_inst_prefetch_distance 0x1
	.p2align	6
.LBB12_32:                              ;   Parent Loop BB12_13 Depth=1
                                        ; =>  This Inner Loop Header: Depth=2
	ds_load_b128 v[27:30], v11
	ds_load_b128 v[31:34], v9
	ds_load_b128 v[35:38], v9 offset:16
	ds_load_b128 v[39:42], v11 offset:16
	s_add_i32 s31, s31, 8
	s_delay_alu instid0(SALU_CYCLE_1) | instskip(SKIP_2) | instid1(VALU_DEP_1)
	s_cmp_lg_u32 s33, s31
	s_waitcnt lgkmcnt(2)
	v_fma_f64 v[2:3], v[31:32], v[27:28], v[2:3]
	v_fma_f64 v[2:3], v[33:34], v[29:30], v[2:3]
	s_waitcnt lgkmcnt(0)
	s_delay_alu instid0(VALU_DEP_1) | instskip(NEXT) | instid1(VALU_DEP_1)
	v_fma_f64 v[2:3], v[35:36], v[39:40], v[2:3]
	v_fma_f64 v[2:3], v[37:38], v[41:42], v[2:3]
	ds_load_b128 v[27:30], v11 offset:32
	ds_load_b128 v[31:34], v9 offset:32
	;; [unrolled: 1-line block ×4, first 2 shown]
	v_add_nc_u32_e32 v11, 64, v11
	v_add_nc_u32_e32 v9, 64, v9
	s_waitcnt lgkmcnt(2)
	v_fma_f64 v[2:3], v[31:32], v[27:28], v[2:3]
	s_delay_alu instid0(VALU_DEP_1) | instskip(SKIP_1) | instid1(VALU_DEP_1)
	v_fma_f64 v[2:3], v[33:34], v[29:30], v[2:3]
	s_waitcnt lgkmcnt(0)
	v_fma_f64 v[2:3], v[35:36], v[39:40], v[2:3]
	s_delay_alu instid0(VALU_DEP_1)
	v_fma_f64 v[2:3], v[37:38], v[41:42], v[2:3]
	s_cbranch_scc1 .LBB12_32
; %bb.33:                               ;   in Loop: Header=BB12_13 Depth=1
	s_set_inst_prefetch_distance 0x2
	s_mov_b32 s31, s33
	s_and_not1_b32 vcc_lo, exec_lo, s29
	s_cbranch_vccz .LBB12_35
	s_branch .LBB12_11
.LBB12_34:                              ;   in Loop: Header=BB12_13 Depth=1
	s_mov_b32 s31, 0
	s_and_not1_b32 vcc_lo, exec_lo, s29
	s_cbranch_vccnz .LBB12_11
.LBB12_35:                              ;   in Loop: Header=BB12_13 Depth=1
	s_lshl_b32 s31, s31, 3
	s_delay_alu instid0(SALU_CYCLE_1)
	v_add_nc_u32_e32 v9, s31, v26
	v_add_nc_u32_e32 v11, s31, v25
	s_mov_b32 s31, s8
.LBB12_36:                              ;   Parent Loop BB12_13 Depth=1
                                        ; =>  This Inner Loop Header: Depth=2
	ds_load_b64 v[27:28], v11
	ds_load_b64 v[29:30], v9
	v_add_nc_u32_e32 v9, 8, v9
	v_add_nc_u32_e32 v11, 8, v11
	s_add_i32 s31, s31, -1
	s_delay_alu instid0(SALU_CYCLE_1)
	s_cmp_lg_u32 s31, 0
	s_waitcnt lgkmcnt(0)
	v_fma_f64 v[2:3], v[27:28], v[29:30], v[2:3]
	s_cbranch_scc1 .LBB12_36
	s_branch .LBB12_11
.LBB12_37:
	s_delay_alu instid0(VALU_DEP_1) | instskip(NEXT) | instid1(SALU_CYCLE_1)
	s_and_b32 s2, s18, s2
	s_and_b32 exec_lo, exec_lo, s2
	s_cbranch_execz .LBB12_60
; %bb.38:
	s_load_b64 s[2:3], s[0:1], 0x70
	v_mad_u64_u32 v[13:14], null, s14, s10, v[12:13]
	v_cmp_neq_f64_e64 s0, 0, v[6:7]
	s_cmp_lg_u32 s16, 1
	s_mov_b32 s4, exec_lo
	s_cselect_b32 s1, -1, 0
	s_delay_alu instid0(VALU_DEP_2) | instskip(SKIP_1) | instid1(VALU_DEP_1)
	v_ashrrev_i32_e32 v14, 31, v13
	s_waitcnt lgkmcnt(0)
	v_mul_lo_u32 v9, v14, s2
	v_mul_lo_u32 v15, v13, s3
	v_mad_u64_u32 v[11:12], null, v13, s2, 0
	v_lshlrev_b64 v[13:14], 3, v[13:14]
	s_delay_alu instid0(VALU_DEP_2) | instskip(NEXT) | instid1(VALU_DEP_1)
	v_add3_u32 v12, v12, v15, v9
	v_lshlrev_b64 v[15:16], 3, v[11:12]
	s_delay_alu instid0(VALU_DEP_3) | instskip(NEXT) | instid1(VALU_DEP_4)
	v_add_co_u32 v12, vcc_lo, s6, v13
	v_add_co_ci_u32_e32 v13, vcc_lo, s7, v14, vcc_lo
	s_delay_alu instid0(VALU_DEP_3) | instskip(NEXT) | instid1(VALU_DEP_4)
	v_add_co_u32 v14, vcc_lo, s6, v15
	v_add_co_ci_u32_e32 v15, vcc_lo, s7, v16, vcc_lo
	v_cmpx_gt_i32_e64 s11, v10
	s_cbranch_execz .LBB12_49
; %bb.39:
	s_and_saveexec_b32 s5, s0
	s_delay_alu instid0(SALU_CYCLE_1)
	s_xor_b32 s5, exec_lo, s5
	s_cbranch_execz .LBB12_44
; %bb.40:
	v_ashrrev_i32_e32 v11, 31, v10
	s_and_b32 vcc_lo, exec_lo, s1
	s_mov_b32 s6, -1
	s_cbranch_vccz .LBB12_42
; %bb.41:
	s_delay_alu instid0(VALU_DEP_1) | instskip(SKIP_2) | instid1(VALU_DEP_2)
	v_lshlrev_b64 v[16:17], 3, v[10:11]
	v_mul_f64 v[20:21], v[4:5], v[0:1]
	s_mov_b32 s6, 0
	v_add_co_u32 v16, vcc_lo, v14, v16
	s_delay_alu instid0(VALU_DEP_3)
	v_add_co_ci_u32_e32 v17, vcc_lo, v15, v17, vcc_lo
	global_load_b64 v[18:19], v[16:17], off
	s_waitcnt vmcnt(0)
	v_fma_f64 v[18:19], v[6:7], v[18:19], v[20:21]
	global_store_b64 v[16:17], v[18:19], off
.LBB12_42:
	s_and_not1_b32 vcc_lo, exec_lo, s6
	s_cbranch_vccnz .LBB12_44
; %bb.43:
	v_mul_lo_u32 v9, v11, s2
	v_mul_lo_u32 v11, v10, s3
	v_mad_u64_u32 v[16:17], null, v10, s2, 0
	v_mul_f64 v[18:19], v[4:5], v[0:1]
	s_delay_alu instid0(VALU_DEP_2) | instskip(NEXT) | instid1(VALU_DEP_1)
	v_add3_u32 v17, v17, v11, v9
	v_lshlrev_b64 v[9:10], 3, v[16:17]
	s_delay_alu instid0(VALU_DEP_1) | instskip(NEXT) | instid1(VALU_DEP_2)
	v_add_co_u32 v9, vcc_lo, v12, v9
	v_add_co_ci_u32_e32 v10, vcc_lo, v13, v10, vcc_lo
	global_load_b64 v[16:17], v[9:10], off
	s_waitcnt vmcnt(0)
	v_fma_f64 v[16:17], v[6:7], v[16:17], v[18:19]
	global_store_b64 v[9:10], v[16:17], off
                                        ; implicit-def: $vgpr10
.LBB12_44:
	s_and_not1_saveexec_b32 s5, s5
	s_cbranch_execz .LBB12_49
; %bb.45:
	v_mul_f64 v[0:1], v[4:5], v[0:1]
	v_ashrrev_i32_e32 v11, 31, v10
	s_and_b32 vcc_lo, exec_lo, s1
	s_mov_b32 s5, -1
	s_cbranch_vccz .LBB12_47
; %bb.46:
	s_delay_alu instid0(VALU_DEP_1) | instskip(SKIP_1) | instid1(VALU_DEP_1)
	v_lshlrev_b64 v[16:17], 3, v[10:11]
	s_mov_b32 s5, 0
	v_add_co_u32 v16, vcc_lo, v14, v16
	s_delay_alu instid0(VALU_DEP_2)
	v_add_co_ci_u32_e32 v17, vcc_lo, v15, v17, vcc_lo
	global_store_b64 v[16:17], v[0:1], off
.LBB12_47:
	s_and_not1_b32 vcc_lo, exec_lo, s5
	s_cbranch_vccnz .LBB12_49
; %bb.48:
	v_mul_lo_u32 v9, v11, s2
	v_mul_lo_u32 v11, v10, s3
	v_mad_u64_u32 v[16:17], null, v10, s2, 0
	s_delay_alu instid0(VALU_DEP_1) | instskip(NEXT) | instid1(VALU_DEP_1)
	v_add3_u32 v17, v17, v11, v9
	v_lshlrev_b64 v[9:10], 3, v[16:17]
	s_delay_alu instid0(VALU_DEP_1) | instskip(NEXT) | instid1(VALU_DEP_2)
	v_add_co_u32 v9, vcc_lo, v12, v9
	v_add_co_ci_u32_e32 v10, vcc_lo, v13, v10, vcc_lo
	global_store_b64 v[9:10], v[0:1], off
.LBB12_49:
	s_or_b32 exec_lo, exec_lo, s4
	v_cmp_gt_i32_e32 vcc_lo, s11, v8
	s_and_b32 exec_lo, exec_lo, vcc_lo
	s_cbranch_execz .LBB12_60
; %bb.50:
	s_and_saveexec_b32 s4, s0
	s_delay_alu instid0(SALU_CYCLE_1)
	s_xor_b32 s0, exec_lo, s4
	s_cbranch_execz .LBB12_55
; %bb.51:
	v_ashrrev_i32_e32 v9, 31, v8
	s_and_not1_b32 vcc_lo, exec_lo, s1
	s_mov_b32 s4, -1
	s_cbranch_vccnz .LBB12_53
; %bb.52:
	s_delay_alu instid0(VALU_DEP_1) | instskip(SKIP_1) | instid1(VALU_DEP_1)
	v_lshlrev_b64 v[0:1], 3, v[8:9]
	s_mov_b32 s4, 0
	v_add_co_u32 v0, vcc_lo, v14, v0
	s_delay_alu instid0(VALU_DEP_2)
	v_add_co_ci_u32_e32 v1, vcc_lo, v15, v1, vcc_lo
	v_mul_f64 v[14:15], v[4:5], v[2:3]
	global_load_b64 v[10:11], v[0:1], off
	s_waitcnt vmcnt(0)
	v_fma_f64 v[10:11], v[6:7], v[10:11], v[14:15]
	global_store_b64 v[0:1], v[10:11], off
.LBB12_53:
	s_and_not1_b32 vcc_lo, exec_lo, s4
                                        ; implicit-def: $vgpr14
                                        ; implicit-def: $vgpr15
	s_cbranch_vccnz .LBB12_55
; %bb.54:
	v_mul_lo_u32 v9, v9, s2
	v_mul_lo_u32 v10, v8, s3
	v_mad_u64_u32 v[0:1], null, v8, s2, 0
	v_mul_f64 v[2:3], v[4:5], v[2:3]
                                        ; implicit-def: $vgpr4_vgpr5
                                        ; implicit-def: $vgpr14
                                        ; implicit-def: $vgpr15
	s_delay_alu instid0(VALU_DEP_2) | instskip(NEXT) | instid1(VALU_DEP_1)
	v_add3_u32 v1, v1, v10, v9
	v_lshlrev_b64 v[0:1], 3, v[0:1]
	s_delay_alu instid0(VALU_DEP_1) | instskip(NEXT) | instid1(VALU_DEP_2)
	v_add_co_u32 v0, vcc_lo, v12, v0
	v_add_co_ci_u32_e32 v1, vcc_lo, v13, v1, vcc_lo
                                        ; implicit-def: $vgpr12
                                        ; implicit-def: $vgpr13
	global_load_b64 v[8:9], v[0:1], off
	s_waitcnt vmcnt(0)
	v_fma_f64 v[2:3], v[6:7], v[8:9], v[2:3]
                                        ; implicit-def: $vgpr8
	global_store_b64 v[0:1], v[2:3], off
                                        ; implicit-def: $vgpr0_vgpr1_vgpr2_vgpr3
.LBB12_55:
	s_and_not1_saveexec_b32 s0, s0
	s_cbranch_execz .LBB12_60
; %bb.56:
	v_mul_f64 v[0:1], v[4:5], v[2:3]
	v_ashrrev_i32_e32 v9, 31, v8
	s_and_not1_b32 vcc_lo, exec_lo, s1
	s_mov_b32 s0, -1
	s_cbranch_vccnz .LBB12_58
; %bb.57:
	s_delay_alu instid0(VALU_DEP_1) | instskip(SKIP_1) | instid1(VALU_DEP_1)
	v_lshlrev_b64 v[2:3], 3, v[8:9]
	s_mov_b32 s0, 0
	v_add_co_u32 v2, vcc_lo, v14, v2
	s_delay_alu instid0(VALU_DEP_2)
	v_add_co_ci_u32_e32 v3, vcc_lo, v15, v3, vcc_lo
	global_store_b64 v[2:3], v[0:1], off
.LBB12_58:
	s_and_not1_b32 vcc_lo, exec_lo, s0
	s_cbranch_vccnz .LBB12_60
; %bb.59:
	v_mul_lo_u32 v4, v9, s2
	v_mul_lo_u32 v5, v8, s3
	v_mad_u64_u32 v[2:3], null, v8, s2, 0
	s_delay_alu instid0(VALU_DEP_1) | instskip(NEXT) | instid1(VALU_DEP_1)
	v_add3_u32 v3, v3, v5, v4
	v_lshlrev_b64 v[2:3], 3, v[2:3]
	s_delay_alu instid0(VALU_DEP_1) | instskip(NEXT) | instid1(VALU_DEP_2)
	v_add_co_u32 v2, vcc_lo, v12, v2
	v_add_co_ci_u32_e32 v3, vcc_lo, v13, v3, vcc_lo
	global_store_b64 v[2:3], v[0:1], off
.LBB12_60:
	s_nop 0
	s_sendmsg sendmsg(MSG_DEALLOC_VGPRS)
	s_endpgm
	.section	.rodata,"a",@progbits
	.p2align	6, 0x0
	.amdhsa_kernel _ZN9rocsparseL31bsrmm_large_blockdim_kernel_extILj8ELj8ELj2EiiddddEEvb20rocsparse_direction_T3_S2_llNS_24const_host_device_scalarIT7_EEPKT2_PKS2_PKT4_S2_PKT5_llS5_PT6_ll16rocsparse_order_21rocsparse_index_base_b
		.amdhsa_group_segment_fixed_size 1536
		.amdhsa_private_segment_fixed_size 0
		.amdhsa_kernarg_size 140
		.amdhsa_user_sgpr_count 14
		.amdhsa_user_sgpr_dispatch_ptr 0
		.amdhsa_user_sgpr_queue_ptr 0
		.amdhsa_user_sgpr_kernarg_segment_ptr 1
		.amdhsa_user_sgpr_dispatch_id 0
		.amdhsa_user_sgpr_private_segment_size 0
		.amdhsa_wavefront_size32 1
		.amdhsa_uses_dynamic_stack 0
		.amdhsa_enable_private_segment 0
		.amdhsa_system_sgpr_workgroup_id_x 1
		.amdhsa_system_sgpr_workgroup_id_y 1
		.amdhsa_system_sgpr_workgroup_id_z 0
		.amdhsa_system_sgpr_workgroup_info 0
		.amdhsa_system_vgpr_workitem_id 1
		.amdhsa_next_free_vgpr 43
		.amdhsa_next_free_sgpr 36
		.amdhsa_reserve_vcc 1
		.amdhsa_float_round_mode_32 0
		.amdhsa_float_round_mode_16_64 0
		.amdhsa_float_denorm_mode_32 3
		.amdhsa_float_denorm_mode_16_64 3
		.amdhsa_dx10_clamp 1
		.amdhsa_ieee_mode 1
		.amdhsa_fp16_overflow 0
		.amdhsa_workgroup_processor_mode 1
		.amdhsa_memory_ordered 1
		.amdhsa_forward_progress 0
		.amdhsa_shared_vgpr_count 0
		.amdhsa_exception_fp_ieee_invalid_op 0
		.amdhsa_exception_fp_denorm_src 0
		.amdhsa_exception_fp_ieee_div_zero 0
		.amdhsa_exception_fp_ieee_overflow 0
		.amdhsa_exception_fp_ieee_underflow 0
		.amdhsa_exception_fp_ieee_inexact 0
		.amdhsa_exception_int_div_zero 0
	.end_amdhsa_kernel
	.section	.text._ZN9rocsparseL31bsrmm_large_blockdim_kernel_extILj8ELj8ELj2EiiddddEEvb20rocsparse_direction_T3_S2_llNS_24const_host_device_scalarIT7_EEPKT2_PKS2_PKT4_S2_PKT5_llS5_PT6_ll16rocsparse_order_21rocsparse_index_base_b,"axG",@progbits,_ZN9rocsparseL31bsrmm_large_blockdim_kernel_extILj8ELj8ELj2EiiddddEEvb20rocsparse_direction_T3_S2_llNS_24const_host_device_scalarIT7_EEPKT2_PKS2_PKT4_S2_PKT5_llS5_PT6_ll16rocsparse_order_21rocsparse_index_base_b,comdat
.Lfunc_end12:
	.size	_ZN9rocsparseL31bsrmm_large_blockdim_kernel_extILj8ELj8ELj2EiiddddEEvb20rocsparse_direction_T3_S2_llNS_24const_host_device_scalarIT7_EEPKT2_PKS2_PKT4_S2_PKT5_llS5_PT6_ll16rocsparse_order_21rocsparse_index_base_b, .Lfunc_end12-_ZN9rocsparseL31bsrmm_large_blockdim_kernel_extILj8ELj8ELj2EiiddddEEvb20rocsparse_direction_T3_S2_llNS_24const_host_device_scalarIT7_EEPKT2_PKS2_PKT4_S2_PKT5_llS5_PT6_ll16rocsparse_order_21rocsparse_index_base_b
                                        ; -- End function
	.section	.AMDGPU.csdata,"",@progbits
; Kernel info:
; codeLenInByte = 2648
; NumSgprs: 38
; NumVgprs: 43
; ScratchSize: 0
; MemoryBound: 0
; FloatMode: 240
; IeeeMode: 1
; LDSByteSize: 1536 bytes/workgroup (compile time only)
; SGPRBlocks: 4
; VGPRBlocks: 5
; NumSGPRsForWavesPerEU: 38
; NumVGPRsForWavesPerEU: 43
; Occupancy: 16
; WaveLimiterHint : 1
; COMPUTE_PGM_RSRC2:SCRATCH_EN: 0
; COMPUTE_PGM_RSRC2:USER_SGPR: 14
; COMPUTE_PGM_RSRC2:TRAP_HANDLER: 0
; COMPUTE_PGM_RSRC2:TGID_X_EN: 1
; COMPUTE_PGM_RSRC2:TGID_Y_EN: 1
; COMPUTE_PGM_RSRC2:TGID_Z_EN: 0
; COMPUTE_PGM_RSRC2:TIDIG_COMP_CNT: 1
	.section	.text._ZN9rocsparseL31bsrmm_large_blockdim_kernel_extILj4ELj16ELj2EiiddddEEvb20rocsparse_direction_T3_S2_llNS_24const_host_device_scalarIT7_EEPKT2_PKS2_PKT4_S2_PKT5_llS5_PT6_ll16rocsparse_order_21rocsparse_index_base_b,"axG",@progbits,_ZN9rocsparseL31bsrmm_large_blockdim_kernel_extILj4ELj16ELj2EiiddddEEvb20rocsparse_direction_T3_S2_llNS_24const_host_device_scalarIT7_EEPKT2_PKS2_PKT4_S2_PKT5_llS5_PT6_ll16rocsparse_order_21rocsparse_index_base_b,comdat
	.globl	_ZN9rocsparseL31bsrmm_large_blockdim_kernel_extILj4ELj16ELj2EiiddddEEvb20rocsparse_direction_T3_S2_llNS_24const_host_device_scalarIT7_EEPKT2_PKS2_PKT4_S2_PKT5_llS5_PT6_ll16rocsparse_order_21rocsparse_index_base_b ; -- Begin function _ZN9rocsparseL31bsrmm_large_blockdim_kernel_extILj4ELj16ELj2EiiddddEEvb20rocsparse_direction_T3_S2_llNS_24const_host_device_scalarIT7_EEPKT2_PKS2_PKT4_S2_PKT5_llS5_PT6_ll16rocsparse_order_21rocsparse_index_base_b
	.p2align	8
	.type	_ZN9rocsparseL31bsrmm_large_blockdim_kernel_extILj4ELj16ELj2EiiddddEEvb20rocsparse_direction_T3_S2_llNS_24const_host_device_scalarIT7_EEPKT2_PKS2_PKT4_S2_PKT5_llS5_PT6_ll16rocsparse_order_21rocsparse_index_base_b,@function
_ZN9rocsparseL31bsrmm_large_blockdim_kernel_extILj4ELj16ELj2EiiddddEEvb20rocsparse_direction_T3_S2_llNS_24const_host_device_scalarIT7_EEPKT2_PKS2_PKT4_S2_PKT5_llS5_PT6_ll16rocsparse_order_21rocsparse_index_base_b: ; @_ZN9rocsparseL31bsrmm_large_blockdim_kernel_extILj4ELj16ELj2EiiddddEEvb20rocsparse_direction_T3_S2_llNS_24const_host_device_scalarIT7_EEPKT2_PKS2_PKT4_S2_PKT5_llS5_PT6_ll16rocsparse_order_21rocsparse_index_base_b
; %bb.0:
	s_clause 0x2
	s_load_b128 s[16:19], s[0:1], 0x80
	s_load_b64 s[6:7], s[0:1], 0x20
	s_load_b64 s[4:5], s[0:1], 0x60
	s_mov_b32 s2, s15
	s_waitcnt lgkmcnt(0)
	s_bitcmp1_b32 s18, 0
	v_dual_mov_b32 v4, s6 :: v_dual_mov_b32 v5, s7
	s_cselect_b32 s3, -1, 0
	s_delay_alu instid0(SALU_CYCLE_1)
	s_and_b32 vcc_lo, exec_lo, s3
	s_xor_b32 s3, s3, -1
	s_cbranch_vccnz .LBB13_2
; %bb.1:
	v_dual_mov_b32 v1, s6 :: v_dual_mov_b32 v2, s7
	flat_load_b64 v[4:5], v[1:2]
.LBB13_2:
	v_dual_mov_b32 v7, s5 :: v_dual_mov_b32 v6, s4
	s_and_not1_b32 vcc_lo, exec_lo, s3
	s_cbranch_vccnz .LBB13_4
; %bb.3:
	v_dual_mov_b32 v1, s4 :: v_dual_mov_b32 v2, s5
	flat_load_b64 v[6:7], v[1:2]
.LBB13_4:
	s_waitcnt vmcnt(0) lgkmcnt(0)
	v_cmp_neq_f64_e32 vcc_lo, 0, v[4:5]
	v_cmp_neq_f64_e64 s3, 1.0, v[6:7]
	s_delay_alu instid0(VALU_DEP_1) | instskip(NEXT) | instid1(SALU_CYCLE_1)
	s_or_b32 s3, vcc_lo, s3
	s_and_saveexec_b32 s4, s3
	s_cbranch_execz .LBB13_60
; %bb.5:
	s_clause 0x1
	s_load_b128 s[8:11], s[0:1], 0x0
	s_load_b64 s[4:5], s[0:1], 0x28
	s_mov_b32 s19, 0
	s_mov_b32 s12, 0
	s_waitcnt lgkmcnt(0)
	s_cmp_lt_i32 s14, s10
	s_cselect_b32 s18, -1, 0
	s_cmp_ge_i32 s14, s10
	s_cbranch_scc1 .LBB13_7
; %bb.6:
	s_ashr_i32 s15, s14, 31
	s_delay_alu instid0(SALU_CYCLE_1) | instskip(NEXT) | instid1(SALU_CYCLE_1)
	s_lshl_b64 s[6:7], s[14:15], 2
	s_add_u32 s6, s4, s6
	s_addc_u32 s7, s5, s7
	s_load_b32 s3, s[6:7], 0x0
	s_waitcnt lgkmcnt(0)
	s_sub_i32 s12, s3, s17
.LBB13_7:
	s_and_not1_b32 vcc_lo, exec_lo, s18
	s_cbranch_vccnz .LBB13_9
; %bb.8:
	s_ashr_i32 s15, s14, 31
	s_delay_alu instid0(SALU_CYCLE_1) | instskip(NEXT) | instid1(SALU_CYCLE_1)
	s_lshl_b64 s[6:7], s[14:15], 2
	s_add_u32 s4, s4, s6
	s_addc_u32 s5, s5, s7
	s_load_b32 s3, s[4:5], 0x4
	s_waitcnt lgkmcnt(0)
	s_sub_i32 s19, s3, s17
.LBB13_9:
	s_clause 0x1
	s_load_b32 s10, s[0:1], 0x40
	s_load_b64 s[6:7], s[0:1], 0x68
	v_bfe_u32 v13, v0, 10, 10
	s_mov_b32 s28, 0
	s_cmp_ge_i32 s12, s19
	s_mov_b32 s29, s28
	s_mov_b32 s30, s28
	v_lshl_add_u32 v10, s2, 5, v13
	s_mov_b32 s31, s28
	v_and_b32_e32 v12, 0x3ff, v0
	v_dual_mov_b32 v0, s28 :: v_dual_mov_b32 v1, s29
	s_delay_alu instid0(VALU_DEP_3) | instskip(SKIP_2) | instid1(VALU_DEP_3)
	v_dual_mov_b32 v3, s31 :: v_dual_add_nc_u32 v8, 16, v10
	v_mov_b32_e32 v2, s30
	v_cmp_gt_i32_e64 s3, s11, v10
	v_cmp_gt_i32_e64 s4, s11, v8
	s_waitcnt lgkmcnt(0)
	v_cmp_gt_i32_e64 s2, s10, v12
	s_cbranch_scc1 .LBB13_37
; %bb.10:
	s_clause 0x1
	s_load_b128 s[20:23], s[0:1], 0x48
	s_load_b128 s[24:27], s[0:1], 0x30
	v_ashrrev_i32_e32 v11, 31, v10
	v_ashrrev_i32_e32 v9, 31, v8
	v_mad_u64_u32 v[0:1], null, v13, s10, v[12:13]
	v_mad_u64_u32 v[1:2], null, v12, s10, v[13:14]
	v_cmp_gt_i32_e32 vcc_lo, s10, v13
	v_lshlrev_b32_e32 v3, 2, v13
	v_lshl_add_u32 v16, v12, 2, v13
	v_lshlrev_b32_e32 v24, 5, v13
	v_lshl_add_u32 v25, v12, 5, 0x400
	s_and_b32 s15, s2, vcc_lo
	s_bitcmp1_b32 s8, 0
	v_lshl_add_u32 v22, v16, 3, 0x400
	s_cselect_b32 s5, -1, 0
	s_cmp_eq_u32 s9, 0
	v_add_lshl_u32 v23, v3, v12, 3
	s_cselect_b32 vcc_lo, -1, 0
	s_waitcnt lgkmcnt(0)
	v_mul_lo_u32 v2, v10, s23
	v_mul_lo_u32 v17, v11, s22
	v_mad_u64_u32 v[14:15], null, v10, s22, 0
	v_mul_lo_u32 v20, v8, s23
	v_mul_lo_u32 v21, v9, s22
	v_mad_u64_u32 v[18:19], null, v8, s22, 0
	s_add_i32 s9, s10, -1
	s_and_b32 s8, s10, 7
	s_delay_alu instid0(VALU_DEP_4) | instskip(SKIP_3) | instid1(VALU_DEP_4)
	v_add3_u32 v15, v15, v2, v17
	s_cmp_gt_u32 s9, 6
	v_dual_cndmask_b32 v13, v0, v1 :: v_dual_mov_b32 v0, s28
	v_mov_b32_e32 v3, s31
	v_add3_u32 v19, v19, v20, v21
	v_lshlrev_b64 v[14:15], 3, v[14:15]
	v_lshlrev_b64 v[16:17], 3, v[10:11]
	;; [unrolled: 1-line block ×3, first 2 shown]
	s_cselect_b32 s9, -1, 0
	v_lshlrev_b64 v[18:19], 3, v[18:19]
	s_and_b32 s33, s10, -8
	v_dual_mov_b32 v1, s29 :: v_dual_add_nc_u32 v26, 0x200, v24
	v_mov_b32_e32 v2, s30
	s_cmp_lg_u32 s8, 0
	s_mul_i32 s28, s10, s10
	s_cselect_b32 s29, -1, 0
	s_branch .LBB13_13
.LBB13_11:                              ;   in Loop: Header=BB13_13 Depth=1
	s_or_b32 exec_lo, exec_lo, s30
.LBB13_12:                              ;   in Loop: Header=BB13_13 Depth=1
	s_delay_alu instid0(SALU_CYCLE_1) | instskip(SKIP_1) | instid1(SALU_CYCLE_1)
	s_or_b32 exec_lo, exec_lo, s13
	s_add_i32 s12, s12, 1
	s_cmp_ge_i32 s12, s19
	s_barrier
	buffer_gl0_inv
	s_cbranch_scc1 .LBB13_37
.LBB13_13:                              ; =>This Loop Header: Depth=1
                                        ;     Child Loop BB13_24 Depth 2
                                        ;     Child Loop BB13_28 Depth 2
                                        ;     Child Loop BB13_32 Depth 2
                                        ;     Child Loop BB13_36 Depth 2
	s_and_saveexec_b32 s30, s2
	s_cbranch_execz .LBB13_18
; %bb.14:                               ;   in Loop: Header=BB13_13 Depth=1
	s_ashr_i32 s13, s12, 31
	s_delay_alu instid0(SALU_CYCLE_1) | instskip(NEXT) | instid1(SALU_CYCLE_1)
	s_lshl_b64 s[34:35], s[12:13], 2
	s_add_u32 s34, s24, s34
	s_addc_u32 s35, s25, s35
	s_load_b32 s13, s[34:35], 0x0
	s_waitcnt lgkmcnt(0)
	s_sub_i32 s13, s13, s17
	s_delay_alu instid0(SALU_CYCLE_1) | instskip(NEXT) | instid1(VALU_DEP_1)
	v_mad_u64_u32 v[27:28], null, s13, s10, v[12:13]
	v_ashrrev_i32_e32 v28, 31, v27
	v_mul_lo_u32 v9, v27, s23
	v_mad_u64_u32 v[29:30], null, v27, s22, 0
	s_delay_alu instid0(VALU_DEP_3) | instskip(SKIP_1) | instid1(VALU_DEP_2)
	v_mul_lo_u32 v11, v28, s22
	v_lshlrev_b64 v[27:28], 3, v[27:28]
	v_add3_u32 v30, v30, v9, v11
	s_delay_alu instid0(VALU_DEP_1) | instskip(NEXT) | instid1(VALU_DEP_1)
	v_lshlrev_b64 v[29:30], 3, v[29:30]
	v_add_co_u32 v9, vcc_lo, s20, v29
	s_delay_alu instid0(VALU_DEP_2)
	v_add_co_ci_u32_e32 v11, vcc_lo, s21, v30, vcc_lo
	v_add_co_u32 v27, vcc_lo, s20, v27
	v_add_co_ci_u32_e32 v28, vcc_lo, s21, v28, vcc_lo
	s_and_saveexec_b32 s13, s3
	s_cbranch_execz .LBB13_16
; %bb.15:                               ;   in Loop: Header=BB13_13 Depth=1
	s_delay_alu instid0(VALU_DEP_2) | instskip(NEXT) | instid1(VALU_DEP_2)
	v_add_co_u32 v29, vcc_lo, v27, v14
	v_add_co_ci_u32_e32 v30, vcc_lo, v28, v15, vcc_lo
	v_add_co_u32 v31, vcc_lo, v9, v16
	v_add_co_ci_u32_e32 v32, vcc_lo, v11, v17, vcc_lo
	s_delay_alu instid0(VALU_DEP_2) | instskip(NEXT) | instid1(VALU_DEP_2)
	v_cndmask_b32_e64 v29, v31, v29, s5
	v_cndmask_b32_e64 v30, v32, v30, s5
	global_load_b64 v[29:30], v[29:30], off
	s_waitcnt vmcnt(0)
	ds_store_b64 v23, v[29:30]
.LBB13_16:                              ;   in Loop: Header=BB13_13 Depth=1
	s_or_b32 exec_lo, exec_lo, s13
	s_delay_alu instid0(SALU_CYCLE_1)
	s_and_b32 exec_lo, exec_lo, s4
	s_cbranch_execz .LBB13_18
; %bb.17:                               ;   in Loop: Header=BB13_13 Depth=1
	v_add_co_u32 v27, vcc_lo, v27, v18
	v_add_co_ci_u32_e32 v28, vcc_lo, v28, v19, vcc_lo
	v_add_co_u32 v9, vcc_lo, v9, v20
	v_add_co_ci_u32_e32 v11, vcc_lo, v11, v21, vcc_lo
	s_delay_alu instid0(VALU_DEP_2) | instskip(NEXT) | instid1(VALU_DEP_2)
	v_cndmask_b32_e64 v27, v9, v27, s5
	v_cndmask_b32_e64 v28, v11, v28, s5
	global_load_b64 v[27:28], v[27:28], off
	s_waitcnt vmcnt(0)
	ds_store_b64 v23, v[27:28] offset:512
.LBB13_18:                              ;   in Loop: Header=BB13_13 Depth=1
	s_or_b32 exec_lo, exec_lo, s30
	s_and_saveexec_b32 s13, s15
	s_cbranch_execz .LBB13_20
; %bb.19:                               ;   in Loop: Header=BB13_13 Depth=1
	v_mad_u64_u32 v[27:28], null, s28, s12, v[13:14]
	s_delay_alu instid0(VALU_DEP_1) | instskip(NEXT) | instid1(VALU_DEP_1)
	v_ashrrev_i32_e32 v28, 31, v27
	v_lshlrev_b64 v[27:28], 3, v[27:28]
	s_delay_alu instid0(VALU_DEP_1) | instskip(NEXT) | instid1(VALU_DEP_2)
	v_add_co_u32 v27, vcc_lo, s26, v27
	v_add_co_ci_u32_e32 v28, vcc_lo, s27, v28, vcc_lo
	global_load_b64 v[27:28], v[27:28], off
	s_waitcnt vmcnt(0)
	ds_store_b64 v22, v[27:28]
.LBB13_20:                              ;   in Loop: Header=BB13_13 Depth=1
	s_or_b32 exec_lo, exec_lo, s13
	s_waitcnt lgkmcnt(0)
	s_barrier
	buffer_gl0_inv
	s_and_saveexec_b32 s13, s2
	s_cbranch_execz .LBB13_12
; %bb.21:                               ;   in Loop: Header=BB13_13 Depth=1
	s_and_saveexec_b32 s30, s3
	s_cbranch_execz .LBB13_29
; %bb.22:                               ;   in Loop: Header=BB13_13 Depth=1
	s_and_not1_b32 vcc_lo, exec_lo, s9
	s_cbranch_vccnz .LBB13_26
; %bb.23:                               ;   in Loop: Header=BB13_13 Depth=1
	v_mov_b32_e32 v9, v25
	v_mov_b32_e32 v11, v24
	s_mov_b32 s31, 0
	s_set_inst_prefetch_distance 0x1
	.p2align	6
.LBB13_24:                              ;   Parent Loop BB13_13 Depth=1
                                        ; =>  This Inner Loop Header: Depth=2
	ds_load_b128 v[27:30], v11
	ds_load_b128 v[31:34], v9
	ds_load_b128 v[35:38], v9 offset:16
	ds_load_b128 v[39:42], v11 offset:16
	s_add_i32 s31, s31, 8
	s_delay_alu instid0(SALU_CYCLE_1) | instskip(SKIP_2) | instid1(VALU_DEP_1)
	s_cmp_lg_u32 s33, s31
	s_waitcnt lgkmcnt(2)
	v_fma_f64 v[0:1], v[31:32], v[27:28], v[0:1]
	v_fma_f64 v[0:1], v[33:34], v[29:30], v[0:1]
	s_waitcnt lgkmcnt(0)
	s_delay_alu instid0(VALU_DEP_1) | instskip(NEXT) | instid1(VALU_DEP_1)
	v_fma_f64 v[0:1], v[35:36], v[39:40], v[0:1]
	v_fma_f64 v[0:1], v[37:38], v[41:42], v[0:1]
	ds_load_b128 v[27:30], v11 offset:32
	ds_load_b128 v[31:34], v9 offset:32
	;; [unrolled: 1-line block ×4, first 2 shown]
	v_add_nc_u32_e32 v11, 64, v11
	v_add_nc_u32_e32 v9, 64, v9
	s_waitcnt lgkmcnt(2)
	v_fma_f64 v[0:1], v[31:32], v[27:28], v[0:1]
	s_delay_alu instid0(VALU_DEP_1) | instskip(SKIP_1) | instid1(VALU_DEP_1)
	v_fma_f64 v[0:1], v[33:34], v[29:30], v[0:1]
	s_waitcnt lgkmcnt(0)
	v_fma_f64 v[0:1], v[35:36], v[39:40], v[0:1]
	s_delay_alu instid0(VALU_DEP_1)
	v_fma_f64 v[0:1], v[37:38], v[41:42], v[0:1]
	s_cbranch_scc1 .LBB13_24
; %bb.25:                               ;   in Loop: Header=BB13_13 Depth=1
	s_set_inst_prefetch_distance 0x2
	s_mov_b32 s31, s33
	s_and_not1_b32 vcc_lo, exec_lo, s29
	s_cbranch_vccz .LBB13_27
	s_branch .LBB13_29
.LBB13_26:                              ;   in Loop: Header=BB13_13 Depth=1
	s_mov_b32 s31, 0
	s_and_not1_b32 vcc_lo, exec_lo, s29
	s_cbranch_vccnz .LBB13_29
.LBB13_27:                              ;   in Loop: Header=BB13_13 Depth=1
	s_lshl_b32 s31, s31, 3
	s_delay_alu instid0(SALU_CYCLE_1)
	v_add_nc_u32_e32 v9, s31, v24
	v_add_nc_u32_e32 v11, s31, v25
	s_mov_b32 s31, s8
.LBB13_28:                              ;   Parent Loop BB13_13 Depth=1
                                        ; =>  This Inner Loop Header: Depth=2
	ds_load_b64 v[27:28], v11
	ds_load_b64 v[29:30], v9
	v_add_nc_u32_e32 v9, 8, v9
	v_add_nc_u32_e32 v11, 8, v11
	s_add_i32 s31, s31, -1
	s_delay_alu instid0(SALU_CYCLE_1)
	s_cmp_lg_u32 s31, 0
	s_waitcnt lgkmcnt(0)
	v_fma_f64 v[0:1], v[27:28], v[29:30], v[0:1]
	s_cbranch_scc1 .LBB13_28
.LBB13_29:                              ;   in Loop: Header=BB13_13 Depth=1
	s_or_b32 exec_lo, exec_lo, s30
	s_and_saveexec_b32 s30, s4
	s_cbranch_execz .LBB13_11
; %bb.30:                               ;   in Loop: Header=BB13_13 Depth=1
	s_and_not1_b32 vcc_lo, exec_lo, s9
	s_cbranch_vccnz .LBB13_34
; %bb.31:                               ;   in Loop: Header=BB13_13 Depth=1
	v_mov_b32_e32 v9, v25
	v_mov_b32_e32 v11, v26
	s_mov_b32 s31, 0
	s_set_inst_prefetch_distance 0x1
	.p2align	6
.LBB13_32:                              ;   Parent Loop BB13_13 Depth=1
                                        ; =>  This Inner Loop Header: Depth=2
	ds_load_b128 v[27:30], v11
	ds_load_b128 v[31:34], v9
	ds_load_b128 v[35:38], v9 offset:16
	ds_load_b128 v[39:42], v11 offset:16
	s_add_i32 s31, s31, 8
	s_delay_alu instid0(SALU_CYCLE_1) | instskip(SKIP_2) | instid1(VALU_DEP_1)
	s_cmp_lg_u32 s33, s31
	s_waitcnt lgkmcnt(2)
	v_fma_f64 v[2:3], v[31:32], v[27:28], v[2:3]
	v_fma_f64 v[2:3], v[33:34], v[29:30], v[2:3]
	s_waitcnt lgkmcnt(0)
	s_delay_alu instid0(VALU_DEP_1) | instskip(NEXT) | instid1(VALU_DEP_1)
	v_fma_f64 v[2:3], v[35:36], v[39:40], v[2:3]
	v_fma_f64 v[2:3], v[37:38], v[41:42], v[2:3]
	ds_load_b128 v[27:30], v11 offset:32
	ds_load_b128 v[31:34], v9 offset:32
	;; [unrolled: 1-line block ×4, first 2 shown]
	v_add_nc_u32_e32 v11, 64, v11
	v_add_nc_u32_e32 v9, 64, v9
	s_waitcnt lgkmcnt(2)
	v_fma_f64 v[2:3], v[31:32], v[27:28], v[2:3]
	s_delay_alu instid0(VALU_DEP_1) | instskip(SKIP_1) | instid1(VALU_DEP_1)
	v_fma_f64 v[2:3], v[33:34], v[29:30], v[2:3]
	s_waitcnt lgkmcnt(0)
	v_fma_f64 v[2:3], v[35:36], v[39:40], v[2:3]
	s_delay_alu instid0(VALU_DEP_1)
	v_fma_f64 v[2:3], v[37:38], v[41:42], v[2:3]
	s_cbranch_scc1 .LBB13_32
; %bb.33:                               ;   in Loop: Header=BB13_13 Depth=1
	s_set_inst_prefetch_distance 0x2
	s_mov_b32 s31, s33
	s_and_not1_b32 vcc_lo, exec_lo, s29
	s_cbranch_vccz .LBB13_35
	s_branch .LBB13_11
.LBB13_34:                              ;   in Loop: Header=BB13_13 Depth=1
	s_mov_b32 s31, 0
	s_and_not1_b32 vcc_lo, exec_lo, s29
	s_cbranch_vccnz .LBB13_11
.LBB13_35:                              ;   in Loop: Header=BB13_13 Depth=1
	s_lshl_b32 s31, s31, 3
	s_delay_alu instid0(SALU_CYCLE_1)
	v_add_nc_u32_e32 v9, s31, v26
	v_add_nc_u32_e32 v11, s31, v25
	s_mov_b32 s31, s8
.LBB13_36:                              ;   Parent Loop BB13_13 Depth=1
                                        ; =>  This Inner Loop Header: Depth=2
	ds_load_b64 v[27:28], v11
	ds_load_b64 v[29:30], v9
	v_add_nc_u32_e32 v9, 8, v9
	v_add_nc_u32_e32 v11, 8, v11
	s_add_i32 s31, s31, -1
	s_delay_alu instid0(SALU_CYCLE_1)
	s_cmp_lg_u32 s31, 0
	s_waitcnt lgkmcnt(0)
	v_fma_f64 v[2:3], v[27:28], v[29:30], v[2:3]
	s_cbranch_scc1 .LBB13_36
	s_branch .LBB13_11
.LBB13_37:
	s_delay_alu instid0(VALU_DEP_1) | instskip(NEXT) | instid1(SALU_CYCLE_1)
	s_and_b32 s2, s18, s2
	s_and_b32 exec_lo, exec_lo, s2
	s_cbranch_execz .LBB13_60
; %bb.38:
	s_load_b64 s[2:3], s[0:1], 0x70
	v_mad_u64_u32 v[13:14], null, s14, s10, v[12:13]
	v_cmp_neq_f64_e64 s0, 0, v[6:7]
	s_cmp_lg_u32 s16, 1
	s_mov_b32 s4, exec_lo
	s_cselect_b32 s1, -1, 0
	s_delay_alu instid0(VALU_DEP_2) | instskip(SKIP_1) | instid1(VALU_DEP_1)
	v_ashrrev_i32_e32 v14, 31, v13
	s_waitcnt lgkmcnt(0)
	v_mul_lo_u32 v9, v14, s2
	v_mul_lo_u32 v15, v13, s3
	v_mad_u64_u32 v[11:12], null, v13, s2, 0
	v_lshlrev_b64 v[13:14], 3, v[13:14]
	s_delay_alu instid0(VALU_DEP_2) | instskip(NEXT) | instid1(VALU_DEP_1)
	v_add3_u32 v12, v12, v15, v9
	v_lshlrev_b64 v[15:16], 3, v[11:12]
	s_delay_alu instid0(VALU_DEP_3) | instskip(NEXT) | instid1(VALU_DEP_4)
	v_add_co_u32 v12, vcc_lo, s6, v13
	v_add_co_ci_u32_e32 v13, vcc_lo, s7, v14, vcc_lo
	s_delay_alu instid0(VALU_DEP_3) | instskip(NEXT) | instid1(VALU_DEP_4)
	v_add_co_u32 v14, vcc_lo, s6, v15
	v_add_co_ci_u32_e32 v15, vcc_lo, s7, v16, vcc_lo
	v_cmpx_gt_i32_e64 s11, v10
	s_cbranch_execz .LBB13_49
; %bb.39:
	s_and_saveexec_b32 s5, s0
	s_delay_alu instid0(SALU_CYCLE_1)
	s_xor_b32 s5, exec_lo, s5
	s_cbranch_execz .LBB13_44
; %bb.40:
	v_ashrrev_i32_e32 v11, 31, v10
	s_and_b32 vcc_lo, exec_lo, s1
	s_mov_b32 s6, -1
	s_cbranch_vccz .LBB13_42
; %bb.41:
	s_delay_alu instid0(VALU_DEP_1) | instskip(SKIP_2) | instid1(VALU_DEP_2)
	v_lshlrev_b64 v[16:17], 3, v[10:11]
	v_mul_f64 v[20:21], v[4:5], v[0:1]
	s_mov_b32 s6, 0
	v_add_co_u32 v16, vcc_lo, v14, v16
	s_delay_alu instid0(VALU_DEP_3)
	v_add_co_ci_u32_e32 v17, vcc_lo, v15, v17, vcc_lo
	global_load_b64 v[18:19], v[16:17], off
	s_waitcnt vmcnt(0)
	v_fma_f64 v[18:19], v[6:7], v[18:19], v[20:21]
	global_store_b64 v[16:17], v[18:19], off
.LBB13_42:
	s_and_not1_b32 vcc_lo, exec_lo, s6
	s_cbranch_vccnz .LBB13_44
; %bb.43:
	v_mul_lo_u32 v9, v11, s2
	v_mul_lo_u32 v11, v10, s3
	v_mad_u64_u32 v[16:17], null, v10, s2, 0
	v_mul_f64 v[18:19], v[4:5], v[0:1]
	s_delay_alu instid0(VALU_DEP_2) | instskip(NEXT) | instid1(VALU_DEP_1)
	v_add3_u32 v17, v17, v11, v9
	v_lshlrev_b64 v[9:10], 3, v[16:17]
	s_delay_alu instid0(VALU_DEP_1) | instskip(NEXT) | instid1(VALU_DEP_2)
	v_add_co_u32 v9, vcc_lo, v12, v9
	v_add_co_ci_u32_e32 v10, vcc_lo, v13, v10, vcc_lo
	global_load_b64 v[16:17], v[9:10], off
	s_waitcnt vmcnt(0)
	v_fma_f64 v[16:17], v[6:7], v[16:17], v[18:19]
	global_store_b64 v[9:10], v[16:17], off
                                        ; implicit-def: $vgpr10
.LBB13_44:
	s_and_not1_saveexec_b32 s5, s5
	s_cbranch_execz .LBB13_49
; %bb.45:
	v_mul_f64 v[0:1], v[4:5], v[0:1]
	v_ashrrev_i32_e32 v11, 31, v10
	s_and_b32 vcc_lo, exec_lo, s1
	s_mov_b32 s5, -1
	s_cbranch_vccz .LBB13_47
; %bb.46:
	s_delay_alu instid0(VALU_DEP_1) | instskip(SKIP_1) | instid1(VALU_DEP_1)
	v_lshlrev_b64 v[16:17], 3, v[10:11]
	s_mov_b32 s5, 0
	v_add_co_u32 v16, vcc_lo, v14, v16
	s_delay_alu instid0(VALU_DEP_2)
	v_add_co_ci_u32_e32 v17, vcc_lo, v15, v17, vcc_lo
	global_store_b64 v[16:17], v[0:1], off
.LBB13_47:
	s_and_not1_b32 vcc_lo, exec_lo, s5
	s_cbranch_vccnz .LBB13_49
; %bb.48:
	v_mul_lo_u32 v9, v11, s2
	v_mul_lo_u32 v11, v10, s3
	v_mad_u64_u32 v[16:17], null, v10, s2, 0
	s_delay_alu instid0(VALU_DEP_1) | instskip(NEXT) | instid1(VALU_DEP_1)
	v_add3_u32 v17, v17, v11, v9
	v_lshlrev_b64 v[9:10], 3, v[16:17]
	s_delay_alu instid0(VALU_DEP_1) | instskip(NEXT) | instid1(VALU_DEP_2)
	v_add_co_u32 v9, vcc_lo, v12, v9
	v_add_co_ci_u32_e32 v10, vcc_lo, v13, v10, vcc_lo
	global_store_b64 v[9:10], v[0:1], off
.LBB13_49:
	s_or_b32 exec_lo, exec_lo, s4
	v_cmp_gt_i32_e32 vcc_lo, s11, v8
	s_and_b32 exec_lo, exec_lo, vcc_lo
	s_cbranch_execz .LBB13_60
; %bb.50:
	s_and_saveexec_b32 s4, s0
	s_delay_alu instid0(SALU_CYCLE_1)
	s_xor_b32 s0, exec_lo, s4
	s_cbranch_execz .LBB13_55
; %bb.51:
	v_ashrrev_i32_e32 v9, 31, v8
	s_and_not1_b32 vcc_lo, exec_lo, s1
	s_mov_b32 s4, -1
	s_cbranch_vccnz .LBB13_53
; %bb.52:
	s_delay_alu instid0(VALU_DEP_1) | instskip(SKIP_1) | instid1(VALU_DEP_1)
	v_lshlrev_b64 v[0:1], 3, v[8:9]
	s_mov_b32 s4, 0
	v_add_co_u32 v0, vcc_lo, v14, v0
	s_delay_alu instid0(VALU_DEP_2)
	v_add_co_ci_u32_e32 v1, vcc_lo, v15, v1, vcc_lo
	v_mul_f64 v[14:15], v[4:5], v[2:3]
	global_load_b64 v[10:11], v[0:1], off
	s_waitcnt vmcnt(0)
	v_fma_f64 v[10:11], v[6:7], v[10:11], v[14:15]
	global_store_b64 v[0:1], v[10:11], off
.LBB13_53:
	s_and_not1_b32 vcc_lo, exec_lo, s4
                                        ; implicit-def: $vgpr14
                                        ; implicit-def: $vgpr15
	s_cbranch_vccnz .LBB13_55
; %bb.54:
	v_mul_lo_u32 v9, v9, s2
	v_mul_lo_u32 v10, v8, s3
	v_mad_u64_u32 v[0:1], null, v8, s2, 0
	v_mul_f64 v[2:3], v[4:5], v[2:3]
                                        ; implicit-def: $vgpr4_vgpr5
                                        ; implicit-def: $vgpr14
                                        ; implicit-def: $vgpr15
	s_delay_alu instid0(VALU_DEP_2) | instskip(NEXT) | instid1(VALU_DEP_1)
	v_add3_u32 v1, v1, v10, v9
	v_lshlrev_b64 v[0:1], 3, v[0:1]
	s_delay_alu instid0(VALU_DEP_1) | instskip(NEXT) | instid1(VALU_DEP_2)
	v_add_co_u32 v0, vcc_lo, v12, v0
	v_add_co_ci_u32_e32 v1, vcc_lo, v13, v1, vcc_lo
                                        ; implicit-def: $vgpr12
                                        ; implicit-def: $vgpr13
	global_load_b64 v[8:9], v[0:1], off
	s_waitcnt vmcnt(0)
	v_fma_f64 v[2:3], v[6:7], v[8:9], v[2:3]
                                        ; implicit-def: $vgpr8
	global_store_b64 v[0:1], v[2:3], off
                                        ; implicit-def: $vgpr0_vgpr1_vgpr2_vgpr3
.LBB13_55:
	s_and_not1_saveexec_b32 s0, s0
	s_cbranch_execz .LBB13_60
; %bb.56:
	v_mul_f64 v[0:1], v[4:5], v[2:3]
	v_ashrrev_i32_e32 v9, 31, v8
	s_and_not1_b32 vcc_lo, exec_lo, s1
	s_mov_b32 s0, -1
	s_cbranch_vccnz .LBB13_58
; %bb.57:
	s_delay_alu instid0(VALU_DEP_1) | instskip(SKIP_1) | instid1(VALU_DEP_1)
	v_lshlrev_b64 v[2:3], 3, v[8:9]
	s_mov_b32 s0, 0
	v_add_co_u32 v2, vcc_lo, v14, v2
	s_delay_alu instid0(VALU_DEP_2)
	v_add_co_ci_u32_e32 v3, vcc_lo, v15, v3, vcc_lo
	global_store_b64 v[2:3], v[0:1], off
.LBB13_58:
	s_and_not1_b32 vcc_lo, exec_lo, s0
	s_cbranch_vccnz .LBB13_60
; %bb.59:
	v_mul_lo_u32 v4, v9, s2
	v_mul_lo_u32 v5, v8, s3
	v_mad_u64_u32 v[2:3], null, v8, s2, 0
	s_delay_alu instid0(VALU_DEP_1) | instskip(NEXT) | instid1(VALU_DEP_1)
	v_add3_u32 v3, v3, v5, v4
	v_lshlrev_b64 v[2:3], 3, v[2:3]
	s_delay_alu instid0(VALU_DEP_1) | instskip(NEXT) | instid1(VALU_DEP_2)
	v_add_co_u32 v2, vcc_lo, v12, v2
	v_add_co_ci_u32_e32 v3, vcc_lo, v13, v3, vcc_lo
	global_store_b64 v[2:3], v[0:1], off
.LBB13_60:
	s_nop 0
	s_sendmsg sendmsg(MSG_DEALLOC_VGPRS)
	s_endpgm
	.section	.rodata,"a",@progbits
	.p2align	6, 0x0
	.amdhsa_kernel _ZN9rocsparseL31bsrmm_large_blockdim_kernel_extILj4ELj16ELj2EiiddddEEvb20rocsparse_direction_T3_S2_llNS_24const_host_device_scalarIT7_EEPKT2_PKS2_PKT4_S2_PKT5_llS5_PT6_ll16rocsparse_order_21rocsparse_index_base_b
		.amdhsa_group_segment_fixed_size 1152
		.amdhsa_private_segment_fixed_size 0
		.amdhsa_kernarg_size 140
		.amdhsa_user_sgpr_count 14
		.amdhsa_user_sgpr_dispatch_ptr 0
		.amdhsa_user_sgpr_queue_ptr 0
		.amdhsa_user_sgpr_kernarg_segment_ptr 1
		.amdhsa_user_sgpr_dispatch_id 0
		.amdhsa_user_sgpr_private_segment_size 0
		.amdhsa_wavefront_size32 1
		.amdhsa_uses_dynamic_stack 0
		.amdhsa_enable_private_segment 0
		.amdhsa_system_sgpr_workgroup_id_x 1
		.amdhsa_system_sgpr_workgroup_id_y 1
		.amdhsa_system_sgpr_workgroup_id_z 0
		.amdhsa_system_sgpr_workgroup_info 0
		.amdhsa_system_vgpr_workitem_id 1
		.amdhsa_next_free_vgpr 43
		.amdhsa_next_free_sgpr 36
		.amdhsa_reserve_vcc 1
		.amdhsa_float_round_mode_32 0
		.amdhsa_float_round_mode_16_64 0
		.amdhsa_float_denorm_mode_32 3
		.amdhsa_float_denorm_mode_16_64 3
		.amdhsa_dx10_clamp 1
		.amdhsa_ieee_mode 1
		.amdhsa_fp16_overflow 0
		.amdhsa_workgroup_processor_mode 1
		.amdhsa_memory_ordered 1
		.amdhsa_forward_progress 0
		.amdhsa_shared_vgpr_count 0
		.amdhsa_exception_fp_ieee_invalid_op 0
		.amdhsa_exception_fp_denorm_src 0
		.amdhsa_exception_fp_ieee_div_zero 0
		.amdhsa_exception_fp_ieee_overflow 0
		.amdhsa_exception_fp_ieee_underflow 0
		.amdhsa_exception_fp_ieee_inexact 0
		.amdhsa_exception_int_div_zero 0
	.end_amdhsa_kernel
	.section	.text._ZN9rocsparseL31bsrmm_large_blockdim_kernel_extILj4ELj16ELj2EiiddddEEvb20rocsparse_direction_T3_S2_llNS_24const_host_device_scalarIT7_EEPKT2_PKS2_PKT4_S2_PKT5_llS5_PT6_ll16rocsparse_order_21rocsparse_index_base_b,"axG",@progbits,_ZN9rocsparseL31bsrmm_large_blockdim_kernel_extILj4ELj16ELj2EiiddddEEvb20rocsparse_direction_T3_S2_llNS_24const_host_device_scalarIT7_EEPKT2_PKS2_PKT4_S2_PKT5_llS5_PT6_ll16rocsparse_order_21rocsparse_index_base_b,comdat
.Lfunc_end13:
	.size	_ZN9rocsparseL31bsrmm_large_blockdim_kernel_extILj4ELj16ELj2EiiddddEEvb20rocsparse_direction_T3_S2_llNS_24const_host_device_scalarIT7_EEPKT2_PKS2_PKT4_S2_PKT5_llS5_PT6_ll16rocsparse_order_21rocsparse_index_base_b, .Lfunc_end13-_ZN9rocsparseL31bsrmm_large_blockdim_kernel_extILj4ELj16ELj2EiiddddEEvb20rocsparse_direction_T3_S2_llNS_24const_host_device_scalarIT7_EEPKT2_PKS2_PKT4_S2_PKT5_llS5_PT6_ll16rocsparse_order_21rocsparse_index_base_b
                                        ; -- End function
	.section	.AMDGPU.csdata,"",@progbits
; Kernel info:
; codeLenInByte = 2648
; NumSgprs: 38
; NumVgprs: 43
; ScratchSize: 0
; MemoryBound: 0
; FloatMode: 240
; IeeeMode: 1
; LDSByteSize: 1152 bytes/workgroup (compile time only)
; SGPRBlocks: 4
; VGPRBlocks: 5
; NumSGPRsForWavesPerEU: 38
; NumVGPRsForWavesPerEU: 43
; Occupancy: 16
; WaveLimiterHint : 1
; COMPUTE_PGM_RSRC2:SCRATCH_EN: 0
; COMPUTE_PGM_RSRC2:USER_SGPR: 14
; COMPUTE_PGM_RSRC2:TRAP_HANDLER: 0
; COMPUTE_PGM_RSRC2:TGID_X_EN: 1
; COMPUTE_PGM_RSRC2:TGID_Y_EN: 1
; COMPUTE_PGM_RSRC2:TGID_Z_EN: 0
; COMPUTE_PGM_RSRC2:TIDIG_COMP_CNT: 1
	.section	.text._ZN9rocsparseL31bsrmm_large_blockdim_kernel_extILj16ELj16ELj2EiiddddEEvb20rocsparse_direction_T3_S2_llNS_24const_host_device_scalarIT7_EEPKT2_PKS2_PKT4_S2_PKT5_llS5_PT6_ll16rocsparse_order_21rocsparse_index_base_b,"axG",@progbits,_ZN9rocsparseL31bsrmm_large_blockdim_kernel_extILj16ELj16ELj2EiiddddEEvb20rocsparse_direction_T3_S2_llNS_24const_host_device_scalarIT7_EEPKT2_PKS2_PKT4_S2_PKT5_llS5_PT6_ll16rocsparse_order_21rocsparse_index_base_b,comdat
	.globl	_ZN9rocsparseL31bsrmm_large_blockdim_kernel_extILj16ELj16ELj2EiiddddEEvb20rocsparse_direction_T3_S2_llNS_24const_host_device_scalarIT7_EEPKT2_PKS2_PKT4_S2_PKT5_llS5_PT6_ll16rocsparse_order_21rocsparse_index_base_b ; -- Begin function _ZN9rocsparseL31bsrmm_large_blockdim_kernel_extILj16ELj16ELj2EiiddddEEvb20rocsparse_direction_T3_S2_llNS_24const_host_device_scalarIT7_EEPKT2_PKS2_PKT4_S2_PKT5_llS5_PT6_ll16rocsparse_order_21rocsparse_index_base_b
	.p2align	8
	.type	_ZN9rocsparseL31bsrmm_large_blockdim_kernel_extILj16ELj16ELj2EiiddddEEvb20rocsparse_direction_T3_S2_llNS_24const_host_device_scalarIT7_EEPKT2_PKS2_PKT4_S2_PKT5_llS5_PT6_ll16rocsparse_order_21rocsparse_index_base_b,@function
_ZN9rocsparseL31bsrmm_large_blockdim_kernel_extILj16ELj16ELj2EiiddddEEvb20rocsparse_direction_T3_S2_llNS_24const_host_device_scalarIT7_EEPKT2_PKS2_PKT4_S2_PKT5_llS5_PT6_ll16rocsparse_order_21rocsparse_index_base_b: ; @_ZN9rocsparseL31bsrmm_large_blockdim_kernel_extILj16ELj16ELj2EiiddddEEvb20rocsparse_direction_T3_S2_llNS_24const_host_device_scalarIT7_EEPKT2_PKS2_PKT4_S2_PKT5_llS5_PT6_ll16rocsparse_order_21rocsparse_index_base_b
; %bb.0:
	s_clause 0x2
	s_load_b128 s[16:19], s[0:1], 0x80
	s_load_b64 s[6:7], s[0:1], 0x20
	s_load_b64 s[4:5], s[0:1], 0x60
	s_mov_b32 s2, s15
	s_waitcnt lgkmcnt(0)
	s_bitcmp1_b32 s18, 0
	v_dual_mov_b32 v4, s6 :: v_dual_mov_b32 v5, s7
	s_cselect_b32 s3, -1, 0
	s_delay_alu instid0(SALU_CYCLE_1)
	s_and_b32 vcc_lo, exec_lo, s3
	s_xor_b32 s3, s3, -1
	s_cbranch_vccnz .LBB14_2
; %bb.1:
	v_dual_mov_b32 v1, s6 :: v_dual_mov_b32 v2, s7
	flat_load_b64 v[4:5], v[1:2]
.LBB14_2:
	v_dual_mov_b32 v7, s5 :: v_dual_mov_b32 v6, s4
	s_and_not1_b32 vcc_lo, exec_lo, s3
	s_cbranch_vccnz .LBB14_4
; %bb.3:
	v_dual_mov_b32 v1, s4 :: v_dual_mov_b32 v2, s5
	flat_load_b64 v[6:7], v[1:2]
.LBB14_4:
	s_waitcnt vmcnt(0) lgkmcnt(0)
	v_cmp_neq_f64_e32 vcc_lo, 0, v[4:5]
	v_cmp_neq_f64_e64 s3, 1.0, v[6:7]
	s_delay_alu instid0(VALU_DEP_1) | instskip(NEXT) | instid1(SALU_CYCLE_1)
	s_or_b32 s3, vcc_lo, s3
	s_and_saveexec_b32 s4, s3
	s_cbranch_execz .LBB14_60
; %bb.5:
	s_clause 0x1
	s_load_b128 s[8:11], s[0:1], 0x0
	s_load_b64 s[4:5], s[0:1], 0x28
	s_mov_b32 s19, 0
	s_mov_b32 s12, 0
	s_waitcnt lgkmcnt(0)
	s_cmp_lt_i32 s14, s10
	s_cselect_b32 s18, -1, 0
	s_cmp_ge_i32 s14, s10
	s_cbranch_scc1 .LBB14_7
; %bb.6:
	s_ashr_i32 s15, s14, 31
	s_delay_alu instid0(SALU_CYCLE_1) | instskip(NEXT) | instid1(SALU_CYCLE_1)
	s_lshl_b64 s[6:7], s[14:15], 2
	s_add_u32 s6, s4, s6
	s_addc_u32 s7, s5, s7
	s_load_b32 s3, s[6:7], 0x0
	s_waitcnt lgkmcnt(0)
	s_sub_i32 s12, s3, s17
.LBB14_7:
	s_and_not1_b32 vcc_lo, exec_lo, s18
	s_cbranch_vccnz .LBB14_9
; %bb.8:
	s_ashr_i32 s15, s14, 31
	s_delay_alu instid0(SALU_CYCLE_1) | instskip(NEXT) | instid1(SALU_CYCLE_1)
	s_lshl_b64 s[6:7], s[14:15], 2
	s_add_u32 s4, s4, s6
	s_addc_u32 s5, s5, s7
	s_load_b32 s3, s[4:5], 0x4
	s_waitcnt lgkmcnt(0)
	s_sub_i32 s19, s3, s17
.LBB14_9:
	s_clause 0x1
	s_load_b32 s10, s[0:1], 0x40
	s_load_b64 s[6:7], s[0:1], 0x68
	v_bfe_u32 v13, v0, 10, 10
	s_mov_b32 s28, 0
	s_cmp_ge_i32 s12, s19
	s_mov_b32 s29, s28
	s_mov_b32 s30, s28
	v_lshl_add_u32 v10, s2, 5, v13
	s_mov_b32 s31, s28
	v_and_b32_e32 v12, 0x3ff, v0
	v_dual_mov_b32 v0, s28 :: v_dual_mov_b32 v1, s29
	s_delay_alu instid0(VALU_DEP_3) | instskip(SKIP_2) | instid1(VALU_DEP_3)
	v_dual_mov_b32 v3, s31 :: v_dual_add_nc_u32 v8, 16, v10
	v_mov_b32_e32 v2, s30
	v_cmp_gt_i32_e64 s3, s11, v10
	v_cmp_gt_i32_e64 s4, s11, v8
	s_waitcnt lgkmcnt(0)
	v_cmp_gt_i32_e64 s2, s10, v12
	s_cbranch_scc1 .LBB14_37
; %bb.10:
	s_clause 0x1
	s_load_b128 s[20:23], s[0:1], 0x48
	s_load_b128 s[24:27], s[0:1], 0x30
	v_ashrrev_i32_e32 v11, 31, v10
	v_ashrrev_i32_e32 v9, 31, v8
	v_mad_u64_u32 v[0:1], null, v13, s10, v[12:13]
	v_mad_u64_u32 v[1:2], null, v12, s10, v[13:14]
	v_cmp_gt_i32_e32 vcc_lo, s10, v13
	v_lshlrev_b32_e32 v3, 4, v13
	v_lshl_add_u32 v16, v12, 4, v13
	v_lshlrev_b32_e32 v24, 7, v13
	v_lshl_add_u32 v25, v12, 7, 0x1000
	s_and_b32 s15, s2, vcc_lo
	s_bitcmp1_b32 s8, 0
	v_lshl_add_u32 v22, v16, 3, 0x1000
	s_cselect_b32 s5, -1, 0
	s_cmp_eq_u32 s9, 0
	v_add_lshl_u32 v23, v3, v12, 3
	s_cselect_b32 vcc_lo, -1, 0
	s_waitcnt lgkmcnt(0)
	v_mul_lo_u32 v2, v10, s23
	v_mul_lo_u32 v17, v11, s22
	v_mad_u64_u32 v[14:15], null, v10, s22, 0
	v_mul_lo_u32 v20, v8, s23
	v_mul_lo_u32 v21, v9, s22
	v_mad_u64_u32 v[18:19], null, v8, s22, 0
	s_add_i32 s9, s10, -1
	s_and_b32 s8, s10, 7
	s_delay_alu instid0(VALU_DEP_4) | instskip(SKIP_3) | instid1(VALU_DEP_4)
	v_add3_u32 v15, v15, v2, v17
	s_cmp_gt_u32 s9, 6
	v_dual_cndmask_b32 v13, v0, v1 :: v_dual_mov_b32 v0, s28
	v_mov_b32_e32 v3, s31
	v_add3_u32 v19, v19, v20, v21
	v_lshlrev_b64 v[14:15], 3, v[14:15]
	v_lshlrev_b64 v[16:17], 3, v[10:11]
	;; [unrolled: 1-line block ×3, first 2 shown]
	s_cselect_b32 s9, -1, 0
	v_lshlrev_b64 v[18:19], 3, v[18:19]
	s_and_b32 s33, s10, -8
	v_dual_mov_b32 v1, s29 :: v_dual_add_nc_u32 v26, 0x800, v24
	v_mov_b32_e32 v2, s30
	s_cmp_lg_u32 s8, 0
	s_mul_i32 s28, s10, s10
	s_cselect_b32 s29, -1, 0
	s_branch .LBB14_13
.LBB14_11:                              ;   in Loop: Header=BB14_13 Depth=1
	s_or_b32 exec_lo, exec_lo, s30
.LBB14_12:                              ;   in Loop: Header=BB14_13 Depth=1
	s_delay_alu instid0(SALU_CYCLE_1) | instskip(SKIP_1) | instid1(SALU_CYCLE_1)
	s_or_b32 exec_lo, exec_lo, s13
	s_add_i32 s12, s12, 1
	s_cmp_ge_i32 s12, s19
	s_barrier
	buffer_gl0_inv
	s_cbranch_scc1 .LBB14_37
.LBB14_13:                              ; =>This Loop Header: Depth=1
                                        ;     Child Loop BB14_24 Depth 2
                                        ;     Child Loop BB14_28 Depth 2
                                        ;     Child Loop BB14_32 Depth 2
                                        ;     Child Loop BB14_36 Depth 2
	s_and_saveexec_b32 s30, s2
	s_cbranch_execz .LBB14_18
; %bb.14:                               ;   in Loop: Header=BB14_13 Depth=1
	s_ashr_i32 s13, s12, 31
	s_delay_alu instid0(SALU_CYCLE_1) | instskip(NEXT) | instid1(SALU_CYCLE_1)
	s_lshl_b64 s[34:35], s[12:13], 2
	s_add_u32 s34, s24, s34
	s_addc_u32 s35, s25, s35
	s_load_b32 s13, s[34:35], 0x0
	s_waitcnt lgkmcnt(0)
	s_sub_i32 s13, s13, s17
	s_delay_alu instid0(SALU_CYCLE_1) | instskip(NEXT) | instid1(VALU_DEP_1)
	v_mad_u64_u32 v[27:28], null, s13, s10, v[12:13]
	v_ashrrev_i32_e32 v28, 31, v27
	v_mul_lo_u32 v9, v27, s23
	v_mad_u64_u32 v[29:30], null, v27, s22, 0
	s_delay_alu instid0(VALU_DEP_3) | instskip(SKIP_1) | instid1(VALU_DEP_2)
	v_mul_lo_u32 v11, v28, s22
	v_lshlrev_b64 v[27:28], 3, v[27:28]
	v_add3_u32 v30, v30, v9, v11
	s_delay_alu instid0(VALU_DEP_1) | instskip(NEXT) | instid1(VALU_DEP_1)
	v_lshlrev_b64 v[29:30], 3, v[29:30]
	v_add_co_u32 v9, vcc_lo, s20, v29
	s_delay_alu instid0(VALU_DEP_2)
	v_add_co_ci_u32_e32 v11, vcc_lo, s21, v30, vcc_lo
	v_add_co_u32 v27, vcc_lo, s20, v27
	v_add_co_ci_u32_e32 v28, vcc_lo, s21, v28, vcc_lo
	s_and_saveexec_b32 s13, s3
	s_cbranch_execz .LBB14_16
; %bb.15:                               ;   in Loop: Header=BB14_13 Depth=1
	s_delay_alu instid0(VALU_DEP_2) | instskip(NEXT) | instid1(VALU_DEP_2)
	v_add_co_u32 v29, vcc_lo, v27, v14
	v_add_co_ci_u32_e32 v30, vcc_lo, v28, v15, vcc_lo
	v_add_co_u32 v31, vcc_lo, v9, v16
	v_add_co_ci_u32_e32 v32, vcc_lo, v11, v17, vcc_lo
	s_delay_alu instid0(VALU_DEP_2) | instskip(NEXT) | instid1(VALU_DEP_2)
	v_cndmask_b32_e64 v29, v31, v29, s5
	v_cndmask_b32_e64 v30, v32, v30, s5
	global_load_b64 v[29:30], v[29:30], off
	s_waitcnt vmcnt(0)
	ds_store_b64 v23, v[29:30]
.LBB14_16:                              ;   in Loop: Header=BB14_13 Depth=1
	s_or_b32 exec_lo, exec_lo, s13
	s_delay_alu instid0(SALU_CYCLE_1)
	s_and_b32 exec_lo, exec_lo, s4
	s_cbranch_execz .LBB14_18
; %bb.17:                               ;   in Loop: Header=BB14_13 Depth=1
	v_add_co_u32 v27, vcc_lo, v27, v18
	v_add_co_ci_u32_e32 v28, vcc_lo, v28, v19, vcc_lo
	v_add_co_u32 v9, vcc_lo, v9, v20
	v_add_co_ci_u32_e32 v11, vcc_lo, v11, v21, vcc_lo
	s_delay_alu instid0(VALU_DEP_2) | instskip(NEXT) | instid1(VALU_DEP_2)
	v_cndmask_b32_e64 v27, v9, v27, s5
	v_cndmask_b32_e64 v28, v11, v28, s5
	global_load_b64 v[27:28], v[27:28], off
	s_waitcnt vmcnt(0)
	ds_store_b64 v23, v[27:28] offset:2048
.LBB14_18:                              ;   in Loop: Header=BB14_13 Depth=1
	s_or_b32 exec_lo, exec_lo, s30
	s_and_saveexec_b32 s13, s15
	s_cbranch_execz .LBB14_20
; %bb.19:                               ;   in Loop: Header=BB14_13 Depth=1
	v_mad_u64_u32 v[27:28], null, s28, s12, v[13:14]
	s_delay_alu instid0(VALU_DEP_1) | instskip(NEXT) | instid1(VALU_DEP_1)
	v_ashrrev_i32_e32 v28, 31, v27
	v_lshlrev_b64 v[27:28], 3, v[27:28]
	s_delay_alu instid0(VALU_DEP_1) | instskip(NEXT) | instid1(VALU_DEP_2)
	v_add_co_u32 v27, vcc_lo, s26, v27
	v_add_co_ci_u32_e32 v28, vcc_lo, s27, v28, vcc_lo
	global_load_b64 v[27:28], v[27:28], off
	s_waitcnt vmcnt(0)
	ds_store_b64 v22, v[27:28]
.LBB14_20:                              ;   in Loop: Header=BB14_13 Depth=1
	s_or_b32 exec_lo, exec_lo, s13
	s_waitcnt lgkmcnt(0)
	s_barrier
	buffer_gl0_inv
	s_and_saveexec_b32 s13, s2
	s_cbranch_execz .LBB14_12
; %bb.21:                               ;   in Loop: Header=BB14_13 Depth=1
	s_and_saveexec_b32 s30, s3
	s_cbranch_execz .LBB14_29
; %bb.22:                               ;   in Loop: Header=BB14_13 Depth=1
	s_and_not1_b32 vcc_lo, exec_lo, s9
	s_cbranch_vccnz .LBB14_26
; %bb.23:                               ;   in Loop: Header=BB14_13 Depth=1
	v_mov_b32_e32 v9, v25
	v_mov_b32_e32 v11, v24
	s_mov_b32 s31, 0
	s_set_inst_prefetch_distance 0x1
	.p2align	6
.LBB14_24:                              ;   Parent Loop BB14_13 Depth=1
                                        ; =>  This Inner Loop Header: Depth=2
	ds_load_b128 v[27:30], v11
	ds_load_b128 v[31:34], v9
	ds_load_b128 v[35:38], v9 offset:16
	ds_load_b128 v[39:42], v11 offset:16
	s_add_i32 s31, s31, 8
	s_delay_alu instid0(SALU_CYCLE_1) | instskip(SKIP_2) | instid1(VALU_DEP_1)
	s_cmp_lg_u32 s33, s31
	s_waitcnt lgkmcnt(2)
	v_fma_f64 v[0:1], v[31:32], v[27:28], v[0:1]
	v_fma_f64 v[0:1], v[33:34], v[29:30], v[0:1]
	s_waitcnt lgkmcnt(0)
	s_delay_alu instid0(VALU_DEP_1) | instskip(NEXT) | instid1(VALU_DEP_1)
	v_fma_f64 v[0:1], v[35:36], v[39:40], v[0:1]
	v_fma_f64 v[0:1], v[37:38], v[41:42], v[0:1]
	ds_load_b128 v[27:30], v11 offset:32
	ds_load_b128 v[31:34], v9 offset:32
	;; [unrolled: 1-line block ×4, first 2 shown]
	v_add_nc_u32_e32 v11, 64, v11
	v_add_nc_u32_e32 v9, 64, v9
	s_waitcnt lgkmcnt(2)
	v_fma_f64 v[0:1], v[31:32], v[27:28], v[0:1]
	s_delay_alu instid0(VALU_DEP_1) | instskip(SKIP_1) | instid1(VALU_DEP_1)
	v_fma_f64 v[0:1], v[33:34], v[29:30], v[0:1]
	s_waitcnt lgkmcnt(0)
	v_fma_f64 v[0:1], v[35:36], v[39:40], v[0:1]
	s_delay_alu instid0(VALU_DEP_1)
	v_fma_f64 v[0:1], v[37:38], v[41:42], v[0:1]
	s_cbranch_scc1 .LBB14_24
; %bb.25:                               ;   in Loop: Header=BB14_13 Depth=1
	s_set_inst_prefetch_distance 0x2
	s_mov_b32 s31, s33
	s_and_not1_b32 vcc_lo, exec_lo, s29
	s_cbranch_vccz .LBB14_27
	s_branch .LBB14_29
.LBB14_26:                              ;   in Loop: Header=BB14_13 Depth=1
	s_mov_b32 s31, 0
	s_and_not1_b32 vcc_lo, exec_lo, s29
	s_cbranch_vccnz .LBB14_29
.LBB14_27:                              ;   in Loop: Header=BB14_13 Depth=1
	s_lshl_b32 s31, s31, 3
	s_delay_alu instid0(SALU_CYCLE_1)
	v_add_nc_u32_e32 v9, s31, v24
	v_add_nc_u32_e32 v11, s31, v25
	s_mov_b32 s31, s8
.LBB14_28:                              ;   Parent Loop BB14_13 Depth=1
                                        ; =>  This Inner Loop Header: Depth=2
	ds_load_b64 v[27:28], v11
	ds_load_b64 v[29:30], v9
	v_add_nc_u32_e32 v9, 8, v9
	v_add_nc_u32_e32 v11, 8, v11
	s_add_i32 s31, s31, -1
	s_delay_alu instid0(SALU_CYCLE_1)
	s_cmp_lg_u32 s31, 0
	s_waitcnt lgkmcnt(0)
	v_fma_f64 v[0:1], v[27:28], v[29:30], v[0:1]
	s_cbranch_scc1 .LBB14_28
.LBB14_29:                              ;   in Loop: Header=BB14_13 Depth=1
	s_or_b32 exec_lo, exec_lo, s30
	s_and_saveexec_b32 s30, s4
	s_cbranch_execz .LBB14_11
; %bb.30:                               ;   in Loop: Header=BB14_13 Depth=1
	s_and_not1_b32 vcc_lo, exec_lo, s9
	s_cbranch_vccnz .LBB14_34
; %bb.31:                               ;   in Loop: Header=BB14_13 Depth=1
	v_mov_b32_e32 v9, v25
	v_mov_b32_e32 v11, v26
	s_mov_b32 s31, 0
	s_set_inst_prefetch_distance 0x1
	.p2align	6
.LBB14_32:                              ;   Parent Loop BB14_13 Depth=1
                                        ; =>  This Inner Loop Header: Depth=2
	ds_load_b128 v[27:30], v11
	ds_load_b128 v[31:34], v9
	ds_load_b128 v[35:38], v9 offset:16
	ds_load_b128 v[39:42], v11 offset:16
	s_add_i32 s31, s31, 8
	s_delay_alu instid0(SALU_CYCLE_1) | instskip(SKIP_2) | instid1(VALU_DEP_1)
	s_cmp_lg_u32 s33, s31
	s_waitcnt lgkmcnt(2)
	v_fma_f64 v[2:3], v[31:32], v[27:28], v[2:3]
	v_fma_f64 v[2:3], v[33:34], v[29:30], v[2:3]
	s_waitcnt lgkmcnt(0)
	s_delay_alu instid0(VALU_DEP_1) | instskip(NEXT) | instid1(VALU_DEP_1)
	v_fma_f64 v[2:3], v[35:36], v[39:40], v[2:3]
	v_fma_f64 v[2:3], v[37:38], v[41:42], v[2:3]
	ds_load_b128 v[27:30], v11 offset:32
	ds_load_b128 v[31:34], v9 offset:32
	;; [unrolled: 1-line block ×4, first 2 shown]
	v_add_nc_u32_e32 v11, 64, v11
	v_add_nc_u32_e32 v9, 64, v9
	s_waitcnt lgkmcnt(2)
	v_fma_f64 v[2:3], v[31:32], v[27:28], v[2:3]
	s_delay_alu instid0(VALU_DEP_1) | instskip(SKIP_1) | instid1(VALU_DEP_1)
	v_fma_f64 v[2:3], v[33:34], v[29:30], v[2:3]
	s_waitcnt lgkmcnt(0)
	v_fma_f64 v[2:3], v[35:36], v[39:40], v[2:3]
	s_delay_alu instid0(VALU_DEP_1)
	v_fma_f64 v[2:3], v[37:38], v[41:42], v[2:3]
	s_cbranch_scc1 .LBB14_32
; %bb.33:                               ;   in Loop: Header=BB14_13 Depth=1
	s_set_inst_prefetch_distance 0x2
	s_mov_b32 s31, s33
	s_and_not1_b32 vcc_lo, exec_lo, s29
	s_cbranch_vccz .LBB14_35
	s_branch .LBB14_11
.LBB14_34:                              ;   in Loop: Header=BB14_13 Depth=1
	s_mov_b32 s31, 0
	s_and_not1_b32 vcc_lo, exec_lo, s29
	s_cbranch_vccnz .LBB14_11
.LBB14_35:                              ;   in Loop: Header=BB14_13 Depth=1
	s_lshl_b32 s31, s31, 3
	s_delay_alu instid0(SALU_CYCLE_1)
	v_add_nc_u32_e32 v9, s31, v26
	v_add_nc_u32_e32 v11, s31, v25
	s_mov_b32 s31, s8
.LBB14_36:                              ;   Parent Loop BB14_13 Depth=1
                                        ; =>  This Inner Loop Header: Depth=2
	ds_load_b64 v[27:28], v11
	ds_load_b64 v[29:30], v9
	v_add_nc_u32_e32 v9, 8, v9
	v_add_nc_u32_e32 v11, 8, v11
	s_add_i32 s31, s31, -1
	s_delay_alu instid0(SALU_CYCLE_1)
	s_cmp_lg_u32 s31, 0
	s_waitcnt lgkmcnt(0)
	v_fma_f64 v[2:3], v[27:28], v[29:30], v[2:3]
	s_cbranch_scc1 .LBB14_36
	s_branch .LBB14_11
.LBB14_37:
	s_delay_alu instid0(VALU_DEP_1) | instskip(NEXT) | instid1(SALU_CYCLE_1)
	s_and_b32 s2, s18, s2
	s_and_b32 exec_lo, exec_lo, s2
	s_cbranch_execz .LBB14_60
; %bb.38:
	s_load_b64 s[2:3], s[0:1], 0x70
	v_mad_u64_u32 v[13:14], null, s14, s10, v[12:13]
	v_cmp_neq_f64_e64 s0, 0, v[6:7]
	s_cmp_lg_u32 s16, 1
	s_mov_b32 s4, exec_lo
	s_cselect_b32 s1, -1, 0
	s_delay_alu instid0(VALU_DEP_2) | instskip(SKIP_1) | instid1(VALU_DEP_1)
	v_ashrrev_i32_e32 v14, 31, v13
	s_waitcnt lgkmcnt(0)
	v_mul_lo_u32 v9, v14, s2
	v_mul_lo_u32 v15, v13, s3
	v_mad_u64_u32 v[11:12], null, v13, s2, 0
	v_lshlrev_b64 v[13:14], 3, v[13:14]
	s_delay_alu instid0(VALU_DEP_2) | instskip(NEXT) | instid1(VALU_DEP_1)
	v_add3_u32 v12, v12, v15, v9
	v_lshlrev_b64 v[15:16], 3, v[11:12]
	s_delay_alu instid0(VALU_DEP_3) | instskip(NEXT) | instid1(VALU_DEP_4)
	v_add_co_u32 v12, vcc_lo, s6, v13
	v_add_co_ci_u32_e32 v13, vcc_lo, s7, v14, vcc_lo
	s_delay_alu instid0(VALU_DEP_3) | instskip(NEXT) | instid1(VALU_DEP_4)
	v_add_co_u32 v14, vcc_lo, s6, v15
	v_add_co_ci_u32_e32 v15, vcc_lo, s7, v16, vcc_lo
	v_cmpx_gt_i32_e64 s11, v10
	s_cbranch_execz .LBB14_49
; %bb.39:
	s_and_saveexec_b32 s5, s0
	s_delay_alu instid0(SALU_CYCLE_1)
	s_xor_b32 s5, exec_lo, s5
	s_cbranch_execz .LBB14_44
; %bb.40:
	v_ashrrev_i32_e32 v11, 31, v10
	s_and_b32 vcc_lo, exec_lo, s1
	s_mov_b32 s6, -1
	s_cbranch_vccz .LBB14_42
; %bb.41:
	s_delay_alu instid0(VALU_DEP_1) | instskip(SKIP_2) | instid1(VALU_DEP_2)
	v_lshlrev_b64 v[16:17], 3, v[10:11]
	v_mul_f64 v[20:21], v[4:5], v[0:1]
	s_mov_b32 s6, 0
	v_add_co_u32 v16, vcc_lo, v14, v16
	s_delay_alu instid0(VALU_DEP_3)
	v_add_co_ci_u32_e32 v17, vcc_lo, v15, v17, vcc_lo
	global_load_b64 v[18:19], v[16:17], off
	s_waitcnt vmcnt(0)
	v_fma_f64 v[18:19], v[6:7], v[18:19], v[20:21]
	global_store_b64 v[16:17], v[18:19], off
.LBB14_42:
	s_and_not1_b32 vcc_lo, exec_lo, s6
	s_cbranch_vccnz .LBB14_44
; %bb.43:
	v_mul_lo_u32 v9, v11, s2
	v_mul_lo_u32 v11, v10, s3
	v_mad_u64_u32 v[16:17], null, v10, s2, 0
	v_mul_f64 v[18:19], v[4:5], v[0:1]
	s_delay_alu instid0(VALU_DEP_2) | instskip(NEXT) | instid1(VALU_DEP_1)
	v_add3_u32 v17, v17, v11, v9
	v_lshlrev_b64 v[9:10], 3, v[16:17]
	s_delay_alu instid0(VALU_DEP_1) | instskip(NEXT) | instid1(VALU_DEP_2)
	v_add_co_u32 v9, vcc_lo, v12, v9
	v_add_co_ci_u32_e32 v10, vcc_lo, v13, v10, vcc_lo
	global_load_b64 v[16:17], v[9:10], off
	s_waitcnt vmcnt(0)
	v_fma_f64 v[16:17], v[6:7], v[16:17], v[18:19]
	global_store_b64 v[9:10], v[16:17], off
                                        ; implicit-def: $vgpr10
.LBB14_44:
	s_and_not1_saveexec_b32 s5, s5
	s_cbranch_execz .LBB14_49
; %bb.45:
	v_mul_f64 v[0:1], v[4:5], v[0:1]
	v_ashrrev_i32_e32 v11, 31, v10
	s_and_b32 vcc_lo, exec_lo, s1
	s_mov_b32 s5, -1
	s_cbranch_vccz .LBB14_47
; %bb.46:
	s_delay_alu instid0(VALU_DEP_1) | instskip(SKIP_1) | instid1(VALU_DEP_1)
	v_lshlrev_b64 v[16:17], 3, v[10:11]
	s_mov_b32 s5, 0
	v_add_co_u32 v16, vcc_lo, v14, v16
	s_delay_alu instid0(VALU_DEP_2)
	v_add_co_ci_u32_e32 v17, vcc_lo, v15, v17, vcc_lo
	global_store_b64 v[16:17], v[0:1], off
.LBB14_47:
	s_and_not1_b32 vcc_lo, exec_lo, s5
	s_cbranch_vccnz .LBB14_49
; %bb.48:
	v_mul_lo_u32 v9, v11, s2
	v_mul_lo_u32 v11, v10, s3
	v_mad_u64_u32 v[16:17], null, v10, s2, 0
	s_delay_alu instid0(VALU_DEP_1) | instskip(NEXT) | instid1(VALU_DEP_1)
	v_add3_u32 v17, v17, v11, v9
	v_lshlrev_b64 v[9:10], 3, v[16:17]
	s_delay_alu instid0(VALU_DEP_1) | instskip(NEXT) | instid1(VALU_DEP_2)
	v_add_co_u32 v9, vcc_lo, v12, v9
	v_add_co_ci_u32_e32 v10, vcc_lo, v13, v10, vcc_lo
	global_store_b64 v[9:10], v[0:1], off
.LBB14_49:
	s_or_b32 exec_lo, exec_lo, s4
	v_cmp_gt_i32_e32 vcc_lo, s11, v8
	s_and_b32 exec_lo, exec_lo, vcc_lo
	s_cbranch_execz .LBB14_60
; %bb.50:
	s_and_saveexec_b32 s4, s0
	s_delay_alu instid0(SALU_CYCLE_1)
	s_xor_b32 s0, exec_lo, s4
	s_cbranch_execz .LBB14_55
; %bb.51:
	v_ashrrev_i32_e32 v9, 31, v8
	s_and_not1_b32 vcc_lo, exec_lo, s1
	s_mov_b32 s4, -1
	s_cbranch_vccnz .LBB14_53
; %bb.52:
	s_delay_alu instid0(VALU_DEP_1) | instskip(SKIP_1) | instid1(VALU_DEP_1)
	v_lshlrev_b64 v[0:1], 3, v[8:9]
	s_mov_b32 s4, 0
	v_add_co_u32 v0, vcc_lo, v14, v0
	s_delay_alu instid0(VALU_DEP_2)
	v_add_co_ci_u32_e32 v1, vcc_lo, v15, v1, vcc_lo
	v_mul_f64 v[14:15], v[4:5], v[2:3]
	global_load_b64 v[10:11], v[0:1], off
	s_waitcnt vmcnt(0)
	v_fma_f64 v[10:11], v[6:7], v[10:11], v[14:15]
	global_store_b64 v[0:1], v[10:11], off
.LBB14_53:
	s_and_not1_b32 vcc_lo, exec_lo, s4
                                        ; implicit-def: $vgpr14
                                        ; implicit-def: $vgpr15
	s_cbranch_vccnz .LBB14_55
; %bb.54:
	v_mul_lo_u32 v9, v9, s2
	v_mul_lo_u32 v10, v8, s3
	v_mad_u64_u32 v[0:1], null, v8, s2, 0
	v_mul_f64 v[2:3], v[4:5], v[2:3]
                                        ; implicit-def: $vgpr4_vgpr5
                                        ; implicit-def: $vgpr14
                                        ; implicit-def: $vgpr15
	s_delay_alu instid0(VALU_DEP_2) | instskip(NEXT) | instid1(VALU_DEP_1)
	v_add3_u32 v1, v1, v10, v9
	v_lshlrev_b64 v[0:1], 3, v[0:1]
	s_delay_alu instid0(VALU_DEP_1) | instskip(NEXT) | instid1(VALU_DEP_2)
	v_add_co_u32 v0, vcc_lo, v12, v0
	v_add_co_ci_u32_e32 v1, vcc_lo, v13, v1, vcc_lo
                                        ; implicit-def: $vgpr12
                                        ; implicit-def: $vgpr13
	global_load_b64 v[8:9], v[0:1], off
	s_waitcnt vmcnt(0)
	v_fma_f64 v[2:3], v[6:7], v[8:9], v[2:3]
                                        ; implicit-def: $vgpr8
	global_store_b64 v[0:1], v[2:3], off
                                        ; implicit-def: $vgpr0_vgpr1_vgpr2_vgpr3
.LBB14_55:
	s_and_not1_saveexec_b32 s0, s0
	s_cbranch_execz .LBB14_60
; %bb.56:
	v_mul_f64 v[0:1], v[4:5], v[2:3]
	v_ashrrev_i32_e32 v9, 31, v8
	s_and_not1_b32 vcc_lo, exec_lo, s1
	s_mov_b32 s0, -1
	s_cbranch_vccnz .LBB14_58
; %bb.57:
	s_delay_alu instid0(VALU_DEP_1) | instskip(SKIP_1) | instid1(VALU_DEP_1)
	v_lshlrev_b64 v[2:3], 3, v[8:9]
	s_mov_b32 s0, 0
	v_add_co_u32 v2, vcc_lo, v14, v2
	s_delay_alu instid0(VALU_DEP_2)
	v_add_co_ci_u32_e32 v3, vcc_lo, v15, v3, vcc_lo
	global_store_b64 v[2:3], v[0:1], off
.LBB14_58:
	s_and_not1_b32 vcc_lo, exec_lo, s0
	s_cbranch_vccnz .LBB14_60
; %bb.59:
	v_mul_lo_u32 v4, v9, s2
	v_mul_lo_u32 v5, v8, s3
	v_mad_u64_u32 v[2:3], null, v8, s2, 0
	s_delay_alu instid0(VALU_DEP_1) | instskip(NEXT) | instid1(VALU_DEP_1)
	v_add3_u32 v3, v3, v5, v4
	v_lshlrev_b64 v[2:3], 3, v[2:3]
	s_delay_alu instid0(VALU_DEP_1) | instskip(NEXT) | instid1(VALU_DEP_2)
	v_add_co_u32 v2, vcc_lo, v12, v2
	v_add_co_ci_u32_e32 v3, vcc_lo, v13, v3, vcc_lo
	global_store_b64 v[2:3], v[0:1], off
.LBB14_60:
	s_nop 0
	s_sendmsg sendmsg(MSG_DEALLOC_VGPRS)
	s_endpgm
	.section	.rodata,"a",@progbits
	.p2align	6, 0x0
	.amdhsa_kernel _ZN9rocsparseL31bsrmm_large_blockdim_kernel_extILj16ELj16ELj2EiiddddEEvb20rocsparse_direction_T3_S2_llNS_24const_host_device_scalarIT7_EEPKT2_PKS2_PKT4_S2_PKT5_llS5_PT6_ll16rocsparse_order_21rocsparse_index_base_b
		.amdhsa_group_segment_fixed_size 6144
		.amdhsa_private_segment_fixed_size 0
		.amdhsa_kernarg_size 140
		.amdhsa_user_sgpr_count 14
		.amdhsa_user_sgpr_dispatch_ptr 0
		.amdhsa_user_sgpr_queue_ptr 0
		.amdhsa_user_sgpr_kernarg_segment_ptr 1
		.amdhsa_user_sgpr_dispatch_id 0
		.amdhsa_user_sgpr_private_segment_size 0
		.amdhsa_wavefront_size32 1
		.amdhsa_uses_dynamic_stack 0
		.amdhsa_enable_private_segment 0
		.amdhsa_system_sgpr_workgroup_id_x 1
		.amdhsa_system_sgpr_workgroup_id_y 1
		.amdhsa_system_sgpr_workgroup_id_z 0
		.amdhsa_system_sgpr_workgroup_info 0
		.amdhsa_system_vgpr_workitem_id 1
		.amdhsa_next_free_vgpr 43
		.amdhsa_next_free_sgpr 36
		.amdhsa_reserve_vcc 1
		.amdhsa_float_round_mode_32 0
		.amdhsa_float_round_mode_16_64 0
		.amdhsa_float_denorm_mode_32 3
		.amdhsa_float_denorm_mode_16_64 3
		.amdhsa_dx10_clamp 1
		.amdhsa_ieee_mode 1
		.amdhsa_fp16_overflow 0
		.amdhsa_workgroup_processor_mode 1
		.amdhsa_memory_ordered 1
		.amdhsa_forward_progress 0
		.amdhsa_shared_vgpr_count 0
		.amdhsa_exception_fp_ieee_invalid_op 0
		.amdhsa_exception_fp_denorm_src 0
		.amdhsa_exception_fp_ieee_div_zero 0
		.amdhsa_exception_fp_ieee_overflow 0
		.amdhsa_exception_fp_ieee_underflow 0
		.amdhsa_exception_fp_ieee_inexact 0
		.amdhsa_exception_int_div_zero 0
	.end_amdhsa_kernel
	.section	.text._ZN9rocsparseL31bsrmm_large_blockdim_kernel_extILj16ELj16ELj2EiiddddEEvb20rocsparse_direction_T3_S2_llNS_24const_host_device_scalarIT7_EEPKT2_PKS2_PKT4_S2_PKT5_llS5_PT6_ll16rocsparse_order_21rocsparse_index_base_b,"axG",@progbits,_ZN9rocsparseL31bsrmm_large_blockdim_kernel_extILj16ELj16ELj2EiiddddEEvb20rocsparse_direction_T3_S2_llNS_24const_host_device_scalarIT7_EEPKT2_PKS2_PKT4_S2_PKT5_llS5_PT6_ll16rocsparse_order_21rocsparse_index_base_b,comdat
.Lfunc_end14:
	.size	_ZN9rocsparseL31bsrmm_large_blockdim_kernel_extILj16ELj16ELj2EiiddddEEvb20rocsparse_direction_T3_S2_llNS_24const_host_device_scalarIT7_EEPKT2_PKS2_PKT4_S2_PKT5_llS5_PT6_ll16rocsparse_order_21rocsparse_index_base_b, .Lfunc_end14-_ZN9rocsparseL31bsrmm_large_blockdim_kernel_extILj16ELj16ELj2EiiddddEEvb20rocsparse_direction_T3_S2_llNS_24const_host_device_scalarIT7_EEPKT2_PKS2_PKT4_S2_PKT5_llS5_PT6_ll16rocsparse_order_21rocsparse_index_base_b
                                        ; -- End function
	.section	.AMDGPU.csdata,"",@progbits
; Kernel info:
; codeLenInByte = 2648
; NumSgprs: 38
; NumVgprs: 43
; ScratchSize: 0
; MemoryBound: 0
; FloatMode: 240
; IeeeMode: 1
; LDSByteSize: 6144 bytes/workgroup (compile time only)
; SGPRBlocks: 4
; VGPRBlocks: 5
; NumSGPRsForWavesPerEU: 38
; NumVGPRsForWavesPerEU: 43
; Occupancy: 16
; WaveLimiterHint : 1
; COMPUTE_PGM_RSRC2:SCRATCH_EN: 0
; COMPUTE_PGM_RSRC2:USER_SGPR: 14
; COMPUTE_PGM_RSRC2:TRAP_HANDLER: 0
; COMPUTE_PGM_RSRC2:TGID_X_EN: 1
; COMPUTE_PGM_RSRC2:TGID_Y_EN: 1
; COMPUTE_PGM_RSRC2:TGID_Z_EN: 0
; COMPUTE_PGM_RSRC2:TIDIG_COMP_CNT: 1
	.section	.text._ZN9rocsparseL31bsrmm_large_blockdim_kernel_extILj32ELj32ELj2EiiddddEEvb20rocsparse_direction_T3_S2_llNS_24const_host_device_scalarIT7_EEPKT2_PKS2_PKT4_S2_PKT5_llS5_PT6_ll16rocsparse_order_21rocsparse_index_base_b,"axG",@progbits,_ZN9rocsparseL31bsrmm_large_blockdim_kernel_extILj32ELj32ELj2EiiddddEEvb20rocsparse_direction_T3_S2_llNS_24const_host_device_scalarIT7_EEPKT2_PKS2_PKT4_S2_PKT5_llS5_PT6_ll16rocsparse_order_21rocsparse_index_base_b,comdat
	.globl	_ZN9rocsparseL31bsrmm_large_blockdim_kernel_extILj32ELj32ELj2EiiddddEEvb20rocsparse_direction_T3_S2_llNS_24const_host_device_scalarIT7_EEPKT2_PKS2_PKT4_S2_PKT5_llS5_PT6_ll16rocsparse_order_21rocsparse_index_base_b ; -- Begin function _ZN9rocsparseL31bsrmm_large_blockdim_kernel_extILj32ELj32ELj2EiiddddEEvb20rocsparse_direction_T3_S2_llNS_24const_host_device_scalarIT7_EEPKT2_PKS2_PKT4_S2_PKT5_llS5_PT6_ll16rocsparse_order_21rocsparse_index_base_b
	.p2align	8
	.type	_ZN9rocsparseL31bsrmm_large_blockdim_kernel_extILj32ELj32ELj2EiiddddEEvb20rocsparse_direction_T3_S2_llNS_24const_host_device_scalarIT7_EEPKT2_PKS2_PKT4_S2_PKT5_llS5_PT6_ll16rocsparse_order_21rocsparse_index_base_b,@function
_ZN9rocsparseL31bsrmm_large_blockdim_kernel_extILj32ELj32ELj2EiiddddEEvb20rocsparse_direction_T3_S2_llNS_24const_host_device_scalarIT7_EEPKT2_PKS2_PKT4_S2_PKT5_llS5_PT6_ll16rocsparse_order_21rocsparse_index_base_b: ; @_ZN9rocsparseL31bsrmm_large_blockdim_kernel_extILj32ELj32ELj2EiiddddEEvb20rocsparse_direction_T3_S2_llNS_24const_host_device_scalarIT7_EEPKT2_PKS2_PKT4_S2_PKT5_llS5_PT6_ll16rocsparse_order_21rocsparse_index_base_b
; %bb.0:
	s_clause 0x2
	s_load_b128 s[16:19], s[0:1], 0x80
	s_load_b64 s[6:7], s[0:1], 0x20
	s_load_b64 s[4:5], s[0:1], 0x60
	s_mov_b32 s2, s15
	s_waitcnt lgkmcnt(0)
	s_bitcmp1_b32 s18, 0
	v_dual_mov_b32 v4, s6 :: v_dual_mov_b32 v5, s7
	s_cselect_b32 s3, -1, 0
	s_delay_alu instid0(SALU_CYCLE_1)
	s_and_b32 vcc_lo, exec_lo, s3
	s_xor_b32 s3, s3, -1
	s_cbranch_vccnz .LBB15_2
; %bb.1:
	v_dual_mov_b32 v1, s6 :: v_dual_mov_b32 v2, s7
	flat_load_b64 v[4:5], v[1:2]
.LBB15_2:
	v_dual_mov_b32 v7, s5 :: v_dual_mov_b32 v6, s4
	s_and_not1_b32 vcc_lo, exec_lo, s3
	s_cbranch_vccnz .LBB15_4
; %bb.3:
	v_dual_mov_b32 v1, s4 :: v_dual_mov_b32 v2, s5
	flat_load_b64 v[6:7], v[1:2]
.LBB15_4:
	s_waitcnt vmcnt(0) lgkmcnt(0)
	v_cmp_neq_f64_e32 vcc_lo, 0, v[4:5]
	v_cmp_neq_f64_e64 s3, 1.0, v[6:7]
	s_delay_alu instid0(VALU_DEP_1) | instskip(NEXT) | instid1(SALU_CYCLE_1)
	s_or_b32 s3, vcc_lo, s3
	s_and_saveexec_b32 s4, s3
	s_cbranch_execz .LBB15_60
; %bb.5:
	s_clause 0x1
	s_load_b128 s[8:11], s[0:1], 0x0
	s_load_b64 s[4:5], s[0:1], 0x28
	s_mov_b32 s19, 0
	s_mov_b32 s12, 0
	s_waitcnt lgkmcnt(0)
	s_cmp_lt_i32 s14, s10
	s_cselect_b32 s18, -1, 0
	s_cmp_ge_i32 s14, s10
	s_cbranch_scc1 .LBB15_7
; %bb.6:
	s_ashr_i32 s15, s14, 31
	s_delay_alu instid0(SALU_CYCLE_1) | instskip(NEXT) | instid1(SALU_CYCLE_1)
	s_lshl_b64 s[6:7], s[14:15], 2
	s_add_u32 s6, s4, s6
	s_addc_u32 s7, s5, s7
	s_load_b32 s3, s[6:7], 0x0
	s_waitcnt lgkmcnt(0)
	s_sub_i32 s12, s3, s17
.LBB15_7:
	s_and_not1_b32 vcc_lo, exec_lo, s18
	s_cbranch_vccnz .LBB15_9
; %bb.8:
	s_ashr_i32 s15, s14, 31
	s_delay_alu instid0(SALU_CYCLE_1) | instskip(NEXT) | instid1(SALU_CYCLE_1)
	s_lshl_b64 s[6:7], s[14:15], 2
	s_add_u32 s4, s4, s6
	s_addc_u32 s5, s5, s7
	s_load_b32 s3, s[4:5], 0x4
	s_waitcnt lgkmcnt(0)
	s_sub_i32 s19, s3, s17
.LBB15_9:
	s_clause 0x1
	s_load_b32 s10, s[0:1], 0x40
	s_load_b64 s[6:7], s[0:1], 0x68
	v_bfe_u32 v13, v0, 10, 10
	s_mov_b32 s28, 0
	s_cmp_ge_i32 s12, s19
	s_mov_b32 s29, s28
	s_mov_b32 s30, s28
	v_lshl_add_u32 v10, s2, 6, v13
	s_mov_b32 s31, s28
	v_and_b32_e32 v12, 0x3ff, v0
	v_dual_mov_b32 v0, s28 :: v_dual_mov_b32 v1, s29
	s_delay_alu instid0(VALU_DEP_3) | instskip(SKIP_2) | instid1(VALU_DEP_3)
	v_dual_mov_b32 v3, s31 :: v_dual_add_nc_u32 v8, 32, v10
	v_mov_b32_e32 v2, s30
	v_cmp_gt_i32_e64 s3, s11, v10
	v_cmp_gt_i32_e64 s4, s11, v8
	s_waitcnt lgkmcnt(0)
	v_cmp_gt_i32_e64 s2, s10, v12
	s_cbranch_scc1 .LBB15_37
; %bb.10:
	s_clause 0x1
	s_load_b128 s[20:23], s[0:1], 0x48
	s_load_b128 s[24:27], s[0:1], 0x30
	v_ashrrev_i32_e32 v11, 31, v10
	v_ashrrev_i32_e32 v9, 31, v8
	v_mad_u64_u32 v[0:1], null, v13, s10, v[12:13]
	v_mad_u64_u32 v[1:2], null, v12, s10, v[13:14]
	v_cmp_gt_i32_e32 vcc_lo, s10, v13
	v_lshlrev_b32_e32 v3, 5, v13
	v_lshl_add_u32 v16, v12, 5, v13
	v_lshlrev_b32_e32 v24, 8, v13
	v_lshl_add_u32 v25, v12, 8, 0x4000
	s_and_b32 s15, s2, vcc_lo
	s_bitcmp1_b32 s8, 0
	v_lshl_add_u32 v22, v16, 3, 0x4000
	s_cselect_b32 s5, -1, 0
	s_cmp_eq_u32 s9, 0
	v_add_lshl_u32 v23, v3, v12, 3
	s_cselect_b32 vcc_lo, -1, 0
	s_waitcnt lgkmcnt(0)
	v_mul_lo_u32 v2, v10, s23
	v_mul_lo_u32 v17, v11, s22
	v_mad_u64_u32 v[14:15], null, v10, s22, 0
	v_mul_lo_u32 v20, v8, s23
	v_mul_lo_u32 v21, v9, s22
	v_mad_u64_u32 v[18:19], null, v8, s22, 0
	s_add_i32 s9, s10, -1
	s_and_b32 s8, s10, 7
	s_delay_alu instid0(VALU_DEP_4) | instskip(SKIP_3) | instid1(VALU_DEP_4)
	v_add3_u32 v15, v15, v2, v17
	s_cmp_gt_u32 s9, 6
	v_dual_cndmask_b32 v13, v0, v1 :: v_dual_mov_b32 v0, s28
	v_mov_b32_e32 v3, s31
	v_add3_u32 v19, v19, v20, v21
	v_lshlrev_b64 v[14:15], 3, v[14:15]
	v_lshlrev_b64 v[16:17], 3, v[10:11]
	;; [unrolled: 1-line block ×3, first 2 shown]
	s_cselect_b32 s9, -1, 0
	v_lshlrev_b64 v[18:19], 3, v[18:19]
	s_and_b32 s33, s10, -8
	v_dual_mov_b32 v1, s29 :: v_dual_add_nc_u32 v26, 0x2000, v24
	v_mov_b32_e32 v2, s30
	s_cmp_lg_u32 s8, 0
	s_mul_i32 s28, s10, s10
	s_cselect_b32 s29, -1, 0
	s_branch .LBB15_13
.LBB15_11:                              ;   in Loop: Header=BB15_13 Depth=1
	s_or_b32 exec_lo, exec_lo, s30
.LBB15_12:                              ;   in Loop: Header=BB15_13 Depth=1
	s_delay_alu instid0(SALU_CYCLE_1) | instskip(SKIP_1) | instid1(SALU_CYCLE_1)
	s_or_b32 exec_lo, exec_lo, s13
	s_add_i32 s12, s12, 1
	s_cmp_ge_i32 s12, s19
	s_barrier
	buffer_gl0_inv
	s_cbranch_scc1 .LBB15_37
.LBB15_13:                              ; =>This Loop Header: Depth=1
                                        ;     Child Loop BB15_24 Depth 2
                                        ;     Child Loop BB15_28 Depth 2
	;; [unrolled: 1-line block ×4, first 2 shown]
	s_and_saveexec_b32 s30, s2
	s_cbranch_execz .LBB15_18
; %bb.14:                               ;   in Loop: Header=BB15_13 Depth=1
	s_ashr_i32 s13, s12, 31
	s_delay_alu instid0(SALU_CYCLE_1) | instskip(NEXT) | instid1(SALU_CYCLE_1)
	s_lshl_b64 s[34:35], s[12:13], 2
	s_add_u32 s34, s24, s34
	s_addc_u32 s35, s25, s35
	s_load_b32 s13, s[34:35], 0x0
	s_waitcnt lgkmcnt(0)
	s_sub_i32 s13, s13, s17
	s_delay_alu instid0(SALU_CYCLE_1) | instskip(NEXT) | instid1(VALU_DEP_1)
	v_mad_u64_u32 v[27:28], null, s13, s10, v[12:13]
	v_ashrrev_i32_e32 v28, 31, v27
	v_mul_lo_u32 v9, v27, s23
	v_mad_u64_u32 v[29:30], null, v27, s22, 0
	s_delay_alu instid0(VALU_DEP_3) | instskip(SKIP_1) | instid1(VALU_DEP_2)
	v_mul_lo_u32 v11, v28, s22
	v_lshlrev_b64 v[27:28], 3, v[27:28]
	v_add3_u32 v30, v30, v9, v11
	s_delay_alu instid0(VALU_DEP_1) | instskip(NEXT) | instid1(VALU_DEP_1)
	v_lshlrev_b64 v[29:30], 3, v[29:30]
	v_add_co_u32 v9, vcc_lo, s20, v29
	s_delay_alu instid0(VALU_DEP_2)
	v_add_co_ci_u32_e32 v11, vcc_lo, s21, v30, vcc_lo
	v_add_co_u32 v27, vcc_lo, s20, v27
	v_add_co_ci_u32_e32 v28, vcc_lo, s21, v28, vcc_lo
	s_and_saveexec_b32 s13, s3
	s_cbranch_execz .LBB15_16
; %bb.15:                               ;   in Loop: Header=BB15_13 Depth=1
	s_delay_alu instid0(VALU_DEP_2) | instskip(NEXT) | instid1(VALU_DEP_2)
	v_add_co_u32 v29, vcc_lo, v27, v14
	v_add_co_ci_u32_e32 v30, vcc_lo, v28, v15, vcc_lo
	v_add_co_u32 v31, vcc_lo, v9, v16
	v_add_co_ci_u32_e32 v32, vcc_lo, v11, v17, vcc_lo
	s_delay_alu instid0(VALU_DEP_2) | instskip(NEXT) | instid1(VALU_DEP_2)
	v_cndmask_b32_e64 v29, v31, v29, s5
	v_cndmask_b32_e64 v30, v32, v30, s5
	global_load_b64 v[29:30], v[29:30], off
	s_waitcnt vmcnt(0)
	ds_store_b64 v23, v[29:30]
.LBB15_16:                              ;   in Loop: Header=BB15_13 Depth=1
	s_or_b32 exec_lo, exec_lo, s13
	s_delay_alu instid0(SALU_CYCLE_1)
	s_and_b32 exec_lo, exec_lo, s4
	s_cbranch_execz .LBB15_18
; %bb.17:                               ;   in Loop: Header=BB15_13 Depth=1
	v_add_co_u32 v27, vcc_lo, v27, v18
	v_add_co_ci_u32_e32 v28, vcc_lo, v28, v19, vcc_lo
	v_add_co_u32 v9, vcc_lo, v9, v20
	v_add_co_ci_u32_e32 v11, vcc_lo, v11, v21, vcc_lo
	s_delay_alu instid0(VALU_DEP_2) | instskip(NEXT) | instid1(VALU_DEP_2)
	v_cndmask_b32_e64 v27, v9, v27, s5
	v_cndmask_b32_e64 v28, v11, v28, s5
	global_load_b64 v[27:28], v[27:28], off
	s_waitcnt vmcnt(0)
	ds_store_b64 v23, v[27:28] offset:8192
.LBB15_18:                              ;   in Loop: Header=BB15_13 Depth=1
	s_or_b32 exec_lo, exec_lo, s30
	s_and_saveexec_b32 s13, s15
	s_cbranch_execz .LBB15_20
; %bb.19:                               ;   in Loop: Header=BB15_13 Depth=1
	v_mad_u64_u32 v[27:28], null, s28, s12, v[13:14]
	s_delay_alu instid0(VALU_DEP_1) | instskip(NEXT) | instid1(VALU_DEP_1)
	v_ashrrev_i32_e32 v28, 31, v27
	v_lshlrev_b64 v[27:28], 3, v[27:28]
	s_delay_alu instid0(VALU_DEP_1) | instskip(NEXT) | instid1(VALU_DEP_2)
	v_add_co_u32 v27, vcc_lo, s26, v27
	v_add_co_ci_u32_e32 v28, vcc_lo, s27, v28, vcc_lo
	global_load_b64 v[27:28], v[27:28], off
	s_waitcnt vmcnt(0)
	ds_store_b64 v22, v[27:28]
.LBB15_20:                              ;   in Loop: Header=BB15_13 Depth=1
	s_or_b32 exec_lo, exec_lo, s13
	s_waitcnt lgkmcnt(0)
	s_barrier
	buffer_gl0_inv
	s_and_saveexec_b32 s13, s2
	s_cbranch_execz .LBB15_12
; %bb.21:                               ;   in Loop: Header=BB15_13 Depth=1
	s_and_saveexec_b32 s30, s3
	s_cbranch_execz .LBB15_29
; %bb.22:                               ;   in Loop: Header=BB15_13 Depth=1
	s_and_not1_b32 vcc_lo, exec_lo, s9
	s_cbranch_vccnz .LBB15_26
; %bb.23:                               ;   in Loop: Header=BB15_13 Depth=1
	v_mov_b32_e32 v9, v25
	v_mov_b32_e32 v11, v24
	s_mov_b32 s31, 0
	s_set_inst_prefetch_distance 0x1
	.p2align	6
.LBB15_24:                              ;   Parent Loop BB15_13 Depth=1
                                        ; =>  This Inner Loop Header: Depth=2
	ds_load_b128 v[27:30], v11
	ds_load_b128 v[31:34], v9
	ds_load_b128 v[35:38], v9 offset:16
	ds_load_b128 v[39:42], v11 offset:16
	s_add_i32 s31, s31, 8
	s_delay_alu instid0(SALU_CYCLE_1) | instskip(SKIP_2) | instid1(VALU_DEP_1)
	s_cmp_lg_u32 s33, s31
	s_waitcnt lgkmcnt(2)
	v_fma_f64 v[0:1], v[31:32], v[27:28], v[0:1]
	v_fma_f64 v[0:1], v[33:34], v[29:30], v[0:1]
	s_waitcnt lgkmcnt(0)
	s_delay_alu instid0(VALU_DEP_1) | instskip(NEXT) | instid1(VALU_DEP_1)
	v_fma_f64 v[0:1], v[35:36], v[39:40], v[0:1]
	v_fma_f64 v[0:1], v[37:38], v[41:42], v[0:1]
	ds_load_b128 v[27:30], v11 offset:32
	ds_load_b128 v[31:34], v9 offset:32
	;; [unrolled: 1-line block ×4, first 2 shown]
	v_add_nc_u32_e32 v11, 64, v11
	v_add_nc_u32_e32 v9, 64, v9
	s_waitcnt lgkmcnt(2)
	v_fma_f64 v[0:1], v[31:32], v[27:28], v[0:1]
	s_delay_alu instid0(VALU_DEP_1) | instskip(SKIP_1) | instid1(VALU_DEP_1)
	v_fma_f64 v[0:1], v[33:34], v[29:30], v[0:1]
	s_waitcnt lgkmcnt(0)
	v_fma_f64 v[0:1], v[35:36], v[39:40], v[0:1]
	s_delay_alu instid0(VALU_DEP_1)
	v_fma_f64 v[0:1], v[37:38], v[41:42], v[0:1]
	s_cbranch_scc1 .LBB15_24
; %bb.25:                               ;   in Loop: Header=BB15_13 Depth=1
	s_set_inst_prefetch_distance 0x2
	s_mov_b32 s31, s33
	s_and_not1_b32 vcc_lo, exec_lo, s29
	s_cbranch_vccz .LBB15_27
	s_branch .LBB15_29
.LBB15_26:                              ;   in Loop: Header=BB15_13 Depth=1
	s_mov_b32 s31, 0
	s_and_not1_b32 vcc_lo, exec_lo, s29
	s_cbranch_vccnz .LBB15_29
.LBB15_27:                              ;   in Loop: Header=BB15_13 Depth=1
	s_lshl_b32 s31, s31, 3
	s_delay_alu instid0(SALU_CYCLE_1)
	v_add_nc_u32_e32 v9, s31, v24
	v_add_nc_u32_e32 v11, s31, v25
	s_mov_b32 s31, s8
.LBB15_28:                              ;   Parent Loop BB15_13 Depth=1
                                        ; =>  This Inner Loop Header: Depth=2
	ds_load_b64 v[27:28], v11
	ds_load_b64 v[29:30], v9
	v_add_nc_u32_e32 v9, 8, v9
	v_add_nc_u32_e32 v11, 8, v11
	s_add_i32 s31, s31, -1
	s_delay_alu instid0(SALU_CYCLE_1)
	s_cmp_lg_u32 s31, 0
	s_waitcnt lgkmcnt(0)
	v_fma_f64 v[0:1], v[27:28], v[29:30], v[0:1]
	s_cbranch_scc1 .LBB15_28
.LBB15_29:                              ;   in Loop: Header=BB15_13 Depth=1
	s_or_b32 exec_lo, exec_lo, s30
	s_and_saveexec_b32 s30, s4
	s_cbranch_execz .LBB15_11
; %bb.30:                               ;   in Loop: Header=BB15_13 Depth=1
	s_and_not1_b32 vcc_lo, exec_lo, s9
	s_cbranch_vccnz .LBB15_34
; %bb.31:                               ;   in Loop: Header=BB15_13 Depth=1
	v_mov_b32_e32 v9, v25
	v_mov_b32_e32 v11, v26
	s_mov_b32 s31, 0
	s_set_inst_prefetch_distance 0x1
	.p2align	6
.LBB15_32:                              ;   Parent Loop BB15_13 Depth=1
                                        ; =>  This Inner Loop Header: Depth=2
	ds_load_b128 v[27:30], v11
	ds_load_b128 v[31:34], v9
	ds_load_b128 v[35:38], v9 offset:16
	ds_load_b128 v[39:42], v11 offset:16
	s_add_i32 s31, s31, 8
	s_delay_alu instid0(SALU_CYCLE_1) | instskip(SKIP_2) | instid1(VALU_DEP_1)
	s_cmp_lg_u32 s33, s31
	s_waitcnt lgkmcnt(2)
	v_fma_f64 v[2:3], v[31:32], v[27:28], v[2:3]
	v_fma_f64 v[2:3], v[33:34], v[29:30], v[2:3]
	s_waitcnt lgkmcnt(0)
	s_delay_alu instid0(VALU_DEP_1) | instskip(NEXT) | instid1(VALU_DEP_1)
	v_fma_f64 v[2:3], v[35:36], v[39:40], v[2:3]
	v_fma_f64 v[2:3], v[37:38], v[41:42], v[2:3]
	ds_load_b128 v[27:30], v11 offset:32
	ds_load_b128 v[31:34], v9 offset:32
	;; [unrolled: 1-line block ×4, first 2 shown]
	v_add_nc_u32_e32 v11, 64, v11
	v_add_nc_u32_e32 v9, 64, v9
	s_waitcnt lgkmcnt(2)
	v_fma_f64 v[2:3], v[31:32], v[27:28], v[2:3]
	s_delay_alu instid0(VALU_DEP_1) | instskip(SKIP_1) | instid1(VALU_DEP_1)
	v_fma_f64 v[2:3], v[33:34], v[29:30], v[2:3]
	s_waitcnt lgkmcnt(0)
	v_fma_f64 v[2:3], v[35:36], v[39:40], v[2:3]
	s_delay_alu instid0(VALU_DEP_1)
	v_fma_f64 v[2:3], v[37:38], v[41:42], v[2:3]
	s_cbranch_scc1 .LBB15_32
; %bb.33:                               ;   in Loop: Header=BB15_13 Depth=1
	s_set_inst_prefetch_distance 0x2
	s_mov_b32 s31, s33
	s_and_not1_b32 vcc_lo, exec_lo, s29
	s_cbranch_vccz .LBB15_35
	s_branch .LBB15_11
.LBB15_34:                              ;   in Loop: Header=BB15_13 Depth=1
	s_mov_b32 s31, 0
	s_and_not1_b32 vcc_lo, exec_lo, s29
	s_cbranch_vccnz .LBB15_11
.LBB15_35:                              ;   in Loop: Header=BB15_13 Depth=1
	s_lshl_b32 s31, s31, 3
	s_delay_alu instid0(SALU_CYCLE_1)
	v_add_nc_u32_e32 v9, s31, v26
	v_add_nc_u32_e32 v11, s31, v25
	s_mov_b32 s31, s8
.LBB15_36:                              ;   Parent Loop BB15_13 Depth=1
                                        ; =>  This Inner Loop Header: Depth=2
	ds_load_b64 v[27:28], v11
	ds_load_b64 v[29:30], v9
	v_add_nc_u32_e32 v9, 8, v9
	v_add_nc_u32_e32 v11, 8, v11
	s_add_i32 s31, s31, -1
	s_delay_alu instid0(SALU_CYCLE_1)
	s_cmp_lg_u32 s31, 0
	s_waitcnt lgkmcnt(0)
	v_fma_f64 v[2:3], v[27:28], v[29:30], v[2:3]
	s_cbranch_scc1 .LBB15_36
	s_branch .LBB15_11
.LBB15_37:
	s_delay_alu instid0(VALU_DEP_1) | instskip(NEXT) | instid1(SALU_CYCLE_1)
	s_and_b32 s2, s18, s2
	s_and_b32 exec_lo, exec_lo, s2
	s_cbranch_execz .LBB15_60
; %bb.38:
	s_load_b64 s[2:3], s[0:1], 0x70
	v_mad_u64_u32 v[13:14], null, s14, s10, v[12:13]
	v_cmp_neq_f64_e64 s0, 0, v[6:7]
	s_cmp_lg_u32 s16, 1
	s_mov_b32 s4, exec_lo
	s_cselect_b32 s1, -1, 0
	s_delay_alu instid0(VALU_DEP_2) | instskip(SKIP_1) | instid1(VALU_DEP_1)
	v_ashrrev_i32_e32 v14, 31, v13
	s_waitcnt lgkmcnt(0)
	v_mul_lo_u32 v9, v14, s2
	v_mul_lo_u32 v15, v13, s3
	v_mad_u64_u32 v[11:12], null, v13, s2, 0
	v_lshlrev_b64 v[13:14], 3, v[13:14]
	s_delay_alu instid0(VALU_DEP_2) | instskip(NEXT) | instid1(VALU_DEP_1)
	v_add3_u32 v12, v12, v15, v9
	v_lshlrev_b64 v[15:16], 3, v[11:12]
	s_delay_alu instid0(VALU_DEP_3) | instskip(NEXT) | instid1(VALU_DEP_4)
	v_add_co_u32 v12, vcc_lo, s6, v13
	v_add_co_ci_u32_e32 v13, vcc_lo, s7, v14, vcc_lo
	s_delay_alu instid0(VALU_DEP_3) | instskip(NEXT) | instid1(VALU_DEP_4)
	v_add_co_u32 v14, vcc_lo, s6, v15
	v_add_co_ci_u32_e32 v15, vcc_lo, s7, v16, vcc_lo
	v_cmpx_gt_i32_e64 s11, v10
	s_cbranch_execz .LBB15_49
; %bb.39:
	s_and_saveexec_b32 s5, s0
	s_delay_alu instid0(SALU_CYCLE_1)
	s_xor_b32 s5, exec_lo, s5
	s_cbranch_execz .LBB15_44
; %bb.40:
	v_ashrrev_i32_e32 v11, 31, v10
	s_and_b32 vcc_lo, exec_lo, s1
	s_mov_b32 s6, -1
	s_cbranch_vccz .LBB15_42
; %bb.41:
	s_delay_alu instid0(VALU_DEP_1) | instskip(SKIP_2) | instid1(VALU_DEP_2)
	v_lshlrev_b64 v[16:17], 3, v[10:11]
	v_mul_f64 v[20:21], v[4:5], v[0:1]
	s_mov_b32 s6, 0
	v_add_co_u32 v16, vcc_lo, v14, v16
	s_delay_alu instid0(VALU_DEP_3)
	v_add_co_ci_u32_e32 v17, vcc_lo, v15, v17, vcc_lo
	global_load_b64 v[18:19], v[16:17], off
	s_waitcnt vmcnt(0)
	v_fma_f64 v[18:19], v[6:7], v[18:19], v[20:21]
	global_store_b64 v[16:17], v[18:19], off
.LBB15_42:
	s_and_not1_b32 vcc_lo, exec_lo, s6
	s_cbranch_vccnz .LBB15_44
; %bb.43:
	v_mul_lo_u32 v9, v11, s2
	v_mul_lo_u32 v11, v10, s3
	v_mad_u64_u32 v[16:17], null, v10, s2, 0
	v_mul_f64 v[18:19], v[4:5], v[0:1]
	s_delay_alu instid0(VALU_DEP_2) | instskip(NEXT) | instid1(VALU_DEP_1)
	v_add3_u32 v17, v17, v11, v9
	v_lshlrev_b64 v[9:10], 3, v[16:17]
	s_delay_alu instid0(VALU_DEP_1) | instskip(NEXT) | instid1(VALU_DEP_2)
	v_add_co_u32 v9, vcc_lo, v12, v9
	v_add_co_ci_u32_e32 v10, vcc_lo, v13, v10, vcc_lo
	global_load_b64 v[16:17], v[9:10], off
	s_waitcnt vmcnt(0)
	v_fma_f64 v[16:17], v[6:7], v[16:17], v[18:19]
	global_store_b64 v[9:10], v[16:17], off
                                        ; implicit-def: $vgpr10
.LBB15_44:
	s_and_not1_saveexec_b32 s5, s5
	s_cbranch_execz .LBB15_49
; %bb.45:
	v_mul_f64 v[0:1], v[4:5], v[0:1]
	v_ashrrev_i32_e32 v11, 31, v10
	s_and_b32 vcc_lo, exec_lo, s1
	s_mov_b32 s5, -1
	s_cbranch_vccz .LBB15_47
; %bb.46:
	s_delay_alu instid0(VALU_DEP_1) | instskip(SKIP_1) | instid1(VALU_DEP_1)
	v_lshlrev_b64 v[16:17], 3, v[10:11]
	s_mov_b32 s5, 0
	v_add_co_u32 v16, vcc_lo, v14, v16
	s_delay_alu instid0(VALU_DEP_2)
	v_add_co_ci_u32_e32 v17, vcc_lo, v15, v17, vcc_lo
	global_store_b64 v[16:17], v[0:1], off
.LBB15_47:
	s_and_not1_b32 vcc_lo, exec_lo, s5
	s_cbranch_vccnz .LBB15_49
; %bb.48:
	v_mul_lo_u32 v9, v11, s2
	v_mul_lo_u32 v11, v10, s3
	v_mad_u64_u32 v[16:17], null, v10, s2, 0
	s_delay_alu instid0(VALU_DEP_1) | instskip(NEXT) | instid1(VALU_DEP_1)
	v_add3_u32 v17, v17, v11, v9
	v_lshlrev_b64 v[9:10], 3, v[16:17]
	s_delay_alu instid0(VALU_DEP_1) | instskip(NEXT) | instid1(VALU_DEP_2)
	v_add_co_u32 v9, vcc_lo, v12, v9
	v_add_co_ci_u32_e32 v10, vcc_lo, v13, v10, vcc_lo
	global_store_b64 v[9:10], v[0:1], off
.LBB15_49:
	s_or_b32 exec_lo, exec_lo, s4
	v_cmp_gt_i32_e32 vcc_lo, s11, v8
	s_and_b32 exec_lo, exec_lo, vcc_lo
	s_cbranch_execz .LBB15_60
; %bb.50:
	s_and_saveexec_b32 s4, s0
	s_delay_alu instid0(SALU_CYCLE_1)
	s_xor_b32 s0, exec_lo, s4
	s_cbranch_execz .LBB15_55
; %bb.51:
	v_ashrrev_i32_e32 v9, 31, v8
	s_and_not1_b32 vcc_lo, exec_lo, s1
	s_mov_b32 s4, -1
	s_cbranch_vccnz .LBB15_53
; %bb.52:
	s_delay_alu instid0(VALU_DEP_1) | instskip(SKIP_1) | instid1(VALU_DEP_1)
	v_lshlrev_b64 v[0:1], 3, v[8:9]
	s_mov_b32 s4, 0
	v_add_co_u32 v0, vcc_lo, v14, v0
	s_delay_alu instid0(VALU_DEP_2)
	v_add_co_ci_u32_e32 v1, vcc_lo, v15, v1, vcc_lo
	v_mul_f64 v[14:15], v[4:5], v[2:3]
	global_load_b64 v[10:11], v[0:1], off
	s_waitcnt vmcnt(0)
	v_fma_f64 v[10:11], v[6:7], v[10:11], v[14:15]
	global_store_b64 v[0:1], v[10:11], off
.LBB15_53:
	s_and_not1_b32 vcc_lo, exec_lo, s4
                                        ; implicit-def: $vgpr14
                                        ; implicit-def: $vgpr15
	s_cbranch_vccnz .LBB15_55
; %bb.54:
	v_mul_lo_u32 v9, v9, s2
	v_mul_lo_u32 v10, v8, s3
	v_mad_u64_u32 v[0:1], null, v8, s2, 0
	v_mul_f64 v[2:3], v[4:5], v[2:3]
                                        ; implicit-def: $vgpr4_vgpr5
                                        ; implicit-def: $vgpr14
                                        ; implicit-def: $vgpr15
	s_delay_alu instid0(VALU_DEP_2) | instskip(NEXT) | instid1(VALU_DEP_1)
	v_add3_u32 v1, v1, v10, v9
	v_lshlrev_b64 v[0:1], 3, v[0:1]
	s_delay_alu instid0(VALU_DEP_1) | instskip(NEXT) | instid1(VALU_DEP_2)
	v_add_co_u32 v0, vcc_lo, v12, v0
	v_add_co_ci_u32_e32 v1, vcc_lo, v13, v1, vcc_lo
                                        ; implicit-def: $vgpr12
                                        ; implicit-def: $vgpr13
	global_load_b64 v[8:9], v[0:1], off
	s_waitcnt vmcnt(0)
	v_fma_f64 v[2:3], v[6:7], v[8:9], v[2:3]
                                        ; implicit-def: $vgpr8
	global_store_b64 v[0:1], v[2:3], off
                                        ; implicit-def: $vgpr0_vgpr1_vgpr2_vgpr3
.LBB15_55:
	s_and_not1_saveexec_b32 s0, s0
	s_cbranch_execz .LBB15_60
; %bb.56:
	v_mul_f64 v[0:1], v[4:5], v[2:3]
	v_ashrrev_i32_e32 v9, 31, v8
	s_and_not1_b32 vcc_lo, exec_lo, s1
	s_mov_b32 s0, -1
	s_cbranch_vccnz .LBB15_58
; %bb.57:
	s_delay_alu instid0(VALU_DEP_1) | instskip(SKIP_1) | instid1(VALU_DEP_1)
	v_lshlrev_b64 v[2:3], 3, v[8:9]
	s_mov_b32 s0, 0
	v_add_co_u32 v2, vcc_lo, v14, v2
	s_delay_alu instid0(VALU_DEP_2)
	v_add_co_ci_u32_e32 v3, vcc_lo, v15, v3, vcc_lo
	global_store_b64 v[2:3], v[0:1], off
.LBB15_58:
	s_and_not1_b32 vcc_lo, exec_lo, s0
	s_cbranch_vccnz .LBB15_60
; %bb.59:
	v_mul_lo_u32 v4, v9, s2
	v_mul_lo_u32 v5, v8, s3
	v_mad_u64_u32 v[2:3], null, v8, s2, 0
	s_delay_alu instid0(VALU_DEP_1) | instskip(NEXT) | instid1(VALU_DEP_1)
	v_add3_u32 v3, v3, v5, v4
	v_lshlrev_b64 v[2:3], 3, v[2:3]
	s_delay_alu instid0(VALU_DEP_1) | instskip(NEXT) | instid1(VALU_DEP_2)
	v_add_co_u32 v2, vcc_lo, v12, v2
	v_add_co_ci_u32_e32 v3, vcc_lo, v13, v3, vcc_lo
	global_store_b64 v[2:3], v[0:1], off
.LBB15_60:
	s_nop 0
	s_sendmsg sendmsg(MSG_DEALLOC_VGPRS)
	s_endpgm
	.section	.rodata,"a",@progbits
	.p2align	6, 0x0
	.amdhsa_kernel _ZN9rocsparseL31bsrmm_large_blockdim_kernel_extILj32ELj32ELj2EiiddddEEvb20rocsparse_direction_T3_S2_llNS_24const_host_device_scalarIT7_EEPKT2_PKS2_PKT4_S2_PKT5_llS5_PT6_ll16rocsparse_order_21rocsparse_index_base_b
		.amdhsa_group_segment_fixed_size 24576
		.amdhsa_private_segment_fixed_size 0
		.amdhsa_kernarg_size 140
		.amdhsa_user_sgpr_count 14
		.amdhsa_user_sgpr_dispatch_ptr 0
		.amdhsa_user_sgpr_queue_ptr 0
		.amdhsa_user_sgpr_kernarg_segment_ptr 1
		.amdhsa_user_sgpr_dispatch_id 0
		.amdhsa_user_sgpr_private_segment_size 0
		.amdhsa_wavefront_size32 1
		.amdhsa_uses_dynamic_stack 0
		.amdhsa_enable_private_segment 0
		.amdhsa_system_sgpr_workgroup_id_x 1
		.amdhsa_system_sgpr_workgroup_id_y 1
		.amdhsa_system_sgpr_workgroup_id_z 0
		.amdhsa_system_sgpr_workgroup_info 0
		.amdhsa_system_vgpr_workitem_id 1
		.amdhsa_next_free_vgpr 43
		.amdhsa_next_free_sgpr 36
		.amdhsa_reserve_vcc 1
		.amdhsa_float_round_mode_32 0
		.amdhsa_float_round_mode_16_64 0
		.amdhsa_float_denorm_mode_32 3
		.amdhsa_float_denorm_mode_16_64 3
		.amdhsa_dx10_clamp 1
		.amdhsa_ieee_mode 1
		.amdhsa_fp16_overflow 0
		.amdhsa_workgroup_processor_mode 1
		.amdhsa_memory_ordered 1
		.amdhsa_forward_progress 0
		.amdhsa_shared_vgpr_count 0
		.amdhsa_exception_fp_ieee_invalid_op 0
		.amdhsa_exception_fp_denorm_src 0
		.amdhsa_exception_fp_ieee_div_zero 0
		.amdhsa_exception_fp_ieee_overflow 0
		.amdhsa_exception_fp_ieee_underflow 0
		.amdhsa_exception_fp_ieee_inexact 0
		.amdhsa_exception_int_div_zero 0
	.end_amdhsa_kernel
	.section	.text._ZN9rocsparseL31bsrmm_large_blockdim_kernel_extILj32ELj32ELj2EiiddddEEvb20rocsparse_direction_T3_S2_llNS_24const_host_device_scalarIT7_EEPKT2_PKS2_PKT4_S2_PKT5_llS5_PT6_ll16rocsparse_order_21rocsparse_index_base_b,"axG",@progbits,_ZN9rocsparseL31bsrmm_large_blockdim_kernel_extILj32ELj32ELj2EiiddddEEvb20rocsparse_direction_T3_S2_llNS_24const_host_device_scalarIT7_EEPKT2_PKS2_PKT4_S2_PKT5_llS5_PT6_ll16rocsparse_order_21rocsparse_index_base_b,comdat
.Lfunc_end15:
	.size	_ZN9rocsparseL31bsrmm_large_blockdim_kernel_extILj32ELj32ELj2EiiddddEEvb20rocsparse_direction_T3_S2_llNS_24const_host_device_scalarIT7_EEPKT2_PKS2_PKT4_S2_PKT5_llS5_PT6_ll16rocsparse_order_21rocsparse_index_base_b, .Lfunc_end15-_ZN9rocsparseL31bsrmm_large_blockdim_kernel_extILj32ELj32ELj2EiiddddEEvb20rocsparse_direction_T3_S2_llNS_24const_host_device_scalarIT7_EEPKT2_PKS2_PKT4_S2_PKT5_llS5_PT6_ll16rocsparse_order_21rocsparse_index_base_b
                                        ; -- End function
	.section	.AMDGPU.csdata,"",@progbits
; Kernel info:
; codeLenInByte = 2648
; NumSgprs: 38
; NumVgprs: 43
; ScratchSize: 0
; MemoryBound: 0
; FloatMode: 240
; IeeeMode: 1
; LDSByteSize: 24576 bytes/workgroup (compile time only)
; SGPRBlocks: 4
; VGPRBlocks: 5
; NumSGPRsForWavesPerEU: 38
; NumVGPRsForWavesPerEU: 43
; Occupancy: 16
; WaveLimiterHint : 1
; COMPUTE_PGM_RSRC2:SCRATCH_EN: 0
; COMPUTE_PGM_RSRC2:USER_SGPR: 14
; COMPUTE_PGM_RSRC2:TRAP_HANDLER: 0
; COMPUTE_PGM_RSRC2:TGID_X_EN: 1
; COMPUTE_PGM_RSRC2:TGID_Y_EN: 1
; COMPUTE_PGM_RSRC2:TGID_Z_EN: 0
; COMPUTE_PGM_RSRC2:TIDIG_COMP_CNT: 1
	.section	.text._ZN9rocsparseL31bsrmm_large_blockdim_kernel_extILj8ELj8ELj2EliddddEEvb20rocsparse_direction_T3_S2_llNS_24const_host_device_scalarIT7_EEPKT2_PKS2_PKT4_S2_PKT5_llS5_PT6_ll16rocsparse_order_21rocsparse_index_base_b,"axG",@progbits,_ZN9rocsparseL31bsrmm_large_blockdim_kernel_extILj8ELj8ELj2EliddddEEvb20rocsparse_direction_T3_S2_llNS_24const_host_device_scalarIT7_EEPKT2_PKS2_PKT4_S2_PKT5_llS5_PT6_ll16rocsparse_order_21rocsparse_index_base_b,comdat
	.globl	_ZN9rocsparseL31bsrmm_large_blockdim_kernel_extILj8ELj8ELj2EliddddEEvb20rocsparse_direction_T3_S2_llNS_24const_host_device_scalarIT7_EEPKT2_PKS2_PKT4_S2_PKT5_llS5_PT6_ll16rocsparse_order_21rocsparse_index_base_b ; -- Begin function _ZN9rocsparseL31bsrmm_large_blockdim_kernel_extILj8ELj8ELj2EliddddEEvb20rocsparse_direction_T3_S2_llNS_24const_host_device_scalarIT7_EEPKT2_PKS2_PKT4_S2_PKT5_llS5_PT6_ll16rocsparse_order_21rocsparse_index_base_b
	.p2align	8
	.type	_ZN9rocsparseL31bsrmm_large_blockdim_kernel_extILj8ELj8ELj2EliddddEEvb20rocsparse_direction_T3_S2_llNS_24const_host_device_scalarIT7_EEPKT2_PKS2_PKT4_S2_PKT5_llS5_PT6_ll16rocsparse_order_21rocsparse_index_base_b,@function
_ZN9rocsparseL31bsrmm_large_blockdim_kernel_extILj8ELj8ELj2EliddddEEvb20rocsparse_direction_T3_S2_llNS_24const_host_device_scalarIT7_EEPKT2_PKS2_PKT4_S2_PKT5_llS5_PT6_ll16rocsparse_order_21rocsparse_index_base_b: ; @_ZN9rocsparseL31bsrmm_large_blockdim_kernel_extILj8ELj8ELj2EliddddEEvb20rocsparse_direction_T3_S2_llNS_24const_host_device_scalarIT7_EEPKT2_PKS2_PKT4_S2_PKT5_llS5_PT6_ll16rocsparse_order_21rocsparse_index_base_b
; %bb.0:
	s_clause 0x2
	s_load_b128 s[16:19], s[0:1], 0x80
	s_load_b64 s[6:7], s[0:1], 0x20
	s_load_b64 s[4:5], s[0:1], 0x60
	s_mov_b32 s2, s15
	s_waitcnt lgkmcnt(0)
	s_bitcmp1_b32 s18, 0
	v_dual_mov_b32 v4, s6 :: v_dual_mov_b32 v5, s7
	s_cselect_b32 s3, -1, 0
	s_delay_alu instid0(SALU_CYCLE_1)
	s_and_b32 vcc_lo, exec_lo, s3
	s_xor_b32 s3, s3, -1
	s_cbranch_vccnz .LBB16_2
; %bb.1:
	v_dual_mov_b32 v1, s6 :: v_dual_mov_b32 v2, s7
	flat_load_b64 v[4:5], v[1:2]
.LBB16_2:
	v_dual_mov_b32 v7, s5 :: v_dual_mov_b32 v6, s4
	s_and_not1_b32 vcc_lo, exec_lo, s3
	s_cbranch_vccnz .LBB16_4
; %bb.3:
	v_dual_mov_b32 v1, s4 :: v_dual_mov_b32 v2, s5
	flat_load_b64 v[6:7], v[1:2]
.LBB16_4:
	s_waitcnt vmcnt(0) lgkmcnt(0)
	v_cmp_neq_f64_e32 vcc_lo, 0, v[4:5]
	v_cmp_neq_f64_e64 s3, 1.0, v[6:7]
	s_mov_b64 s[6:7], 0
	s_delay_alu instid0(VALU_DEP_1) | instskip(NEXT) | instid1(SALU_CYCLE_1)
	s_or_b32 s3, vcc_lo, s3
	s_and_saveexec_b32 s4, s3
	s_cbranch_execz .LBB16_60
; %bb.5:
	s_clause 0x1
	s_load_b128 s[8:11], s[0:1], 0x0
	s_load_b64 s[4:5], s[0:1], 0x28
	s_waitcnt lgkmcnt(0)
	s_cmp_lt_i32 s14, s10
	s_cselect_b32 s33, -1, 0
	s_cmp_ge_i32 s14, s10
	s_cbranch_scc1 .LBB16_7
; %bb.6:
	s_ashr_i32 s15, s14, 31
	s_delay_alu instid0(SALU_CYCLE_1) | instskip(NEXT) | instid1(SALU_CYCLE_1)
	s_lshl_b64 s[6:7], s[14:15], 3
	s_add_u32 s6, s4, s6
	s_addc_u32 s7, s5, s7
	s_load_b64 s[6:7], s[6:7], 0x0
	s_waitcnt lgkmcnt(0)
	s_sub_u32 s6, s6, s17
	s_subb_u32 s7, s7, 0
.LBB16_7:
	s_and_not1_b32 vcc_lo, exec_lo, s33
	s_mov_b64 s[18:19], 0
	s_cbranch_vccnz .LBB16_9
; %bb.8:
	s_ashr_i32 s15, s14, 31
	s_delay_alu instid0(SALU_CYCLE_1) | instskip(NEXT) | instid1(SALU_CYCLE_1)
	s_lshl_b64 s[12:13], s[14:15], 3
	s_add_u32 s4, s4, s12
	s_addc_u32 s5, s5, s13
	s_load_b64 s[4:5], s[4:5], 0x8
	s_waitcnt lgkmcnt(0)
	s_sub_u32 s18, s4, s17
	s_subb_u32 s19, s5, 0
.LBB16_9:
	s_clause 0x1
	s_load_b32 s10, s[0:1], 0x40
	s_load_b64 s[12:13], s[0:1], 0x68
	v_bfe_u32 v13, v0, 10, 10
	s_mov_b32 s28, 0
	s_delay_alu instid0(SALU_CYCLE_1) | instskip(SKIP_1) | instid1(VALU_DEP_1)
	s_mov_b32 s29, s28
	s_mov_b32 s30, s28
	v_lshl_add_u32 v10, s2, 4, v13
	v_cmp_ge_i64_e64 s2, s[6:7], s[18:19]
	s_mov_b32 s31, s28
	v_and_b32_e32 v12, 0x3ff, v0
	v_dual_mov_b32 v0, s28 :: v_dual_mov_b32 v1, s29
	v_dual_mov_b32 v3, s31 :: v_dual_add_nc_u32 v8, 8, v10
	v_mov_b32_e32 v2, s30
	s_and_b32 vcc_lo, exec_lo, s2
	v_cmp_gt_i32_e64 s3, s11, v10
	s_delay_alu instid0(VALU_DEP_3)
	v_cmp_gt_i32_e64 s4, s11, v8
	s_waitcnt lgkmcnt(0)
	v_cmp_gt_i32_e64 s2, s10, v12
	s_cbranch_vccnz .LBB16_37
; %bb.10:
	s_clause 0x1
	s_load_b128 s[20:23], s[0:1], 0x30
	s_load_b128 s[24:27], s[0:1], 0x48
	v_mul_lo_u32 v0, v13, s10
	v_dual_mov_b32 v1, 0 :: v_dual_lshlrev_b32 v16, 3, v13
	v_cmp_gt_i32_e32 vcc_lo, s10, v13
	v_lshlrev_b32_e32 v9, 3, v12
	v_ashrrev_i32_e32 v11, 31, v10
	s_delay_alu instid0(VALU_DEP_4)
	v_add_lshl_u32 v22, v16, v12, 3
	v_lshl_add_u32 v26, v12, 6, 0x400
	v_lshlrev_b64 v[2:3], 3, v[0:1]
	v_mul_lo_u32 v0, v12, s10
	s_and_b32 s15, s2, vcc_lo
	v_add_nc_u32_e32 v19, v9, v13
	s_bitcmp1_b32 s8, 0
	s_cselect_b32 s5, -1, 0
	s_cmp_eq_u32 s9, 0
	s_delay_alu instid0(VALU_DEP_2) | instskip(SKIP_4) | instid1(VALU_DEP_3)
	v_lshlrev_b64 v[0:1], 3, v[0:1]
	s_waitcnt lgkmcnt(0)
	v_add_co_u32 v2, vcc_lo, s22, v2
	v_add_co_ci_u32_e32 v3, vcc_lo, s23, v3, vcc_lo
	v_mul_lo_u32 v20, v10, s27
	v_add_co_u32 v2, vcc_lo, v2, v9
	v_ashrrev_i32_e32 v9, 31, v8
	s_delay_alu instid0(VALU_DEP_4)
	v_add_co_ci_u32_e32 v3, vcc_lo, 0, v3, vcc_lo
	v_add_co_u32 v0, vcc_lo, s22, v0
	v_mul_lo_u32 v23, v11, s26
	v_mad_u64_u32 v[14:15], null, v10, s26, 0
	v_mul_lo_u32 v24, v8, s27
	v_mul_lo_u32 v25, v9, s26
	v_mad_u64_u32 v[17:18], null, v8, s26, 0
	v_add_co_ci_u32_e32 v1, vcc_lo, s23, v1, vcc_lo
	v_add_co_u32 v0, vcc_lo, v0, v16
	v_add3_u32 v15, v15, v20, v23
	s_delay_alu instid0(VALU_DEP_3)
	v_add_co_ci_u32_e32 v1, vcc_lo, 0, v1, vcc_lo
	v_add3_u32 v18, v18, v24, v25
	s_cselect_b32 vcc_lo, -1, 0
	v_dual_cndmask_b32 v25, v2, v0 :: v_dual_lshlrev_b32 v24, 6, v13
	s_add_i32 s9, s10, -1
	s_and_b32 s8, s10, 7
	v_cndmask_b32_e32 v23, v3, v1, vcc_lo
	s_cmp_gt_u32 s9, 6
	v_mov_b32_e32 v0, s28
	v_mov_b32_e32 v2, s30
	v_lshl_add_u32 v21, v19, 3, 0x400
	v_lshlrev_b64 v[13:14], 3, v[14:15]
	v_lshlrev_b64 v[15:16], 3, v[10:11]
	v_lshlrev_b64 v[17:18], 3, v[17:18]
	v_lshlrev_b64 v[19:20], 3, v[8:9]
	s_cselect_b32 s9, -1, 0
	s_and_b32 s22, s10, -8
	v_add_nc_u32_e32 v27, 0x200, v24
	v_mov_b32_e32 v1, s29
	v_mov_b32_e32 v3, s31
	s_cmp_lg_u32 s8, 0
	s_mul_i32 s23, s10, s10
	s_cselect_b32 s28, -1, 0
	s_branch .LBB16_13
.LBB16_11:                              ;   in Loop: Header=BB16_13 Depth=1
	s_or_b32 exec_lo, exec_lo, s30
.LBB16_12:                              ;   in Loop: Header=BB16_13 Depth=1
	s_delay_alu instid0(SALU_CYCLE_1) | instskip(SKIP_2) | instid1(SALU_CYCLE_1)
	s_or_b32 exec_lo, exec_lo, s29
	s_add_u32 s6, s6, 1
	s_addc_u32 s7, s7, 0
	v_cmp_ge_i64_e64 s29, s[6:7], s[18:19]
	s_barrier
	buffer_gl0_inv
	s_and_b32 vcc_lo, exec_lo, s29
	s_cbranch_vccnz .LBB16_37
.LBB16_13:                              ; =>This Loop Header: Depth=1
                                        ;     Child Loop BB16_24 Depth 2
                                        ;     Child Loop BB16_28 Depth 2
	;; [unrolled: 1-line block ×4, first 2 shown]
	s_and_saveexec_b32 s29, s2
	s_cbranch_execz .LBB16_18
; %bb.14:                               ;   in Loop: Header=BB16_13 Depth=1
	s_lshl_b64 s[30:31], s[6:7], 2
	s_delay_alu instid0(SALU_CYCLE_1) | instskip(SKIP_4) | instid1(SALU_CYCLE_1)
	s_add_u32 s30, s20, s30
	s_addc_u32 s31, s21, s31
	s_load_b32 s30, s[30:31], 0x0
	s_waitcnt lgkmcnt(0)
	s_sub_i32 s30, s30, s17
	v_mad_u64_u32 v[28:29], null, s30, s10, v[12:13]
	s_delay_alu instid0(VALU_DEP_1) | instskip(SKIP_2) | instid1(VALU_DEP_3)
	v_ashrrev_i32_e32 v29, 31, v28
	v_mul_lo_u32 v9, v28, s27
	v_mad_u64_u32 v[30:31], null, v28, s26, 0
	v_mul_lo_u32 v11, v29, s26
	v_lshlrev_b64 v[28:29], 3, v[28:29]
	s_delay_alu instid0(VALU_DEP_2) | instskip(NEXT) | instid1(VALU_DEP_1)
	v_add3_u32 v31, v31, v9, v11
	v_lshlrev_b64 v[30:31], 3, v[30:31]
	s_delay_alu instid0(VALU_DEP_1) | instskip(NEXT) | instid1(VALU_DEP_2)
	v_add_co_u32 v9, vcc_lo, s24, v30
	v_add_co_ci_u32_e32 v11, vcc_lo, s25, v31, vcc_lo
	v_add_co_u32 v28, vcc_lo, s24, v28
	v_add_co_ci_u32_e32 v29, vcc_lo, s25, v29, vcc_lo
	s_and_saveexec_b32 s30, s3
	s_cbranch_execz .LBB16_16
; %bb.15:                               ;   in Loop: Header=BB16_13 Depth=1
	s_delay_alu instid0(VALU_DEP_2) | instskip(NEXT) | instid1(VALU_DEP_2)
	v_add_co_u32 v30, vcc_lo, v28, v13
	v_add_co_ci_u32_e32 v31, vcc_lo, v29, v14, vcc_lo
	v_add_co_u32 v32, vcc_lo, v9, v15
	v_add_co_ci_u32_e32 v33, vcc_lo, v11, v16, vcc_lo
	s_delay_alu instid0(VALU_DEP_2) | instskip(NEXT) | instid1(VALU_DEP_2)
	v_cndmask_b32_e64 v30, v32, v30, s5
	v_cndmask_b32_e64 v31, v33, v31, s5
	global_load_b64 v[30:31], v[30:31], off
	s_waitcnt vmcnt(0)
	ds_store_b64 v22, v[30:31]
.LBB16_16:                              ;   in Loop: Header=BB16_13 Depth=1
	s_or_b32 exec_lo, exec_lo, s30
	s_delay_alu instid0(SALU_CYCLE_1)
	s_and_b32 exec_lo, exec_lo, s4
	s_cbranch_execz .LBB16_18
; %bb.17:                               ;   in Loop: Header=BB16_13 Depth=1
	v_add_co_u32 v28, vcc_lo, v28, v17
	v_add_co_ci_u32_e32 v29, vcc_lo, v29, v18, vcc_lo
	v_add_co_u32 v9, vcc_lo, v9, v19
	v_add_co_ci_u32_e32 v11, vcc_lo, v11, v20, vcc_lo
	s_delay_alu instid0(VALU_DEP_2) | instskip(NEXT) | instid1(VALU_DEP_2)
	v_cndmask_b32_e64 v28, v9, v28, s5
	v_cndmask_b32_e64 v29, v11, v29, s5
	global_load_b64 v[28:29], v[28:29], off
	s_waitcnt vmcnt(0)
	ds_store_b64 v22, v[28:29] offset:512
.LBB16_18:                              ;   in Loop: Header=BB16_13 Depth=1
	s_or_b32 exec_lo, exec_lo, s29
	s_and_saveexec_b32 s29, s15
	s_cbranch_execz .LBB16_20
; %bb.19:                               ;   in Loop: Header=BB16_13 Depth=1
	s_mul_i32 s31, s7, s23
	s_mul_hi_u32 s34, s6, s23
	s_mul_i32 s30, s6, s23
	s_add_i32 s31, s34, s31
	s_delay_alu instid0(SALU_CYCLE_1) | instskip(NEXT) | instid1(SALU_CYCLE_1)
	s_lshl_b64 s[30:31], s[30:31], 3
	v_add_co_u32 v28, vcc_lo, v25, s30
	v_add_co_ci_u32_e32 v29, vcc_lo, s31, v23, vcc_lo
	global_load_b64 v[28:29], v[28:29], off
	s_waitcnt vmcnt(0)
	ds_store_b64 v21, v[28:29]
.LBB16_20:                              ;   in Loop: Header=BB16_13 Depth=1
	s_or_b32 exec_lo, exec_lo, s29
	s_waitcnt lgkmcnt(0)
	s_barrier
	buffer_gl0_inv
	s_and_saveexec_b32 s29, s2
	s_cbranch_execz .LBB16_12
; %bb.21:                               ;   in Loop: Header=BB16_13 Depth=1
	s_and_saveexec_b32 s30, s3
	s_cbranch_execz .LBB16_29
; %bb.22:                               ;   in Loop: Header=BB16_13 Depth=1
	s_and_not1_b32 vcc_lo, exec_lo, s9
	s_cbranch_vccnz .LBB16_26
; %bb.23:                               ;   in Loop: Header=BB16_13 Depth=1
	v_mov_b32_e32 v9, v26
	v_mov_b32_e32 v11, v24
	s_mov_b32 s31, 0
	s_set_inst_prefetch_distance 0x1
	.p2align	6
.LBB16_24:                              ;   Parent Loop BB16_13 Depth=1
                                        ; =>  This Inner Loop Header: Depth=2
	ds_load_b128 v[28:31], v11
	ds_load_b128 v[32:35], v9
	ds_load_b128 v[36:39], v9 offset:16
	ds_load_b128 v[40:43], v11 offset:16
	s_add_i32 s31, s31, 8
	s_delay_alu instid0(SALU_CYCLE_1) | instskip(SKIP_2) | instid1(VALU_DEP_1)
	s_cmp_lg_u32 s22, s31
	s_waitcnt lgkmcnt(2)
	v_fma_f64 v[0:1], v[32:33], v[28:29], v[0:1]
	v_fma_f64 v[0:1], v[34:35], v[30:31], v[0:1]
	s_waitcnt lgkmcnt(0)
	s_delay_alu instid0(VALU_DEP_1) | instskip(NEXT) | instid1(VALU_DEP_1)
	v_fma_f64 v[0:1], v[36:37], v[40:41], v[0:1]
	v_fma_f64 v[0:1], v[38:39], v[42:43], v[0:1]
	ds_load_b128 v[28:31], v11 offset:32
	ds_load_b128 v[32:35], v9 offset:32
	;; [unrolled: 1-line block ×4, first 2 shown]
	v_add_nc_u32_e32 v11, 64, v11
	v_add_nc_u32_e32 v9, 64, v9
	s_waitcnt lgkmcnt(2)
	v_fma_f64 v[0:1], v[32:33], v[28:29], v[0:1]
	s_delay_alu instid0(VALU_DEP_1) | instskip(SKIP_1) | instid1(VALU_DEP_1)
	v_fma_f64 v[0:1], v[34:35], v[30:31], v[0:1]
	s_waitcnt lgkmcnt(0)
	v_fma_f64 v[0:1], v[36:37], v[40:41], v[0:1]
	s_delay_alu instid0(VALU_DEP_1)
	v_fma_f64 v[0:1], v[38:39], v[42:43], v[0:1]
	s_cbranch_scc1 .LBB16_24
; %bb.25:                               ;   in Loop: Header=BB16_13 Depth=1
	s_set_inst_prefetch_distance 0x2
	s_mov_b32 s31, s22
	s_and_not1_b32 vcc_lo, exec_lo, s28
	s_cbranch_vccz .LBB16_27
	s_branch .LBB16_29
.LBB16_26:                              ;   in Loop: Header=BB16_13 Depth=1
	s_mov_b32 s31, 0
	s_and_not1_b32 vcc_lo, exec_lo, s28
	s_cbranch_vccnz .LBB16_29
.LBB16_27:                              ;   in Loop: Header=BB16_13 Depth=1
	s_lshl_b32 s31, s31, 3
	s_delay_alu instid0(SALU_CYCLE_1)
	v_add_nc_u32_e32 v9, s31, v24
	v_add_nc_u32_e32 v11, s31, v26
	s_mov_b32 s31, s8
.LBB16_28:                              ;   Parent Loop BB16_13 Depth=1
                                        ; =>  This Inner Loop Header: Depth=2
	ds_load_b64 v[28:29], v11
	ds_load_b64 v[30:31], v9
	v_add_nc_u32_e32 v9, 8, v9
	v_add_nc_u32_e32 v11, 8, v11
	s_add_i32 s31, s31, -1
	s_delay_alu instid0(SALU_CYCLE_1)
	s_cmp_lg_u32 s31, 0
	s_waitcnt lgkmcnt(0)
	v_fma_f64 v[0:1], v[28:29], v[30:31], v[0:1]
	s_cbranch_scc1 .LBB16_28
.LBB16_29:                              ;   in Loop: Header=BB16_13 Depth=1
	s_or_b32 exec_lo, exec_lo, s30
	s_and_saveexec_b32 s30, s4
	s_cbranch_execz .LBB16_11
; %bb.30:                               ;   in Loop: Header=BB16_13 Depth=1
	s_and_not1_b32 vcc_lo, exec_lo, s9
	s_cbranch_vccnz .LBB16_34
; %bb.31:                               ;   in Loop: Header=BB16_13 Depth=1
	v_mov_b32_e32 v9, v26
	v_mov_b32_e32 v11, v27
	s_mov_b32 s31, 0
	s_set_inst_prefetch_distance 0x1
	.p2align	6
.LBB16_32:                              ;   Parent Loop BB16_13 Depth=1
                                        ; =>  This Inner Loop Header: Depth=2
	ds_load_b128 v[28:31], v11
	ds_load_b128 v[32:35], v9
	ds_load_b128 v[36:39], v9 offset:16
	ds_load_b128 v[40:43], v11 offset:16
	s_add_i32 s31, s31, 8
	s_delay_alu instid0(SALU_CYCLE_1) | instskip(SKIP_2) | instid1(VALU_DEP_1)
	s_cmp_lg_u32 s22, s31
	s_waitcnt lgkmcnt(2)
	v_fma_f64 v[2:3], v[32:33], v[28:29], v[2:3]
	v_fma_f64 v[2:3], v[34:35], v[30:31], v[2:3]
	s_waitcnt lgkmcnt(0)
	s_delay_alu instid0(VALU_DEP_1) | instskip(NEXT) | instid1(VALU_DEP_1)
	v_fma_f64 v[2:3], v[36:37], v[40:41], v[2:3]
	v_fma_f64 v[2:3], v[38:39], v[42:43], v[2:3]
	ds_load_b128 v[28:31], v11 offset:32
	ds_load_b128 v[32:35], v9 offset:32
	;; [unrolled: 1-line block ×4, first 2 shown]
	v_add_nc_u32_e32 v11, 64, v11
	v_add_nc_u32_e32 v9, 64, v9
	s_waitcnt lgkmcnt(2)
	v_fma_f64 v[2:3], v[32:33], v[28:29], v[2:3]
	s_delay_alu instid0(VALU_DEP_1) | instskip(SKIP_1) | instid1(VALU_DEP_1)
	v_fma_f64 v[2:3], v[34:35], v[30:31], v[2:3]
	s_waitcnt lgkmcnt(0)
	v_fma_f64 v[2:3], v[36:37], v[40:41], v[2:3]
	s_delay_alu instid0(VALU_DEP_1)
	v_fma_f64 v[2:3], v[38:39], v[42:43], v[2:3]
	s_cbranch_scc1 .LBB16_32
; %bb.33:                               ;   in Loop: Header=BB16_13 Depth=1
	s_set_inst_prefetch_distance 0x2
	s_mov_b32 s31, s22
	s_and_not1_b32 vcc_lo, exec_lo, s28
	s_cbranch_vccz .LBB16_35
	s_branch .LBB16_11
.LBB16_34:                              ;   in Loop: Header=BB16_13 Depth=1
	s_mov_b32 s31, 0
	s_and_not1_b32 vcc_lo, exec_lo, s28
	s_cbranch_vccnz .LBB16_11
.LBB16_35:                              ;   in Loop: Header=BB16_13 Depth=1
	s_lshl_b32 s31, s31, 3
	s_delay_alu instid0(SALU_CYCLE_1)
	v_add_nc_u32_e32 v9, s31, v27
	v_add_nc_u32_e32 v11, s31, v26
	s_mov_b32 s31, s8
.LBB16_36:                              ;   Parent Loop BB16_13 Depth=1
                                        ; =>  This Inner Loop Header: Depth=2
	ds_load_b64 v[28:29], v11
	ds_load_b64 v[30:31], v9
	v_add_nc_u32_e32 v9, 8, v9
	v_add_nc_u32_e32 v11, 8, v11
	s_add_i32 s31, s31, -1
	s_delay_alu instid0(SALU_CYCLE_1)
	s_cmp_lg_u32 s31, 0
	s_waitcnt lgkmcnt(0)
	v_fma_f64 v[2:3], v[28:29], v[30:31], v[2:3]
	s_cbranch_scc1 .LBB16_36
	s_branch .LBB16_11
.LBB16_37:
	s_delay_alu instid0(VALU_DEP_1) | instskip(NEXT) | instid1(SALU_CYCLE_1)
	s_and_b32 s2, s33, s2
	s_and_b32 exec_lo, exec_lo, s2
	s_cbranch_execz .LBB16_60
; %bb.38:
	s_load_b64 s[2:3], s[0:1], 0x70
	v_mad_u64_u32 v[13:14], null, s14, s10, v[12:13]
	v_cmp_neq_f64_e64 s0, 0, v[6:7]
	s_cmp_lg_u32 s16, 1
	s_mov_b32 s4, exec_lo
	s_cselect_b32 s1, -1, 0
	s_delay_alu instid0(VALU_DEP_2) | instskip(SKIP_1) | instid1(VALU_DEP_1)
	v_ashrrev_i32_e32 v14, 31, v13
	s_waitcnt lgkmcnt(0)
	v_mul_lo_u32 v9, v14, s2
	v_mul_lo_u32 v15, v13, s3
	v_mad_u64_u32 v[11:12], null, v13, s2, 0
	v_lshlrev_b64 v[13:14], 3, v[13:14]
	s_delay_alu instid0(VALU_DEP_2) | instskip(NEXT) | instid1(VALU_DEP_1)
	v_add3_u32 v12, v12, v15, v9
	v_lshlrev_b64 v[15:16], 3, v[11:12]
	s_delay_alu instid0(VALU_DEP_3) | instskip(NEXT) | instid1(VALU_DEP_4)
	v_add_co_u32 v12, vcc_lo, s12, v13
	v_add_co_ci_u32_e32 v13, vcc_lo, s13, v14, vcc_lo
	s_delay_alu instid0(VALU_DEP_3) | instskip(NEXT) | instid1(VALU_DEP_4)
	v_add_co_u32 v14, vcc_lo, s12, v15
	v_add_co_ci_u32_e32 v15, vcc_lo, s13, v16, vcc_lo
	v_cmpx_gt_i32_e64 s11, v10
	s_cbranch_execz .LBB16_49
; %bb.39:
	s_and_saveexec_b32 s5, s0
	s_delay_alu instid0(SALU_CYCLE_1)
	s_xor_b32 s5, exec_lo, s5
	s_cbranch_execz .LBB16_44
; %bb.40:
	v_ashrrev_i32_e32 v11, 31, v10
	s_and_b32 vcc_lo, exec_lo, s1
	s_mov_b32 s6, -1
	s_cbranch_vccz .LBB16_42
; %bb.41:
	s_delay_alu instid0(VALU_DEP_1) | instskip(SKIP_2) | instid1(VALU_DEP_2)
	v_lshlrev_b64 v[16:17], 3, v[10:11]
	v_mul_f64 v[20:21], v[4:5], v[0:1]
	s_mov_b32 s6, 0
	v_add_co_u32 v16, vcc_lo, v14, v16
	s_delay_alu instid0(VALU_DEP_3)
	v_add_co_ci_u32_e32 v17, vcc_lo, v15, v17, vcc_lo
	global_load_b64 v[18:19], v[16:17], off
	s_waitcnt vmcnt(0)
	v_fma_f64 v[18:19], v[6:7], v[18:19], v[20:21]
	global_store_b64 v[16:17], v[18:19], off
.LBB16_42:
	s_and_not1_b32 vcc_lo, exec_lo, s6
	s_cbranch_vccnz .LBB16_44
; %bb.43:
	v_mul_lo_u32 v9, v11, s2
	v_mul_lo_u32 v11, v10, s3
	v_mad_u64_u32 v[16:17], null, v10, s2, 0
	v_mul_f64 v[18:19], v[4:5], v[0:1]
	s_delay_alu instid0(VALU_DEP_2) | instskip(NEXT) | instid1(VALU_DEP_1)
	v_add3_u32 v17, v17, v11, v9
	v_lshlrev_b64 v[9:10], 3, v[16:17]
	s_delay_alu instid0(VALU_DEP_1) | instskip(NEXT) | instid1(VALU_DEP_2)
	v_add_co_u32 v9, vcc_lo, v12, v9
	v_add_co_ci_u32_e32 v10, vcc_lo, v13, v10, vcc_lo
	global_load_b64 v[16:17], v[9:10], off
	s_waitcnt vmcnt(0)
	v_fma_f64 v[16:17], v[6:7], v[16:17], v[18:19]
	global_store_b64 v[9:10], v[16:17], off
                                        ; implicit-def: $vgpr10
.LBB16_44:
	s_and_not1_saveexec_b32 s5, s5
	s_cbranch_execz .LBB16_49
; %bb.45:
	v_mul_f64 v[0:1], v[4:5], v[0:1]
	v_ashrrev_i32_e32 v11, 31, v10
	s_and_b32 vcc_lo, exec_lo, s1
	s_mov_b32 s5, -1
	s_cbranch_vccz .LBB16_47
; %bb.46:
	s_delay_alu instid0(VALU_DEP_1) | instskip(SKIP_1) | instid1(VALU_DEP_1)
	v_lshlrev_b64 v[16:17], 3, v[10:11]
	s_mov_b32 s5, 0
	v_add_co_u32 v16, vcc_lo, v14, v16
	s_delay_alu instid0(VALU_DEP_2)
	v_add_co_ci_u32_e32 v17, vcc_lo, v15, v17, vcc_lo
	global_store_b64 v[16:17], v[0:1], off
.LBB16_47:
	s_and_not1_b32 vcc_lo, exec_lo, s5
	s_cbranch_vccnz .LBB16_49
; %bb.48:
	v_mul_lo_u32 v9, v11, s2
	v_mul_lo_u32 v11, v10, s3
	v_mad_u64_u32 v[16:17], null, v10, s2, 0
	s_delay_alu instid0(VALU_DEP_1) | instskip(NEXT) | instid1(VALU_DEP_1)
	v_add3_u32 v17, v17, v11, v9
	v_lshlrev_b64 v[9:10], 3, v[16:17]
	s_delay_alu instid0(VALU_DEP_1) | instskip(NEXT) | instid1(VALU_DEP_2)
	v_add_co_u32 v9, vcc_lo, v12, v9
	v_add_co_ci_u32_e32 v10, vcc_lo, v13, v10, vcc_lo
	global_store_b64 v[9:10], v[0:1], off
.LBB16_49:
	s_or_b32 exec_lo, exec_lo, s4
	v_cmp_gt_i32_e32 vcc_lo, s11, v8
	s_and_b32 exec_lo, exec_lo, vcc_lo
	s_cbranch_execz .LBB16_60
; %bb.50:
	s_and_saveexec_b32 s4, s0
	s_delay_alu instid0(SALU_CYCLE_1)
	s_xor_b32 s0, exec_lo, s4
	s_cbranch_execz .LBB16_55
; %bb.51:
	v_ashrrev_i32_e32 v9, 31, v8
	s_and_not1_b32 vcc_lo, exec_lo, s1
	s_mov_b32 s4, -1
	s_cbranch_vccnz .LBB16_53
; %bb.52:
	s_delay_alu instid0(VALU_DEP_1) | instskip(SKIP_1) | instid1(VALU_DEP_1)
	v_lshlrev_b64 v[0:1], 3, v[8:9]
	s_mov_b32 s4, 0
	v_add_co_u32 v0, vcc_lo, v14, v0
	s_delay_alu instid0(VALU_DEP_2)
	v_add_co_ci_u32_e32 v1, vcc_lo, v15, v1, vcc_lo
	v_mul_f64 v[14:15], v[4:5], v[2:3]
	global_load_b64 v[10:11], v[0:1], off
	s_waitcnt vmcnt(0)
	v_fma_f64 v[10:11], v[6:7], v[10:11], v[14:15]
	global_store_b64 v[0:1], v[10:11], off
.LBB16_53:
	s_and_not1_b32 vcc_lo, exec_lo, s4
                                        ; implicit-def: $vgpr14
                                        ; implicit-def: $vgpr15
	s_cbranch_vccnz .LBB16_55
; %bb.54:
	v_mul_lo_u32 v9, v9, s2
	v_mul_lo_u32 v10, v8, s3
	v_mad_u64_u32 v[0:1], null, v8, s2, 0
	v_mul_f64 v[2:3], v[4:5], v[2:3]
                                        ; implicit-def: $vgpr4_vgpr5
                                        ; implicit-def: $vgpr14
                                        ; implicit-def: $vgpr15
	s_delay_alu instid0(VALU_DEP_2) | instskip(NEXT) | instid1(VALU_DEP_1)
	v_add3_u32 v1, v1, v10, v9
	v_lshlrev_b64 v[0:1], 3, v[0:1]
	s_delay_alu instid0(VALU_DEP_1) | instskip(NEXT) | instid1(VALU_DEP_2)
	v_add_co_u32 v0, vcc_lo, v12, v0
	v_add_co_ci_u32_e32 v1, vcc_lo, v13, v1, vcc_lo
                                        ; implicit-def: $vgpr12
                                        ; implicit-def: $vgpr13
	global_load_b64 v[8:9], v[0:1], off
	s_waitcnt vmcnt(0)
	v_fma_f64 v[2:3], v[6:7], v[8:9], v[2:3]
                                        ; implicit-def: $vgpr8
	global_store_b64 v[0:1], v[2:3], off
                                        ; implicit-def: $vgpr0_vgpr1_vgpr2_vgpr3
.LBB16_55:
	s_and_not1_saveexec_b32 s0, s0
	s_cbranch_execz .LBB16_60
; %bb.56:
	v_mul_f64 v[0:1], v[4:5], v[2:3]
	v_ashrrev_i32_e32 v9, 31, v8
	s_and_not1_b32 vcc_lo, exec_lo, s1
	s_mov_b32 s0, -1
	s_cbranch_vccnz .LBB16_58
; %bb.57:
	s_delay_alu instid0(VALU_DEP_1) | instskip(SKIP_1) | instid1(VALU_DEP_1)
	v_lshlrev_b64 v[2:3], 3, v[8:9]
	s_mov_b32 s0, 0
	v_add_co_u32 v2, vcc_lo, v14, v2
	s_delay_alu instid0(VALU_DEP_2)
	v_add_co_ci_u32_e32 v3, vcc_lo, v15, v3, vcc_lo
	global_store_b64 v[2:3], v[0:1], off
.LBB16_58:
	s_and_not1_b32 vcc_lo, exec_lo, s0
	s_cbranch_vccnz .LBB16_60
; %bb.59:
	v_mul_lo_u32 v4, v9, s2
	v_mul_lo_u32 v5, v8, s3
	v_mad_u64_u32 v[2:3], null, v8, s2, 0
	s_delay_alu instid0(VALU_DEP_1) | instskip(NEXT) | instid1(VALU_DEP_1)
	v_add3_u32 v3, v3, v5, v4
	v_lshlrev_b64 v[2:3], 3, v[2:3]
	s_delay_alu instid0(VALU_DEP_1) | instskip(NEXT) | instid1(VALU_DEP_2)
	v_add_co_u32 v2, vcc_lo, v12, v2
	v_add_co_ci_u32_e32 v3, vcc_lo, v13, v3, vcc_lo
	global_store_b64 v[2:3], v[0:1], off
.LBB16_60:
	s_nop 0
	s_sendmsg sendmsg(MSG_DEALLOC_VGPRS)
	s_endpgm
	.section	.rodata,"a",@progbits
	.p2align	6, 0x0
	.amdhsa_kernel _ZN9rocsparseL31bsrmm_large_blockdim_kernel_extILj8ELj8ELj2EliddddEEvb20rocsparse_direction_T3_S2_llNS_24const_host_device_scalarIT7_EEPKT2_PKS2_PKT4_S2_PKT5_llS5_PT6_ll16rocsparse_order_21rocsparse_index_base_b
		.amdhsa_group_segment_fixed_size 1536
		.amdhsa_private_segment_fixed_size 0
		.amdhsa_kernarg_size 140
		.amdhsa_user_sgpr_count 14
		.amdhsa_user_sgpr_dispatch_ptr 0
		.amdhsa_user_sgpr_queue_ptr 0
		.amdhsa_user_sgpr_kernarg_segment_ptr 1
		.amdhsa_user_sgpr_dispatch_id 0
		.amdhsa_user_sgpr_private_segment_size 0
		.amdhsa_wavefront_size32 1
		.amdhsa_uses_dynamic_stack 0
		.amdhsa_enable_private_segment 0
		.amdhsa_system_sgpr_workgroup_id_x 1
		.amdhsa_system_sgpr_workgroup_id_y 1
		.amdhsa_system_sgpr_workgroup_id_z 0
		.amdhsa_system_sgpr_workgroup_info 0
		.amdhsa_system_vgpr_workitem_id 1
		.amdhsa_next_free_vgpr 44
		.amdhsa_next_free_sgpr 35
		.amdhsa_reserve_vcc 1
		.amdhsa_float_round_mode_32 0
		.amdhsa_float_round_mode_16_64 0
		.amdhsa_float_denorm_mode_32 3
		.amdhsa_float_denorm_mode_16_64 3
		.amdhsa_dx10_clamp 1
		.amdhsa_ieee_mode 1
		.amdhsa_fp16_overflow 0
		.amdhsa_workgroup_processor_mode 1
		.amdhsa_memory_ordered 1
		.amdhsa_forward_progress 0
		.amdhsa_shared_vgpr_count 0
		.amdhsa_exception_fp_ieee_invalid_op 0
		.amdhsa_exception_fp_denorm_src 0
		.amdhsa_exception_fp_ieee_div_zero 0
		.amdhsa_exception_fp_ieee_overflow 0
		.amdhsa_exception_fp_ieee_underflow 0
		.amdhsa_exception_fp_ieee_inexact 0
		.amdhsa_exception_int_div_zero 0
	.end_amdhsa_kernel
	.section	.text._ZN9rocsparseL31bsrmm_large_blockdim_kernel_extILj8ELj8ELj2EliddddEEvb20rocsparse_direction_T3_S2_llNS_24const_host_device_scalarIT7_EEPKT2_PKS2_PKT4_S2_PKT5_llS5_PT6_ll16rocsparse_order_21rocsparse_index_base_b,"axG",@progbits,_ZN9rocsparseL31bsrmm_large_blockdim_kernel_extILj8ELj8ELj2EliddddEEvb20rocsparse_direction_T3_S2_llNS_24const_host_device_scalarIT7_EEPKT2_PKS2_PKT4_S2_PKT5_llS5_PT6_ll16rocsparse_order_21rocsparse_index_base_b,comdat
.Lfunc_end16:
	.size	_ZN9rocsparseL31bsrmm_large_blockdim_kernel_extILj8ELj8ELj2EliddddEEvb20rocsparse_direction_T3_S2_llNS_24const_host_device_scalarIT7_EEPKT2_PKS2_PKT4_S2_PKT5_llS5_PT6_ll16rocsparse_order_21rocsparse_index_base_b, .Lfunc_end16-_ZN9rocsparseL31bsrmm_large_blockdim_kernel_extILj8ELj8ELj2EliddddEEvb20rocsparse_direction_T3_S2_llNS_24const_host_device_scalarIT7_EEPKT2_PKS2_PKT4_S2_PKT5_llS5_PT6_ll16rocsparse_order_21rocsparse_index_base_b
                                        ; -- End function
	.section	.AMDGPU.csdata,"",@progbits
; Kernel info:
; codeLenInByte = 2752
; NumSgprs: 37
; NumVgprs: 44
; ScratchSize: 0
; MemoryBound: 0
; FloatMode: 240
; IeeeMode: 1
; LDSByteSize: 1536 bytes/workgroup (compile time only)
; SGPRBlocks: 4
; VGPRBlocks: 5
; NumSGPRsForWavesPerEU: 37
; NumVGPRsForWavesPerEU: 44
; Occupancy: 16
; WaveLimiterHint : 1
; COMPUTE_PGM_RSRC2:SCRATCH_EN: 0
; COMPUTE_PGM_RSRC2:USER_SGPR: 14
; COMPUTE_PGM_RSRC2:TRAP_HANDLER: 0
; COMPUTE_PGM_RSRC2:TGID_X_EN: 1
; COMPUTE_PGM_RSRC2:TGID_Y_EN: 1
; COMPUTE_PGM_RSRC2:TGID_Z_EN: 0
; COMPUTE_PGM_RSRC2:TIDIG_COMP_CNT: 1
	.section	.text._ZN9rocsparseL31bsrmm_large_blockdim_kernel_extILj4ELj16ELj2EliddddEEvb20rocsparse_direction_T3_S2_llNS_24const_host_device_scalarIT7_EEPKT2_PKS2_PKT4_S2_PKT5_llS5_PT6_ll16rocsparse_order_21rocsparse_index_base_b,"axG",@progbits,_ZN9rocsparseL31bsrmm_large_blockdim_kernel_extILj4ELj16ELj2EliddddEEvb20rocsparse_direction_T3_S2_llNS_24const_host_device_scalarIT7_EEPKT2_PKS2_PKT4_S2_PKT5_llS5_PT6_ll16rocsparse_order_21rocsparse_index_base_b,comdat
	.globl	_ZN9rocsparseL31bsrmm_large_blockdim_kernel_extILj4ELj16ELj2EliddddEEvb20rocsparse_direction_T3_S2_llNS_24const_host_device_scalarIT7_EEPKT2_PKS2_PKT4_S2_PKT5_llS5_PT6_ll16rocsparse_order_21rocsparse_index_base_b ; -- Begin function _ZN9rocsparseL31bsrmm_large_blockdim_kernel_extILj4ELj16ELj2EliddddEEvb20rocsparse_direction_T3_S2_llNS_24const_host_device_scalarIT7_EEPKT2_PKS2_PKT4_S2_PKT5_llS5_PT6_ll16rocsparse_order_21rocsparse_index_base_b
	.p2align	8
	.type	_ZN9rocsparseL31bsrmm_large_blockdim_kernel_extILj4ELj16ELj2EliddddEEvb20rocsparse_direction_T3_S2_llNS_24const_host_device_scalarIT7_EEPKT2_PKS2_PKT4_S2_PKT5_llS5_PT6_ll16rocsparse_order_21rocsparse_index_base_b,@function
_ZN9rocsparseL31bsrmm_large_blockdim_kernel_extILj4ELj16ELj2EliddddEEvb20rocsparse_direction_T3_S2_llNS_24const_host_device_scalarIT7_EEPKT2_PKS2_PKT4_S2_PKT5_llS5_PT6_ll16rocsparse_order_21rocsparse_index_base_b: ; @_ZN9rocsparseL31bsrmm_large_blockdim_kernel_extILj4ELj16ELj2EliddddEEvb20rocsparse_direction_T3_S2_llNS_24const_host_device_scalarIT7_EEPKT2_PKS2_PKT4_S2_PKT5_llS5_PT6_ll16rocsparse_order_21rocsparse_index_base_b
; %bb.0:
	s_clause 0x2
	s_load_b128 s[16:19], s[0:1], 0x80
	s_load_b64 s[6:7], s[0:1], 0x20
	s_load_b64 s[4:5], s[0:1], 0x60
	s_mov_b32 s2, s15
	s_waitcnt lgkmcnt(0)
	s_bitcmp1_b32 s18, 0
	v_dual_mov_b32 v4, s6 :: v_dual_mov_b32 v5, s7
	s_cselect_b32 s3, -1, 0
	s_delay_alu instid0(SALU_CYCLE_1)
	s_and_b32 vcc_lo, exec_lo, s3
	s_xor_b32 s3, s3, -1
	s_cbranch_vccnz .LBB17_2
; %bb.1:
	v_dual_mov_b32 v1, s6 :: v_dual_mov_b32 v2, s7
	flat_load_b64 v[4:5], v[1:2]
.LBB17_2:
	v_dual_mov_b32 v7, s5 :: v_dual_mov_b32 v6, s4
	s_and_not1_b32 vcc_lo, exec_lo, s3
	s_cbranch_vccnz .LBB17_4
; %bb.3:
	v_dual_mov_b32 v1, s4 :: v_dual_mov_b32 v2, s5
	flat_load_b64 v[6:7], v[1:2]
.LBB17_4:
	s_waitcnt vmcnt(0) lgkmcnt(0)
	v_cmp_neq_f64_e32 vcc_lo, 0, v[4:5]
	v_cmp_neq_f64_e64 s3, 1.0, v[6:7]
	s_mov_b64 s[6:7], 0
	s_delay_alu instid0(VALU_DEP_1) | instskip(NEXT) | instid1(SALU_CYCLE_1)
	s_or_b32 s3, vcc_lo, s3
	s_and_saveexec_b32 s4, s3
	s_cbranch_execz .LBB17_60
; %bb.5:
	s_clause 0x1
	s_load_b128 s[8:11], s[0:1], 0x0
	s_load_b64 s[4:5], s[0:1], 0x28
	s_waitcnt lgkmcnt(0)
	s_cmp_lt_i32 s14, s10
	s_cselect_b32 s33, -1, 0
	s_cmp_ge_i32 s14, s10
	s_cbranch_scc1 .LBB17_7
; %bb.6:
	s_ashr_i32 s15, s14, 31
	s_delay_alu instid0(SALU_CYCLE_1) | instskip(NEXT) | instid1(SALU_CYCLE_1)
	s_lshl_b64 s[6:7], s[14:15], 3
	s_add_u32 s6, s4, s6
	s_addc_u32 s7, s5, s7
	s_load_b64 s[6:7], s[6:7], 0x0
	s_waitcnt lgkmcnt(0)
	s_sub_u32 s6, s6, s17
	s_subb_u32 s7, s7, 0
.LBB17_7:
	s_and_not1_b32 vcc_lo, exec_lo, s33
	s_mov_b64 s[18:19], 0
	s_cbranch_vccnz .LBB17_9
; %bb.8:
	s_ashr_i32 s15, s14, 31
	s_delay_alu instid0(SALU_CYCLE_1) | instskip(NEXT) | instid1(SALU_CYCLE_1)
	s_lshl_b64 s[12:13], s[14:15], 3
	s_add_u32 s4, s4, s12
	s_addc_u32 s5, s5, s13
	s_load_b64 s[4:5], s[4:5], 0x8
	s_waitcnt lgkmcnt(0)
	s_sub_u32 s18, s4, s17
	s_subb_u32 s19, s5, 0
.LBB17_9:
	s_clause 0x1
	s_load_b32 s10, s[0:1], 0x40
	s_load_b64 s[12:13], s[0:1], 0x68
	v_bfe_u32 v13, v0, 10, 10
	s_mov_b32 s28, 0
	s_delay_alu instid0(SALU_CYCLE_1) | instskip(SKIP_1) | instid1(VALU_DEP_1)
	s_mov_b32 s29, s28
	s_mov_b32 s30, s28
	v_lshl_add_u32 v10, s2, 5, v13
	v_cmp_ge_i64_e64 s2, s[6:7], s[18:19]
	s_mov_b32 s31, s28
	v_and_b32_e32 v12, 0x3ff, v0
	v_dual_mov_b32 v0, s28 :: v_dual_mov_b32 v1, s29
	v_dual_mov_b32 v3, s31 :: v_dual_add_nc_u32 v8, 16, v10
	v_mov_b32_e32 v2, s30
	s_and_b32 vcc_lo, exec_lo, s2
	v_cmp_gt_i32_e64 s3, s11, v10
	s_delay_alu instid0(VALU_DEP_3)
	v_cmp_gt_i32_e64 s4, s11, v8
	s_waitcnt lgkmcnt(0)
	v_cmp_gt_i32_e64 s2, s10, v12
	s_cbranch_vccnz .LBB17_37
; %bb.10:
	s_clause 0x1
	s_load_b128 s[20:23], s[0:1], 0x30
	s_load_b128 s[24:27], s[0:1], 0x48
	v_mul_lo_u32 v0, v13, s10
	v_dual_mov_b32 v1, 0 :: v_dual_lshlrev_b32 v16, 2, v13
	v_cmp_gt_i32_e32 vcc_lo, s10, v13
	v_lshlrev_b32_e32 v9, 3, v12
	v_ashrrev_i32_e32 v11, 31, v10
	v_lshl_add_u32 v19, v12, 2, v13
	v_add_lshl_u32 v22, v16, v12, 3
	v_lshlrev_b64 v[2:3], 3, v[0:1]
	v_mul_lo_u32 v0, v12, s10
	s_and_b32 s15, s2, vcc_lo
	s_bitcmp1_b32 s8, 0
	v_lshl_add_u32 v21, v19, 3, 0x400
	s_cselect_b32 s5, -1, 0
	s_cmp_eq_u32 s9, 0
	s_delay_alu instid0(VALU_DEP_2) | instskip(SKIP_4) | instid1(VALU_DEP_3)
	v_lshlrev_b64 v[0:1], 3, v[0:1]
	s_waitcnt lgkmcnt(0)
	v_add_co_u32 v2, vcc_lo, s22, v2
	v_add_co_ci_u32_e32 v3, vcc_lo, s23, v3, vcc_lo
	v_mul_lo_u32 v23, v10, s27
	v_add_co_u32 v2, vcc_lo, v2, v9
	v_ashrrev_i32_e32 v9, 31, v8
	s_delay_alu instid0(VALU_DEP_4)
	v_add_co_ci_u32_e32 v3, vcc_lo, 0, v3, vcc_lo
	v_mul_lo_u32 v24, v11, s26
	v_mad_u64_u32 v[14:15], null, v10, s26, 0
	v_mul_lo_u32 v25, v8, s27
	v_mul_lo_u32 v26, v9, s26
	v_mad_u64_u32 v[17:18], null, v8, s26, 0
	v_add_co_u32 v0, vcc_lo, s22, v0
	v_lshlrev_b32_e32 v20, 3, v13
	v_add_co_ci_u32_e32 v1, vcc_lo, s23, v1, vcc_lo
	v_add3_u32 v15, v15, v23, v24
	v_add3_u32 v18, v18, v25, v26
	s_delay_alu instid0(VALU_DEP_4) | instskip(NEXT) | instid1(VALU_DEP_4)
	v_add_co_u32 v0, vcc_lo, v0, v20
	v_add_co_ci_u32_e32 v1, vcc_lo, 0, v1, vcc_lo
	v_lshlrev_b32_e32 v24, 5, v13
	s_cselect_b32 vcc_lo, -1, 0
	s_add_i32 s9, s10, -1
	s_and_b32 s8, s10, 7
	s_cmp_gt_u32 s9, 6
	v_cndmask_b32_e32 v23, v3, v1, vcc_lo
	v_dual_cndmask_b32 v25, v2, v0 :: v_dual_mov_b32 v0, s28
	v_mov_b32_e32 v2, s30
	v_lshlrev_b64 v[13:14], 3, v[14:15]
	v_lshlrev_b64 v[15:16], 3, v[10:11]
	;; [unrolled: 1-line block ×4, first 2 shown]
	s_cselect_b32 s9, -1, 0
	s_and_b32 s22, s10, -8
	v_lshl_add_u32 v26, v12, 5, 0x400
	v_mov_b32_e32 v1, s29
	v_add_nc_u32_e32 v27, 0x200, v24
	v_mov_b32_e32 v3, s31
	s_cmp_lg_u32 s8, 0
	s_mul_i32 s23, s10, s10
	s_cselect_b32 s28, -1, 0
	s_branch .LBB17_13
.LBB17_11:                              ;   in Loop: Header=BB17_13 Depth=1
	s_or_b32 exec_lo, exec_lo, s30
.LBB17_12:                              ;   in Loop: Header=BB17_13 Depth=1
	s_delay_alu instid0(SALU_CYCLE_1) | instskip(SKIP_2) | instid1(SALU_CYCLE_1)
	s_or_b32 exec_lo, exec_lo, s29
	s_add_u32 s6, s6, 1
	s_addc_u32 s7, s7, 0
	v_cmp_ge_i64_e64 s29, s[6:7], s[18:19]
	s_barrier
	buffer_gl0_inv
	s_and_b32 vcc_lo, exec_lo, s29
	s_cbranch_vccnz .LBB17_37
.LBB17_13:                              ; =>This Loop Header: Depth=1
                                        ;     Child Loop BB17_24 Depth 2
                                        ;     Child Loop BB17_28 Depth 2
	;; [unrolled: 1-line block ×4, first 2 shown]
	s_and_saveexec_b32 s29, s2
	s_cbranch_execz .LBB17_18
; %bb.14:                               ;   in Loop: Header=BB17_13 Depth=1
	s_lshl_b64 s[30:31], s[6:7], 2
	s_delay_alu instid0(SALU_CYCLE_1) | instskip(SKIP_4) | instid1(SALU_CYCLE_1)
	s_add_u32 s30, s20, s30
	s_addc_u32 s31, s21, s31
	s_load_b32 s30, s[30:31], 0x0
	s_waitcnt lgkmcnt(0)
	s_sub_i32 s30, s30, s17
	v_mad_u64_u32 v[28:29], null, s30, s10, v[12:13]
	s_delay_alu instid0(VALU_DEP_1) | instskip(SKIP_2) | instid1(VALU_DEP_3)
	v_ashrrev_i32_e32 v29, 31, v28
	v_mul_lo_u32 v9, v28, s27
	v_mad_u64_u32 v[30:31], null, v28, s26, 0
	v_mul_lo_u32 v11, v29, s26
	v_lshlrev_b64 v[28:29], 3, v[28:29]
	s_delay_alu instid0(VALU_DEP_2) | instskip(NEXT) | instid1(VALU_DEP_1)
	v_add3_u32 v31, v31, v9, v11
	v_lshlrev_b64 v[30:31], 3, v[30:31]
	s_delay_alu instid0(VALU_DEP_1) | instskip(NEXT) | instid1(VALU_DEP_2)
	v_add_co_u32 v9, vcc_lo, s24, v30
	v_add_co_ci_u32_e32 v11, vcc_lo, s25, v31, vcc_lo
	v_add_co_u32 v28, vcc_lo, s24, v28
	v_add_co_ci_u32_e32 v29, vcc_lo, s25, v29, vcc_lo
	s_and_saveexec_b32 s30, s3
	s_cbranch_execz .LBB17_16
; %bb.15:                               ;   in Loop: Header=BB17_13 Depth=1
	s_delay_alu instid0(VALU_DEP_2) | instskip(NEXT) | instid1(VALU_DEP_2)
	v_add_co_u32 v30, vcc_lo, v28, v13
	v_add_co_ci_u32_e32 v31, vcc_lo, v29, v14, vcc_lo
	v_add_co_u32 v32, vcc_lo, v9, v15
	v_add_co_ci_u32_e32 v33, vcc_lo, v11, v16, vcc_lo
	s_delay_alu instid0(VALU_DEP_2) | instskip(NEXT) | instid1(VALU_DEP_2)
	v_cndmask_b32_e64 v30, v32, v30, s5
	v_cndmask_b32_e64 v31, v33, v31, s5
	global_load_b64 v[30:31], v[30:31], off
	s_waitcnt vmcnt(0)
	ds_store_b64 v22, v[30:31]
.LBB17_16:                              ;   in Loop: Header=BB17_13 Depth=1
	s_or_b32 exec_lo, exec_lo, s30
	s_delay_alu instid0(SALU_CYCLE_1)
	s_and_b32 exec_lo, exec_lo, s4
	s_cbranch_execz .LBB17_18
; %bb.17:                               ;   in Loop: Header=BB17_13 Depth=1
	v_add_co_u32 v28, vcc_lo, v28, v17
	v_add_co_ci_u32_e32 v29, vcc_lo, v29, v18, vcc_lo
	v_add_co_u32 v9, vcc_lo, v9, v19
	v_add_co_ci_u32_e32 v11, vcc_lo, v11, v20, vcc_lo
	s_delay_alu instid0(VALU_DEP_2) | instskip(NEXT) | instid1(VALU_DEP_2)
	v_cndmask_b32_e64 v28, v9, v28, s5
	v_cndmask_b32_e64 v29, v11, v29, s5
	global_load_b64 v[28:29], v[28:29], off
	s_waitcnt vmcnt(0)
	ds_store_b64 v22, v[28:29] offset:512
.LBB17_18:                              ;   in Loop: Header=BB17_13 Depth=1
	s_or_b32 exec_lo, exec_lo, s29
	s_and_saveexec_b32 s29, s15
	s_cbranch_execz .LBB17_20
; %bb.19:                               ;   in Loop: Header=BB17_13 Depth=1
	s_mul_i32 s31, s7, s23
	s_mul_hi_u32 s34, s6, s23
	s_mul_i32 s30, s6, s23
	s_add_i32 s31, s34, s31
	s_delay_alu instid0(SALU_CYCLE_1) | instskip(NEXT) | instid1(SALU_CYCLE_1)
	s_lshl_b64 s[30:31], s[30:31], 3
	v_add_co_u32 v28, vcc_lo, v25, s30
	v_add_co_ci_u32_e32 v29, vcc_lo, s31, v23, vcc_lo
	global_load_b64 v[28:29], v[28:29], off
	s_waitcnt vmcnt(0)
	ds_store_b64 v21, v[28:29]
.LBB17_20:                              ;   in Loop: Header=BB17_13 Depth=1
	s_or_b32 exec_lo, exec_lo, s29
	s_waitcnt lgkmcnt(0)
	s_barrier
	buffer_gl0_inv
	s_and_saveexec_b32 s29, s2
	s_cbranch_execz .LBB17_12
; %bb.21:                               ;   in Loop: Header=BB17_13 Depth=1
	s_and_saveexec_b32 s30, s3
	s_cbranch_execz .LBB17_29
; %bb.22:                               ;   in Loop: Header=BB17_13 Depth=1
	s_and_not1_b32 vcc_lo, exec_lo, s9
	s_cbranch_vccnz .LBB17_26
; %bb.23:                               ;   in Loop: Header=BB17_13 Depth=1
	v_mov_b32_e32 v9, v26
	v_mov_b32_e32 v11, v24
	s_mov_b32 s31, 0
	s_set_inst_prefetch_distance 0x1
	.p2align	6
.LBB17_24:                              ;   Parent Loop BB17_13 Depth=1
                                        ; =>  This Inner Loop Header: Depth=2
	ds_load_b128 v[28:31], v11
	ds_load_b128 v[32:35], v9
	ds_load_b128 v[36:39], v9 offset:16
	ds_load_b128 v[40:43], v11 offset:16
	s_add_i32 s31, s31, 8
	s_delay_alu instid0(SALU_CYCLE_1) | instskip(SKIP_2) | instid1(VALU_DEP_1)
	s_cmp_lg_u32 s22, s31
	s_waitcnt lgkmcnt(2)
	v_fma_f64 v[0:1], v[32:33], v[28:29], v[0:1]
	v_fma_f64 v[0:1], v[34:35], v[30:31], v[0:1]
	s_waitcnt lgkmcnt(0)
	s_delay_alu instid0(VALU_DEP_1) | instskip(NEXT) | instid1(VALU_DEP_1)
	v_fma_f64 v[0:1], v[36:37], v[40:41], v[0:1]
	v_fma_f64 v[0:1], v[38:39], v[42:43], v[0:1]
	ds_load_b128 v[28:31], v11 offset:32
	ds_load_b128 v[32:35], v9 offset:32
	;; [unrolled: 1-line block ×4, first 2 shown]
	v_add_nc_u32_e32 v11, 64, v11
	v_add_nc_u32_e32 v9, 64, v9
	s_waitcnt lgkmcnt(2)
	v_fma_f64 v[0:1], v[32:33], v[28:29], v[0:1]
	s_delay_alu instid0(VALU_DEP_1) | instskip(SKIP_1) | instid1(VALU_DEP_1)
	v_fma_f64 v[0:1], v[34:35], v[30:31], v[0:1]
	s_waitcnt lgkmcnt(0)
	v_fma_f64 v[0:1], v[36:37], v[40:41], v[0:1]
	s_delay_alu instid0(VALU_DEP_1)
	v_fma_f64 v[0:1], v[38:39], v[42:43], v[0:1]
	s_cbranch_scc1 .LBB17_24
; %bb.25:                               ;   in Loop: Header=BB17_13 Depth=1
	s_set_inst_prefetch_distance 0x2
	s_mov_b32 s31, s22
	s_and_not1_b32 vcc_lo, exec_lo, s28
	s_cbranch_vccz .LBB17_27
	s_branch .LBB17_29
.LBB17_26:                              ;   in Loop: Header=BB17_13 Depth=1
	s_mov_b32 s31, 0
	s_and_not1_b32 vcc_lo, exec_lo, s28
	s_cbranch_vccnz .LBB17_29
.LBB17_27:                              ;   in Loop: Header=BB17_13 Depth=1
	s_lshl_b32 s31, s31, 3
	s_delay_alu instid0(SALU_CYCLE_1)
	v_add_nc_u32_e32 v9, s31, v24
	v_add_nc_u32_e32 v11, s31, v26
	s_mov_b32 s31, s8
.LBB17_28:                              ;   Parent Loop BB17_13 Depth=1
                                        ; =>  This Inner Loop Header: Depth=2
	ds_load_b64 v[28:29], v11
	ds_load_b64 v[30:31], v9
	v_add_nc_u32_e32 v9, 8, v9
	v_add_nc_u32_e32 v11, 8, v11
	s_add_i32 s31, s31, -1
	s_delay_alu instid0(SALU_CYCLE_1)
	s_cmp_lg_u32 s31, 0
	s_waitcnt lgkmcnt(0)
	v_fma_f64 v[0:1], v[28:29], v[30:31], v[0:1]
	s_cbranch_scc1 .LBB17_28
.LBB17_29:                              ;   in Loop: Header=BB17_13 Depth=1
	s_or_b32 exec_lo, exec_lo, s30
	s_and_saveexec_b32 s30, s4
	s_cbranch_execz .LBB17_11
; %bb.30:                               ;   in Loop: Header=BB17_13 Depth=1
	s_and_not1_b32 vcc_lo, exec_lo, s9
	s_cbranch_vccnz .LBB17_34
; %bb.31:                               ;   in Loop: Header=BB17_13 Depth=1
	v_mov_b32_e32 v9, v26
	v_mov_b32_e32 v11, v27
	s_mov_b32 s31, 0
	s_set_inst_prefetch_distance 0x1
	.p2align	6
.LBB17_32:                              ;   Parent Loop BB17_13 Depth=1
                                        ; =>  This Inner Loop Header: Depth=2
	ds_load_b128 v[28:31], v11
	ds_load_b128 v[32:35], v9
	ds_load_b128 v[36:39], v9 offset:16
	ds_load_b128 v[40:43], v11 offset:16
	s_add_i32 s31, s31, 8
	s_delay_alu instid0(SALU_CYCLE_1) | instskip(SKIP_2) | instid1(VALU_DEP_1)
	s_cmp_lg_u32 s22, s31
	s_waitcnt lgkmcnt(2)
	v_fma_f64 v[2:3], v[32:33], v[28:29], v[2:3]
	v_fma_f64 v[2:3], v[34:35], v[30:31], v[2:3]
	s_waitcnt lgkmcnt(0)
	s_delay_alu instid0(VALU_DEP_1) | instskip(NEXT) | instid1(VALU_DEP_1)
	v_fma_f64 v[2:3], v[36:37], v[40:41], v[2:3]
	v_fma_f64 v[2:3], v[38:39], v[42:43], v[2:3]
	ds_load_b128 v[28:31], v11 offset:32
	ds_load_b128 v[32:35], v9 offset:32
	;; [unrolled: 1-line block ×4, first 2 shown]
	v_add_nc_u32_e32 v11, 64, v11
	v_add_nc_u32_e32 v9, 64, v9
	s_waitcnt lgkmcnt(2)
	v_fma_f64 v[2:3], v[32:33], v[28:29], v[2:3]
	s_delay_alu instid0(VALU_DEP_1) | instskip(SKIP_1) | instid1(VALU_DEP_1)
	v_fma_f64 v[2:3], v[34:35], v[30:31], v[2:3]
	s_waitcnt lgkmcnt(0)
	v_fma_f64 v[2:3], v[36:37], v[40:41], v[2:3]
	s_delay_alu instid0(VALU_DEP_1)
	v_fma_f64 v[2:3], v[38:39], v[42:43], v[2:3]
	s_cbranch_scc1 .LBB17_32
; %bb.33:                               ;   in Loop: Header=BB17_13 Depth=1
	s_set_inst_prefetch_distance 0x2
	s_mov_b32 s31, s22
	s_and_not1_b32 vcc_lo, exec_lo, s28
	s_cbranch_vccz .LBB17_35
	s_branch .LBB17_11
.LBB17_34:                              ;   in Loop: Header=BB17_13 Depth=1
	s_mov_b32 s31, 0
	s_and_not1_b32 vcc_lo, exec_lo, s28
	s_cbranch_vccnz .LBB17_11
.LBB17_35:                              ;   in Loop: Header=BB17_13 Depth=1
	s_lshl_b32 s31, s31, 3
	s_delay_alu instid0(SALU_CYCLE_1)
	v_add_nc_u32_e32 v9, s31, v27
	v_add_nc_u32_e32 v11, s31, v26
	s_mov_b32 s31, s8
.LBB17_36:                              ;   Parent Loop BB17_13 Depth=1
                                        ; =>  This Inner Loop Header: Depth=2
	ds_load_b64 v[28:29], v11
	ds_load_b64 v[30:31], v9
	v_add_nc_u32_e32 v9, 8, v9
	v_add_nc_u32_e32 v11, 8, v11
	s_add_i32 s31, s31, -1
	s_delay_alu instid0(SALU_CYCLE_1)
	s_cmp_lg_u32 s31, 0
	s_waitcnt lgkmcnt(0)
	v_fma_f64 v[2:3], v[28:29], v[30:31], v[2:3]
	s_cbranch_scc1 .LBB17_36
	s_branch .LBB17_11
.LBB17_37:
	s_delay_alu instid0(VALU_DEP_1) | instskip(NEXT) | instid1(SALU_CYCLE_1)
	s_and_b32 s2, s33, s2
	s_and_b32 exec_lo, exec_lo, s2
	s_cbranch_execz .LBB17_60
; %bb.38:
	s_load_b64 s[2:3], s[0:1], 0x70
	v_mad_u64_u32 v[13:14], null, s14, s10, v[12:13]
	v_cmp_neq_f64_e64 s0, 0, v[6:7]
	s_cmp_lg_u32 s16, 1
	s_mov_b32 s4, exec_lo
	s_cselect_b32 s1, -1, 0
	s_delay_alu instid0(VALU_DEP_2) | instskip(SKIP_1) | instid1(VALU_DEP_1)
	v_ashrrev_i32_e32 v14, 31, v13
	s_waitcnt lgkmcnt(0)
	v_mul_lo_u32 v9, v14, s2
	v_mul_lo_u32 v15, v13, s3
	v_mad_u64_u32 v[11:12], null, v13, s2, 0
	v_lshlrev_b64 v[13:14], 3, v[13:14]
	s_delay_alu instid0(VALU_DEP_2) | instskip(NEXT) | instid1(VALU_DEP_1)
	v_add3_u32 v12, v12, v15, v9
	v_lshlrev_b64 v[15:16], 3, v[11:12]
	s_delay_alu instid0(VALU_DEP_3) | instskip(NEXT) | instid1(VALU_DEP_4)
	v_add_co_u32 v12, vcc_lo, s12, v13
	v_add_co_ci_u32_e32 v13, vcc_lo, s13, v14, vcc_lo
	s_delay_alu instid0(VALU_DEP_3) | instskip(NEXT) | instid1(VALU_DEP_4)
	v_add_co_u32 v14, vcc_lo, s12, v15
	v_add_co_ci_u32_e32 v15, vcc_lo, s13, v16, vcc_lo
	v_cmpx_gt_i32_e64 s11, v10
	s_cbranch_execz .LBB17_49
; %bb.39:
	s_and_saveexec_b32 s5, s0
	s_delay_alu instid0(SALU_CYCLE_1)
	s_xor_b32 s5, exec_lo, s5
	s_cbranch_execz .LBB17_44
; %bb.40:
	v_ashrrev_i32_e32 v11, 31, v10
	s_and_b32 vcc_lo, exec_lo, s1
	s_mov_b32 s6, -1
	s_cbranch_vccz .LBB17_42
; %bb.41:
	s_delay_alu instid0(VALU_DEP_1) | instskip(SKIP_2) | instid1(VALU_DEP_2)
	v_lshlrev_b64 v[16:17], 3, v[10:11]
	v_mul_f64 v[20:21], v[4:5], v[0:1]
	s_mov_b32 s6, 0
	v_add_co_u32 v16, vcc_lo, v14, v16
	s_delay_alu instid0(VALU_DEP_3)
	v_add_co_ci_u32_e32 v17, vcc_lo, v15, v17, vcc_lo
	global_load_b64 v[18:19], v[16:17], off
	s_waitcnt vmcnt(0)
	v_fma_f64 v[18:19], v[6:7], v[18:19], v[20:21]
	global_store_b64 v[16:17], v[18:19], off
.LBB17_42:
	s_and_not1_b32 vcc_lo, exec_lo, s6
	s_cbranch_vccnz .LBB17_44
; %bb.43:
	v_mul_lo_u32 v9, v11, s2
	v_mul_lo_u32 v11, v10, s3
	v_mad_u64_u32 v[16:17], null, v10, s2, 0
	v_mul_f64 v[18:19], v[4:5], v[0:1]
	s_delay_alu instid0(VALU_DEP_2) | instskip(NEXT) | instid1(VALU_DEP_1)
	v_add3_u32 v17, v17, v11, v9
	v_lshlrev_b64 v[9:10], 3, v[16:17]
	s_delay_alu instid0(VALU_DEP_1) | instskip(NEXT) | instid1(VALU_DEP_2)
	v_add_co_u32 v9, vcc_lo, v12, v9
	v_add_co_ci_u32_e32 v10, vcc_lo, v13, v10, vcc_lo
	global_load_b64 v[16:17], v[9:10], off
	s_waitcnt vmcnt(0)
	v_fma_f64 v[16:17], v[6:7], v[16:17], v[18:19]
	global_store_b64 v[9:10], v[16:17], off
                                        ; implicit-def: $vgpr10
.LBB17_44:
	s_and_not1_saveexec_b32 s5, s5
	s_cbranch_execz .LBB17_49
; %bb.45:
	v_mul_f64 v[0:1], v[4:5], v[0:1]
	v_ashrrev_i32_e32 v11, 31, v10
	s_and_b32 vcc_lo, exec_lo, s1
	s_mov_b32 s5, -1
	s_cbranch_vccz .LBB17_47
; %bb.46:
	s_delay_alu instid0(VALU_DEP_1) | instskip(SKIP_1) | instid1(VALU_DEP_1)
	v_lshlrev_b64 v[16:17], 3, v[10:11]
	s_mov_b32 s5, 0
	v_add_co_u32 v16, vcc_lo, v14, v16
	s_delay_alu instid0(VALU_DEP_2)
	v_add_co_ci_u32_e32 v17, vcc_lo, v15, v17, vcc_lo
	global_store_b64 v[16:17], v[0:1], off
.LBB17_47:
	s_and_not1_b32 vcc_lo, exec_lo, s5
	s_cbranch_vccnz .LBB17_49
; %bb.48:
	v_mul_lo_u32 v9, v11, s2
	v_mul_lo_u32 v11, v10, s3
	v_mad_u64_u32 v[16:17], null, v10, s2, 0
	s_delay_alu instid0(VALU_DEP_1) | instskip(NEXT) | instid1(VALU_DEP_1)
	v_add3_u32 v17, v17, v11, v9
	v_lshlrev_b64 v[9:10], 3, v[16:17]
	s_delay_alu instid0(VALU_DEP_1) | instskip(NEXT) | instid1(VALU_DEP_2)
	v_add_co_u32 v9, vcc_lo, v12, v9
	v_add_co_ci_u32_e32 v10, vcc_lo, v13, v10, vcc_lo
	global_store_b64 v[9:10], v[0:1], off
.LBB17_49:
	s_or_b32 exec_lo, exec_lo, s4
	v_cmp_gt_i32_e32 vcc_lo, s11, v8
	s_and_b32 exec_lo, exec_lo, vcc_lo
	s_cbranch_execz .LBB17_60
; %bb.50:
	s_and_saveexec_b32 s4, s0
	s_delay_alu instid0(SALU_CYCLE_1)
	s_xor_b32 s0, exec_lo, s4
	s_cbranch_execz .LBB17_55
; %bb.51:
	v_ashrrev_i32_e32 v9, 31, v8
	s_and_not1_b32 vcc_lo, exec_lo, s1
	s_mov_b32 s4, -1
	s_cbranch_vccnz .LBB17_53
; %bb.52:
	s_delay_alu instid0(VALU_DEP_1) | instskip(SKIP_1) | instid1(VALU_DEP_1)
	v_lshlrev_b64 v[0:1], 3, v[8:9]
	s_mov_b32 s4, 0
	v_add_co_u32 v0, vcc_lo, v14, v0
	s_delay_alu instid0(VALU_DEP_2)
	v_add_co_ci_u32_e32 v1, vcc_lo, v15, v1, vcc_lo
	v_mul_f64 v[14:15], v[4:5], v[2:3]
	global_load_b64 v[10:11], v[0:1], off
	s_waitcnt vmcnt(0)
	v_fma_f64 v[10:11], v[6:7], v[10:11], v[14:15]
	global_store_b64 v[0:1], v[10:11], off
.LBB17_53:
	s_and_not1_b32 vcc_lo, exec_lo, s4
                                        ; implicit-def: $vgpr14
                                        ; implicit-def: $vgpr15
	s_cbranch_vccnz .LBB17_55
; %bb.54:
	v_mul_lo_u32 v9, v9, s2
	v_mul_lo_u32 v10, v8, s3
	v_mad_u64_u32 v[0:1], null, v8, s2, 0
	v_mul_f64 v[2:3], v[4:5], v[2:3]
                                        ; implicit-def: $vgpr4_vgpr5
                                        ; implicit-def: $vgpr14
                                        ; implicit-def: $vgpr15
	s_delay_alu instid0(VALU_DEP_2) | instskip(NEXT) | instid1(VALU_DEP_1)
	v_add3_u32 v1, v1, v10, v9
	v_lshlrev_b64 v[0:1], 3, v[0:1]
	s_delay_alu instid0(VALU_DEP_1) | instskip(NEXT) | instid1(VALU_DEP_2)
	v_add_co_u32 v0, vcc_lo, v12, v0
	v_add_co_ci_u32_e32 v1, vcc_lo, v13, v1, vcc_lo
                                        ; implicit-def: $vgpr12
                                        ; implicit-def: $vgpr13
	global_load_b64 v[8:9], v[0:1], off
	s_waitcnt vmcnt(0)
	v_fma_f64 v[2:3], v[6:7], v[8:9], v[2:3]
                                        ; implicit-def: $vgpr8
	global_store_b64 v[0:1], v[2:3], off
                                        ; implicit-def: $vgpr0_vgpr1_vgpr2_vgpr3
.LBB17_55:
	s_and_not1_saveexec_b32 s0, s0
	s_cbranch_execz .LBB17_60
; %bb.56:
	v_mul_f64 v[0:1], v[4:5], v[2:3]
	v_ashrrev_i32_e32 v9, 31, v8
	s_and_not1_b32 vcc_lo, exec_lo, s1
	s_mov_b32 s0, -1
	s_cbranch_vccnz .LBB17_58
; %bb.57:
	s_delay_alu instid0(VALU_DEP_1) | instskip(SKIP_1) | instid1(VALU_DEP_1)
	v_lshlrev_b64 v[2:3], 3, v[8:9]
	s_mov_b32 s0, 0
	v_add_co_u32 v2, vcc_lo, v14, v2
	s_delay_alu instid0(VALU_DEP_2)
	v_add_co_ci_u32_e32 v3, vcc_lo, v15, v3, vcc_lo
	global_store_b64 v[2:3], v[0:1], off
.LBB17_58:
	s_and_not1_b32 vcc_lo, exec_lo, s0
	s_cbranch_vccnz .LBB17_60
; %bb.59:
	v_mul_lo_u32 v4, v9, s2
	v_mul_lo_u32 v5, v8, s3
	v_mad_u64_u32 v[2:3], null, v8, s2, 0
	s_delay_alu instid0(VALU_DEP_1) | instskip(NEXT) | instid1(VALU_DEP_1)
	v_add3_u32 v3, v3, v5, v4
	v_lshlrev_b64 v[2:3], 3, v[2:3]
	s_delay_alu instid0(VALU_DEP_1) | instskip(NEXT) | instid1(VALU_DEP_2)
	v_add_co_u32 v2, vcc_lo, v12, v2
	v_add_co_ci_u32_e32 v3, vcc_lo, v13, v3, vcc_lo
	global_store_b64 v[2:3], v[0:1], off
.LBB17_60:
	s_nop 0
	s_sendmsg sendmsg(MSG_DEALLOC_VGPRS)
	s_endpgm
	.section	.rodata,"a",@progbits
	.p2align	6, 0x0
	.amdhsa_kernel _ZN9rocsparseL31bsrmm_large_blockdim_kernel_extILj4ELj16ELj2EliddddEEvb20rocsparse_direction_T3_S2_llNS_24const_host_device_scalarIT7_EEPKT2_PKS2_PKT4_S2_PKT5_llS5_PT6_ll16rocsparse_order_21rocsparse_index_base_b
		.amdhsa_group_segment_fixed_size 1152
		.amdhsa_private_segment_fixed_size 0
		.amdhsa_kernarg_size 140
		.amdhsa_user_sgpr_count 14
		.amdhsa_user_sgpr_dispatch_ptr 0
		.amdhsa_user_sgpr_queue_ptr 0
		.amdhsa_user_sgpr_kernarg_segment_ptr 1
		.amdhsa_user_sgpr_dispatch_id 0
		.amdhsa_user_sgpr_private_segment_size 0
		.amdhsa_wavefront_size32 1
		.amdhsa_uses_dynamic_stack 0
		.amdhsa_enable_private_segment 0
		.amdhsa_system_sgpr_workgroup_id_x 1
		.amdhsa_system_sgpr_workgroup_id_y 1
		.amdhsa_system_sgpr_workgroup_id_z 0
		.amdhsa_system_sgpr_workgroup_info 0
		.amdhsa_system_vgpr_workitem_id 1
		.amdhsa_next_free_vgpr 44
		.amdhsa_next_free_sgpr 35
		.amdhsa_reserve_vcc 1
		.amdhsa_float_round_mode_32 0
		.amdhsa_float_round_mode_16_64 0
		.amdhsa_float_denorm_mode_32 3
		.amdhsa_float_denorm_mode_16_64 3
		.amdhsa_dx10_clamp 1
		.amdhsa_ieee_mode 1
		.amdhsa_fp16_overflow 0
		.amdhsa_workgroup_processor_mode 1
		.amdhsa_memory_ordered 1
		.amdhsa_forward_progress 0
		.amdhsa_shared_vgpr_count 0
		.amdhsa_exception_fp_ieee_invalid_op 0
		.amdhsa_exception_fp_denorm_src 0
		.amdhsa_exception_fp_ieee_div_zero 0
		.amdhsa_exception_fp_ieee_overflow 0
		.amdhsa_exception_fp_ieee_underflow 0
		.amdhsa_exception_fp_ieee_inexact 0
		.amdhsa_exception_int_div_zero 0
	.end_amdhsa_kernel
	.section	.text._ZN9rocsparseL31bsrmm_large_blockdim_kernel_extILj4ELj16ELj2EliddddEEvb20rocsparse_direction_T3_S2_llNS_24const_host_device_scalarIT7_EEPKT2_PKS2_PKT4_S2_PKT5_llS5_PT6_ll16rocsparse_order_21rocsparse_index_base_b,"axG",@progbits,_ZN9rocsparseL31bsrmm_large_blockdim_kernel_extILj4ELj16ELj2EliddddEEvb20rocsparse_direction_T3_S2_llNS_24const_host_device_scalarIT7_EEPKT2_PKS2_PKT4_S2_PKT5_llS5_PT6_ll16rocsparse_order_21rocsparse_index_base_b,comdat
.Lfunc_end17:
	.size	_ZN9rocsparseL31bsrmm_large_blockdim_kernel_extILj4ELj16ELj2EliddddEEvb20rocsparse_direction_T3_S2_llNS_24const_host_device_scalarIT7_EEPKT2_PKS2_PKT4_S2_PKT5_llS5_PT6_ll16rocsparse_order_21rocsparse_index_base_b, .Lfunc_end17-_ZN9rocsparseL31bsrmm_large_blockdim_kernel_extILj4ELj16ELj2EliddddEEvb20rocsparse_direction_T3_S2_llNS_24const_host_device_scalarIT7_EEPKT2_PKS2_PKT4_S2_PKT5_llS5_PT6_ll16rocsparse_order_21rocsparse_index_base_b
                                        ; -- End function
	.section	.AMDGPU.csdata,"",@progbits
; Kernel info:
; codeLenInByte = 2756
; NumSgprs: 37
; NumVgprs: 44
; ScratchSize: 0
; MemoryBound: 0
; FloatMode: 240
; IeeeMode: 1
; LDSByteSize: 1152 bytes/workgroup (compile time only)
; SGPRBlocks: 4
; VGPRBlocks: 5
; NumSGPRsForWavesPerEU: 37
; NumVGPRsForWavesPerEU: 44
; Occupancy: 16
; WaveLimiterHint : 1
; COMPUTE_PGM_RSRC2:SCRATCH_EN: 0
; COMPUTE_PGM_RSRC2:USER_SGPR: 14
; COMPUTE_PGM_RSRC2:TRAP_HANDLER: 0
; COMPUTE_PGM_RSRC2:TGID_X_EN: 1
; COMPUTE_PGM_RSRC2:TGID_Y_EN: 1
; COMPUTE_PGM_RSRC2:TGID_Z_EN: 0
; COMPUTE_PGM_RSRC2:TIDIG_COMP_CNT: 1
	.section	.text._ZN9rocsparseL31bsrmm_large_blockdim_kernel_extILj16ELj16ELj2EliddddEEvb20rocsparse_direction_T3_S2_llNS_24const_host_device_scalarIT7_EEPKT2_PKS2_PKT4_S2_PKT5_llS5_PT6_ll16rocsparse_order_21rocsparse_index_base_b,"axG",@progbits,_ZN9rocsparseL31bsrmm_large_blockdim_kernel_extILj16ELj16ELj2EliddddEEvb20rocsparse_direction_T3_S2_llNS_24const_host_device_scalarIT7_EEPKT2_PKS2_PKT4_S2_PKT5_llS5_PT6_ll16rocsparse_order_21rocsparse_index_base_b,comdat
	.globl	_ZN9rocsparseL31bsrmm_large_blockdim_kernel_extILj16ELj16ELj2EliddddEEvb20rocsparse_direction_T3_S2_llNS_24const_host_device_scalarIT7_EEPKT2_PKS2_PKT4_S2_PKT5_llS5_PT6_ll16rocsparse_order_21rocsparse_index_base_b ; -- Begin function _ZN9rocsparseL31bsrmm_large_blockdim_kernel_extILj16ELj16ELj2EliddddEEvb20rocsparse_direction_T3_S2_llNS_24const_host_device_scalarIT7_EEPKT2_PKS2_PKT4_S2_PKT5_llS5_PT6_ll16rocsparse_order_21rocsparse_index_base_b
	.p2align	8
	.type	_ZN9rocsparseL31bsrmm_large_blockdim_kernel_extILj16ELj16ELj2EliddddEEvb20rocsparse_direction_T3_S2_llNS_24const_host_device_scalarIT7_EEPKT2_PKS2_PKT4_S2_PKT5_llS5_PT6_ll16rocsparse_order_21rocsparse_index_base_b,@function
_ZN9rocsparseL31bsrmm_large_blockdim_kernel_extILj16ELj16ELj2EliddddEEvb20rocsparse_direction_T3_S2_llNS_24const_host_device_scalarIT7_EEPKT2_PKS2_PKT4_S2_PKT5_llS5_PT6_ll16rocsparse_order_21rocsparse_index_base_b: ; @_ZN9rocsparseL31bsrmm_large_blockdim_kernel_extILj16ELj16ELj2EliddddEEvb20rocsparse_direction_T3_S2_llNS_24const_host_device_scalarIT7_EEPKT2_PKS2_PKT4_S2_PKT5_llS5_PT6_ll16rocsparse_order_21rocsparse_index_base_b
; %bb.0:
	s_clause 0x2
	s_load_b128 s[16:19], s[0:1], 0x80
	s_load_b64 s[6:7], s[0:1], 0x20
	s_load_b64 s[4:5], s[0:1], 0x60
	s_mov_b32 s2, s15
	s_waitcnt lgkmcnt(0)
	s_bitcmp1_b32 s18, 0
	v_dual_mov_b32 v4, s6 :: v_dual_mov_b32 v5, s7
	s_cselect_b32 s3, -1, 0
	s_delay_alu instid0(SALU_CYCLE_1)
	s_and_b32 vcc_lo, exec_lo, s3
	s_xor_b32 s3, s3, -1
	s_cbranch_vccnz .LBB18_2
; %bb.1:
	v_dual_mov_b32 v1, s6 :: v_dual_mov_b32 v2, s7
	flat_load_b64 v[4:5], v[1:2]
.LBB18_2:
	v_dual_mov_b32 v7, s5 :: v_dual_mov_b32 v6, s4
	s_and_not1_b32 vcc_lo, exec_lo, s3
	s_cbranch_vccnz .LBB18_4
; %bb.3:
	v_dual_mov_b32 v1, s4 :: v_dual_mov_b32 v2, s5
	flat_load_b64 v[6:7], v[1:2]
.LBB18_4:
	s_waitcnt vmcnt(0) lgkmcnt(0)
	v_cmp_neq_f64_e32 vcc_lo, 0, v[4:5]
	v_cmp_neq_f64_e64 s3, 1.0, v[6:7]
	s_mov_b64 s[6:7], 0
	s_delay_alu instid0(VALU_DEP_1) | instskip(NEXT) | instid1(SALU_CYCLE_1)
	s_or_b32 s3, vcc_lo, s3
	s_and_saveexec_b32 s4, s3
	s_cbranch_execz .LBB18_60
; %bb.5:
	s_clause 0x1
	s_load_b128 s[8:11], s[0:1], 0x0
	s_load_b64 s[4:5], s[0:1], 0x28
	s_waitcnt lgkmcnt(0)
	s_cmp_lt_i32 s14, s10
	s_cselect_b32 s33, -1, 0
	s_cmp_ge_i32 s14, s10
	s_cbranch_scc1 .LBB18_7
; %bb.6:
	s_ashr_i32 s15, s14, 31
	s_delay_alu instid0(SALU_CYCLE_1) | instskip(NEXT) | instid1(SALU_CYCLE_1)
	s_lshl_b64 s[6:7], s[14:15], 3
	s_add_u32 s6, s4, s6
	s_addc_u32 s7, s5, s7
	s_load_b64 s[6:7], s[6:7], 0x0
	s_waitcnt lgkmcnt(0)
	s_sub_u32 s6, s6, s17
	s_subb_u32 s7, s7, 0
.LBB18_7:
	s_and_not1_b32 vcc_lo, exec_lo, s33
	s_mov_b64 s[18:19], 0
	s_cbranch_vccnz .LBB18_9
; %bb.8:
	s_ashr_i32 s15, s14, 31
	s_delay_alu instid0(SALU_CYCLE_1) | instskip(NEXT) | instid1(SALU_CYCLE_1)
	s_lshl_b64 s[12:13], s[14:15], 3
	s_add_u32 s4, s4, s12
	s_addc_u32 s5, s5, s13
	s_load_b64 s[4:5], s[4:5], 0x8
	s_waitcnt lgkmcnt(0)
	s_sub_u32 s18, s4, s17
	s_subb_u32 s19, s5, 0
.LBB18_9:
	s_clause 0x1
	s_load_b32 s10, s[0:1], 0x40
	s_load_b64 s[12:13], s[0:1], 0x68
	v_bfe_u32 v13, v0, 10, 10
	s_mov_b32 s28, 0
	s_delay_alu instid0(SALU_CYCLE_1) | instskip(SKIP_1) | instid1(VALU_DEP_1)
	s_mov_b32 s29, s28
	s_mov_b32 s30, s28
	v_lshl_add_u32 v10, s2, 5, v13
	v_cmp_ge_i64_e64 s2, s[6:7], s[18:19]
	s_mov_b32 s31, s28
	v_and_b32_e32 v12, 0x3ff, v0
	v_dual_mov_b32 v0, s28 :: v_dual_mov_b32 v1, s29
	v_dual_mov_b32 v3, s31 :: v_dual_add_nc_u32 v8, 16, v10
	v_mov_b32_e32 v2, s30
	s_and_b32 vcc_lo, exec_lo, s2
	v_cmp_gt_i32_e64 s3, s11, v10
	s_delay_alu instid0(VALU_DEP_3)
	v_cmp_gt_i32_e64 s4, s11, v8
	s_waitcnt lgkmcnt(0)
	v_cmp_gt_i32_e64 s2, s10, v12
	s_cbranch_vccnz .LBB18_37
; %bb.10:
	s_clause 0x1
	s_load_b128 s[20:23], s[0:1], 0x30
	s_load_b128 s[24:27], s[0:1], 0x48
	v_mul_lo_u32 v0, v13, s10
	v_dual_mov_b32 v1, 0 :: v_dual_lshlrev_b32 v16, 4, v13
	v_cmp_gt_i32_e32 vcc_lo, s10, v13
	v_lshlrev_b32_e32 v9, 3, v12
	v_ashrrev_i32_e32 v11, 31, v10
	v_lshl_add_u32 v19, v12, 4, v13
	v_add_lshl_u32 v22, v16, v12, 3
	v_lshlrev_b64 v[2:3], 3, v[0:1]
	v_mul_lo_u32 v0, v12, s10
	s_and_b32 s15, s2, vcc_lo
	s_bitcmp1_b32 s8, 0
	v_lshl_add_u32 v21, v19, 3, 0x1000
	s_cselect_b32 s5, -1, 0
	s_cmp_eq_u32 s9, 0
	s_delay_alu instid0(VALU_DEP_2) | instskip(SKIP_4) | instid1(VALU_DEP_3)
	v_lshlrev_b64 v[0:1], 3, v[0:1]
	s_waitcnt lgkmcnt(0)
	v_add_co_u32 v2, vcc_lo, s22, v2
	v_add_co_ci_u32_e32 v3, vcc_lo, s23, v3, vcc_lo
	v_mul_lo_u32 v23, v10, s27
	v_add_co_u32 v2, vcc_lo, v2, v9
	v_ashrrev_i32_e32 v9, 31, v8
	s_delay_alu instid0(VALU_DEP_4)
	v_add_co_ci_u32_e32 v3, vcc_lo, 0, v3, vcc_lo
	v_mul_lo_u32 v24, v11, s26
	v_mad_u64_u32 v[14:15], null, v10, s26, 0
	v_mul_lo_u32 v25, v8, s27
	v_mul_lo_u32 v26, v9, s26
	v_mad_u64_u32 v[17:18], null, v8, s26, 0
	v_add_co_u32 v0, vcc_lo, s22, v0
	v_lshlrev_b32_e32 v20, 3, v13
	v_add_co_ci_u32_e32 v1, vcc_lo, s23, v1, vcc_lo
	v_add3_u32 v15, v15, v23, v24
	v_add3_u32 v18, v18, v25, v26
	s_delay_alu instid0(VALU_DEP_4) | instskip(NEXT) | instid1(VALU_DEP_4)
	v_add_co_u32 v0, vcc_lo, v0, v20
	v_add_co_ci_u32_e32 v1, vcc_lo, 0, v1, vcc_lo
	v_lshlrev_b32_e32 v24, 7, v13
	s_cselect_b32 vcc_lo, -1, 0
	s_add_i32 s9, s10, -1
	s_and_b32 s8, s10, 7
	s_cmp_gt_u32 s9, 6
	v_cndmask_b32_e32 v23, v3, v1, vcc_lo
	v_dual_cndmask_b32 v25, v2, v0 :: v_dual_mov_b32 v0, s28
	v_mov_b32_e32 v2, s30
	v_lshlrev_b64 v[13:14], 3, v[14:15]
	v_lshlrev_b64 v[15:16], 3, v[10:11]
	;; [unrolled: 1-line block ×4, first 2 shown]
	s_cselect_b32 s9, -1, 0
	s_and_b32 s22, s10, -8
	v_lshl_add_u32 v26, v12, 7, 0x1000
	v_mov_b32_e32 v1, s29
	v_add_nc_u32_e32 v27, 0x800, v24
	v_mov_b32_e32 v3, s31
	s_cmp_lg_u32 s8, 0
	s_mul_i32 s23, s10, s10
	s_cselect_b32 s28, -1, 0
	s_branch .LBB18_13
.LBB18_11:                              ;   in Loop: Header=BB18_13 Depth=1
	s_or_b32 exec_lo, exec_lo, s30
.LBB18_12:                              ;   in Loop: Header=BB18_13 Depth=1
	s_delay_alu instid0(SALU_CYCLE_1) | instskip(SKIP_2) | instid1(SALU_CYCLE_1)
	s_or_b32 exec_lo, exec_lo, s29
	s_add_u32 s6, s6, 1
	s_addc_u32 s7, s7, 0
	v_cmp_ge_i64_e64 s29, s[6:7], s[18:19]
	s_barrier
	buffer_gl0_inv
	s_and_b32 vcc_lo, exec_lo, s29
	s_cbranch_vccnz .LBB18_37
.LBB18_13:                              ; =>This Loop Header: Depth=1
                                        ;     Child Loop BB18_24 Depth 2
                                        ;     Child Loop BB18_28 Depth 2
                                        ;     Child Loop BB18_32 Depth 2
                                        ;     Child Loop BB18_36 Depth 2
	s_and_saveexec_b32 s29, s2
	s_cbranch_execz .LBB18_18
; %bb.14:                               ;   in Loop: Header=BB18_13 Depth=1
	s_lshl_b64 s[30:31], s[6:7], 2
	s_delay_alu instid0(SALU_CYCLE_1) | instskip(SKIP_4) | instid1(SALU_CYCLE_1)
	s_add_u32 s30, s20, s30
	s_addc_u32 s31, s21, s31
	s_load_b32 s30, s[30:31], 0x0
	s_waitcnt lgkmcnt(0)
	s_sub_i32 s30, s30, s17
	v_mad_u64_u32 v[28:29], null, s30, s10, v[12:13]
	s_delay_alu instid0(VALU_DEP_1) | instskip(SKIP_2) | instid1(VALU_DEP_3)
	v_ashrrev_i32_e32 v29, 31, v28
	v_mul_lo_u32 v9, v28, s27
	v_mad_u64_u32 v[30:31], null, v28, s26, 0
	v_mul_lo_u32 v11, v29, s26
	v_lshlrev_b64 v[28:29], 3, v[28:29]
	s_delay_alu instid0(VALU_DEP_2) | instskip(NEXT) | instid1(VALU_DEP_1)
	v_add3_u32 v31, v31, v9, v11
	v_lshlrev_b64 v[30:31], 3, v[30:31]
	s_delay_alu instid0(VALU_DEP_1) | instskip(NEXT) | instid1(VALU_DEP_2)
	v_add_co_u32 v9, vcc_lo, s24, v30
	v_add_co_ci_u32_e32 v11, vcc_lo, s25, v31, vcc_lo
	v_add_co_u32 v28, vcc_lo, s24, v28
	v_add_co_ci_u32_e32 v29, vcc_lo, s25, v29, vcc_lo
	s_and_saveexec_b32 s30, s3
	s_cbranch_execz .LBB18_16
; %bb.15:                               ;   in Loop: Header=BB18_13 Depth=1
	s_delay_alu instid0(VALU_DEP_2) | instskip(NEXT) | instid1(VALU_DEP_2)
	v_add_co_u32 v30, vcc_lo, v28, v13
	v_add_co_ci_u32_e32 v31, vcc_lo, v29, v14, vcc_lo
	v_add_co_u32 v32, vcc_lo, v9, v15
	v_add_co_ci_u32_e32 v33, vcc_lo, v11, v16, vcc_lo
	s_delay_alu instid0(VALU_DEP_2) | instskip(NEXT) | instid1(VALU_DEP_2)
	v_cndmask_b32_e64 v30, v32, v30, s5
	v_cndmask_b32_e64 v31, v33, v31, s5
	global_load_b64 v[30:31], v[30:31], off
	s_waitcnt vmcnt(0)
	ds_store_b64 v22, v[30:31]
.LBB18_16:                              ;   in Loop: Header=BB18_13 Depth=1
	s_or_b32 exec_lo, exec_lo, s30
	s_delay_alu instid0(SALU_CYCLE_1)
	s_and_b32 exec_lo, exec_lo, s4
	s_cbranch_execz .LBB18_18
; %bb.17:                               ;   in Loop: Header=BB18_13 Depth=1
	v_add_co_u32 v28, vcc_lo, v28, v17
	v_add_co_ci_u32_e32 v29, vcc_lo, v29, v18, vcc_lo
	v_add_co_u32 v9, vcc_lo, v9, v19
	v_add_co_ci_u32_e32 v11, vcc_lo, v11, v20, vcc_lo
	s_delay_alu instid0(VALU_DEP_2) | instskip(NEXT) | instid1(VALU_DEP_2)
	v_cndmask_b32_e64 v28, v9, v28, s5
	v_cndmask_b32_e64 v29, v11, v29, s5
	global_load_b64 v[28:29], v[28:29], off
	s_waitcnt vmcnt(0)
	ds_store_b64 v22, v[28:29] offset:2048
.LBB18_18:                              ;   in Loop: Header=BB18_13 Depth=1
	s_or_b32 exec_lo, exec_lo, s29
	s_and_saveexec_b32 s29, s15
	s_cbranch_execz .LBB18_20
; %bb.19:                               ;   in Loop: Header=BB18_13 Depth=1
	s_mul_i32 s31, s7, s23
	s_mul_hi_u32 s34, s6, s23
	s_mul_i32 s30, s6, s23
	s_add_i32 s31, s34, s31
	s_delay_alu instid0(SALU_CYCLE_1) | instskip(NEXT) | instid1(SALU_CYCLE_1)
	s_lshl_b64 s[30:31], s[30:31], 3
	v_add_co_u32 v28, vcc_lo, v25, s30
	v_add_co_ci_u32_e32 v29, vcc_lo, s31, v23, vcc_lo
	global_load_b64 v[28:29], v[28:29], off
	s_waitcnt vmcnt(0)
	ds_store_b64 v21, v[28:29]
.LBB18_20:                              ;   in Loop: Header=BB18_13 Depth=1
	s_or_b32 exec_lo, exec_lo, s29
	s_waitcnt lgkmcnt(0)
	s_barrier
	buffer_gl0_inv
	s_and_saveexec_b32 s29, s2
	s_cbranch_execz .LBB18_12
; %bb.21:                               ;   in Loop: Header=BB18_13 Depth=1
	s_and_saveexec_b32 s30, s3
	s_cbranch_execz .LBB18_29
; %bb.22:                               ;   in Loop: Header=BB18_13 Depth=1
	s_and_not1_b32 vcc_lo, exec_lo, s9
	s_cbranch_vccnz .LBB18_26
; %bb.23:                               ;   in Loop: Header=BB18_13 Depth=1
	v_mov_b32_e32 v9, v26
	v_mov_b32_e32 v11, v24
	s_mov_b32 s31, 0
	s_set_inst_prefetch_distance 0x1
	.p2align	6
.LBB18_24:                              ;   Parent Loop BB18_13 Depth=1
                                        ; =>  This Inner Loop Header: Depth=2
	ds_load_b128 v[28:31], v11
	ds_load_b128 v[32:35], v9
	ds_load_b128 v[36:39], v9 offset:16
	ds_load_b128 v[40:43], v11 offset:16
	s_add_i32 s31, s31, 8
	s_delay_alu instid0(SALU_CYCLE_1) | instskip(SKIP_2) | instid1(VALU_DEP_1)
	s_cmp_lg_u32 s22, s31
	s_waitcnt lgkmcnt(2)
	v_fma_f64 v[0:1], v[32:33], v[28:29], v[0:1]
	v_fma_f64 v[0:1], v[34:35], v[30:31], v[0:1]
	s_waitcnt lgkmcnt(0)
	s_delay_alu instid0(VALU_DEP_1) | instskip(NEXT) | instid1(VALU_DEP_1)
	v_fma_f64 v[0:1], v[36:37], v[40:41], v[0:1]
	v_fma_f64 v[0:1], v[38:39], v[42:43], v[0:1]
	ds_load_b128 v[28:31], v11 offset:32
	ds_load_b128 v[32:35], v9 offset:32
	;; [unrolled: 1-line block ×4, first 2 shown]
	v_add_nc_u32_e32 v11, 64, v11
	v_add_nc_u32_e32 v9, 64, v9
	s_waitcnt lgkmcnt(2)
	v_fma_f64 v[0:1], v[32:33], v[28:29], v[0:1]
	s_delay_alu instid0(VALU_DEP_1) | instskip(SKIP_1) | instid1(VALU_DEP_1)
	v_fma_f64 v[0:1], v[34:35], v[30:31], v[0:1]
	s_waitcnt lgkmcnt(0)
	v_fma_f64 v[0:1], v[36:37], v[40:41], v[0:1]
	s_delay_alu instid0(VALU_DEP_1)
	v_fma_f64 v[0:1], v[38:39], v[42:43], v[0:1]
	s_cbranch_scc1 .LBB18_24
; %bb.25:                               ;   in Loop: Header=BB18_13 Depth=1
	s_set_inst_prefetch_distance 0x2
	s_mov_b32 s31, s22
	s_and_not1_b32 vcc_lo, exec_lo, s28
	s_cbranch_vccz .LBB18_27
	s_branch .LBB18_29
.LBB18_26:                              ;   in Loop: Header=BB18_13 Depth=1
	s_mov_b32 s31, 0
	s_and_not1_b32 vcc_lo, exec_lo, s28
	s_cbranch_vccnz .LBB18_29
.LBB18_27:                              ;   in Loop: Header=BB18_13 Depth=1
	s_lshl_b32 s31, s31, 3
	s_delay_alu instid0(SALU_CYCLE_1)
	v_add_nc_u32_e32 v9, s31, v24
	v_add_nc_u32_e32 v11, s31, v26
	s_mov_b32 s31, s8
.LBB18_28:                              ;   Parent Loop BB18_13 Depth=1
                                        ; =>  This Inner Loop Header: Depth=2
	ds_load_b64 v[28:29], v11
	ds_load_b64 v[30:31], v9
	v_add_nc_u32_e32 v9, 8, v9
	v_add_nc_u32_e32 v11, 8, v11
	s_add_i32 s31, s31, -1
	s_delay_alu instid0(SALU_CYCLE_1)
	s_cmp_lg_u32 s31, 0
	s_waitcnt lgkmcnt(0)
	v_fma_f64 v[0:1], v[28:29], v[30:31], v[0:1]
	s_cbranch_scc1 .LBB18_28
.LBB18_29:                              ;   in Loop: Header=BB18_13 Depth=1
	s_or_b32 exec_lo, exec_lo, s30
	s_and_saveexec_b32 s30, s4
	s_cbranch_execz .LBB18_11
; %bb.30:                               ;   in Loop: Header=BB18_13 Depth=1
	s_and_not1_b32 vcc_lo, exec_lo, s9
	s_cbranch_vccnz .LBB18_34
; %bb.31:                               ;   in Loop: Header=BB18_13 Depth=1
	v_mov_b32_e32 v9, v26
	v_mov_b32_e32 v11, v27
	s_mov_b32 s31, 0
	s_set_inst_prefetch_distance 0x1
	.p2align	6
.LBB18_32:                              ;   Parent Loop BB18_13 Depth=1
                                        ; =>  This Inner Loop Header: Depth=2
	ds_load_b128 v[28:31], v11
	ds_load_b128 v[32:35], v9
	ds_load_b128 v[36:39], v9 offset:16
	ds_load_b128 v[40:43], v11 offset:16
	s_add_i32 s31, s31, 8
	s_delay_alu instid0(SALU_CYCLE_1) | instskip(SKIP_2) | instid1(VALU_DEP_1)
	s_cmp_lg_u32 s22, s31
	s_waitcnt lgkmcnt(2)
	v_fma_f64 v[2:3], v[32:33], v[28:29], v[2:3]
	v_fma_f64 v[2:3], v[34:35], v[30:31], v[2:3]
	s_waitcnt lgkmcnt(0)
	s_delay_alu instid0(VALU_DEP_1) | instskip(NEXT) | instid1(VALU_DEP_1)
	v_fma_f64 v[2:3], v[36:37], v[40:41], v[2:3]
	v_fma_f64 v[2:3], v[38:39], v[42:43], v[2:3]
	ds_load_b128 v[28:31], v11 offset:32
	ds_load_b128 v[32:35], v9 offset:32
	;; [unrolled: 1-line block ×4, first 2 shown]
	v_add_nc_u32_e32 v11, 64, v11
	v_add_nc_u32_e32 v9, 64, v9
	s_waitcnt lgkmcnt(2)
	v_fma_f64 v[2:3], v[32:33], v[28:29], v[2:3]
	s_delay_alu instid0(VALU_DEP_1) | instskip(SKIP_1) | instid1(VALU_DEP_1)
	v_fma_f64 v[2:3], v[34:35], v[30:31], v[2:3]
	s_waitcnt lgkmcnt(0)
	v_fma_f64 v[2:3], v[36:37], v[40:41], v[2:3]
	s_delay_alu instid0(VALU_DEP_1)
	v_fma_f64 v[2:3], v[38:39], v[42:43], v[2:3]
	s_cbranch_scc1 .LBB18_32
; %bb.33:                               ;   in Loop: Header=BB18_13 Depth=1
	s_set_inst_prefetch_distance 0x2
	s_mov_b32 s31, s22
	s_and_not1_b32 vcc_lo, exec_lo, s28
	s_cbranch_vccz .LBB18_35
	s_branch .LBB18_11
.LBB18_34:                              ;   in Loop: Header=BB18_13 Depth=1
	s_mov_b32 s31, 0
	s_and_not1_b32 vcc_lo, exec_lo, s28
	s_cbranch_vccnz .LBB18_11
.LBB18_35:                              ;   in Loop: Header=BB18_13 Depth=1
	s_lshl_b32 s31, s31, 3
	s_delay_alu instid0(SALU_CYCLE_1)
	v_add_nc_u32_e32 v9, s31, v27
	v_add_nc_u32_e32 v11, s31, v26
	s_mov_b32 s31, s8
.LBB18_36:                              ;   Parent Loop BB18_13 Depth=1
                                        ; =>  This Inner Loop Header: Depth=2
	ds_load_b64 v[28:29], v11
	ds_load_b64 v[30:31], v9
	v_add_nc_u32_e32 v9, 8, v9
	v_add_nc_u32_e32 v11, 8, v11
	s_add_i32 s31, s31, -1
	s_delay_alu instid0(SALU_CYCLE_1)
	s_cmp_lg_u32 s31, 0
	s_waitcnt lgkmcnt(0)
	v_fma_f64 v[2:3], v[28:29], v[30:31], v[2:3]
	s_cbranch_scc1 .LBB18_36
	s_branch .LBB18_11
.LBB18_37:
	s_delay_alu instid0(VALU_DEP_1) | instskip(NEXT) | instid1(SALU_CYCLE_1)
	s_and_b32 s2, s33, s2
	s_and_b32 exec_lo, exec_lo, s2
	s_cbranch_execz .LBB18_60
; %bb.38:
	s_load_b64 s[2:3], s[0:1], 0x70
	v_mad_u64_u32 v[13:14], null, s14, s10, v[12:13]
	v_cmp_neq_f64_e64 s0, 0, v[6:7]
	s_cmp_lg_u32 s16, 1
	s_mov_b32 s4, exec_lo
	s_cselect_b32 s1, -1, 0
	s_delay_alu instid0(VALU_DEP_2) | instskip(SKIP_1) | instid1(VALU_DEP_1)
	v_ashrrev_i32_e32 v14, 31, v13
	s_waitcnt lgkmcnt(0)
	v_mul_lo_u32 v9, v14, s2
	v_mul_lo_u32 v15, v13, s3
	v_mad_u64_u32 v[11:12], null, v13, s2, 0
	v_lshlrev_b64 v[13:14], 3, v[13:14]
	s_delay_alu instid0(VALU_DEP_2) | instskip(NEXT) | instid1(VALU_DEP_1)
	v_add3_u32 v12, v12, v15, v9
	v_lshlrev_b64 v[15:16], 3, v[11:12]
	s_delay_alu instid0(VALU_DEP_3) | instskip(NEXT) | instid1(VALU_DEP_4)
	v_add_co_u32 v12, vcc_lo, s12, v13
	v_add_co_ci_u32_e32 v13, vcc_lo, s13, v14, vcc_lo
	s_delay_alu instid0(VALU_DEP_3) | instskip(NEXT) | instid1(VALU_DEP_4)
	v_add_co_u32 v14, vcc_lo, s12, v15
	v_add_co_ci_u32_e32 v15, vcc_lo, s13, v16, vcc_lo
	v_cmpx_gt_i32_e64 s11, v10
	s_cbranch_execz .LBB18_49
; %bb.39:
	s_and_saveexec_b32 s5, s0
	s_delay_alu instid0(SALU_CYCLE_1)
	s_xor_b32 s5, exec_lo, s5
	s_cbranch_execz .LBB18_44
; %bb.40:
	v_ashrrev_i32_e32 v11, 31, v10
	s_and_b32 vcc_lo, exec_lo, s1
	s_mov_b32 s6, -1
	s_cbranch_vccz .LBB18_42
; %bb.41:
	s_delay_alu instid0(VALU_DEP_1) | instskip(SKIP_2) | instid1(VALU_DEP_2)
	v_lshlrev_b64 v[16:17], 3, v[10:11]
	v_mul_f64 v[20:21], v[4:5], v[0:1]
	s_mov_b32 s6, 0
	v_add_co_u32 v16, vcc_lo, v14, v16
	s_delay_alu instid0(VALU_DEP_3)
	v_add_co_ci_u32_e32 v17, vcc_lo, v15, v17, vcc_lo
	global_load_b64 v[18:19], v[16:17], off
	s_waitcnt vmcnt(0)
	v_fma_f64 v[18:19], v[6:7], v[18:19], v[20:21]
	global_store_b64 v[16:17], v[18:19], off
.LBB18_42:
	s_and_not1_b32 vcc_lo, exec_lo, s6
	s_cbranch_vccnz .LBB18_44
; %bb.43:
	v_mul_lo_u32 v9, v11, s2
	v_mul_lo_u32 v11, v10, s3
	v_mad_u64_u32 v[16:17], null, v10, s2, 0
	v_mul_f64 v[18:19], v[4:5], v[0:1]
	s_delay_alu instid0(VALU_DEP_2) | instskip(NEXT) | instid1(VALU_DEP_1)
	v_add3_u32 v17, v17, v11, v9
	v_lshlrev_b64 v[9:10], 3, v[16:17]
	s_delay_alu instid0(VALU_DEP_1) | instskip(NEXT) | instid1(VALU_DEP_2)
	v_add_co_u32 v9, vcc_lo, v12, v9
	v_add_co_ci_u32_e32 v10, vcc_lo, v13, v10, vcc_lo
	global_load_b64 v[16:17], v[9:10], off
	s_waitcnt vmcnt(0)
	v_fma_f64 v[16:17], v[6:7], v[16:17], v[18:19]
	global_store_b64 v[9:10], v[16:17], off
                                        ; implicit-def: $vgpr10
.LBB18_44:
	s_and_not1_saveexec_b32 s5, s5
	s_cbranch_execz .LBB18_49
; %bb.45:
	v_mul_f64 v[0:1], v[4:5], v[0:1]
	v_ashrrev_i32_e32 v11, 31, v10
	s_and_b32 vcc_lo, exec_lo, s1
	s_mov_b32 s5, -1
	s_cbranch_vccz .LBB18_47
; %bb.46:
	s_delay_alu instid0(VALU_DEP_1) | instskip(SKIP_1) | instid1(VALU_DEP_1)
	v_lshlrev_b64 v[16:17], 3, v[10:11]
	s_mov_b32 s5, 0
	v_add_co_u32 v16, vcc_lo, v14, v16
	s_delay_alu instid0(VALU_DEP_2)
	v_add_co_ci_u32_e32 v17, vcc_lo, v15, v17, vcc_lo
	global_store_b64 v[16:17], v[0:1], off
.LBB18_47:
	s_and_not1_b32 vcc_lo, exec_lo, s5
	s_cbranch_vccnz .LBB18_49
; %bb.48:
	v_mul_lo_u32 v9, v11, s2
	v_mul_lo_u32 v11, v10, s3
	v_mad_u64_u32 v[16:17], null, v10, s2, 0
	s_delay_alu instid0(VALU_DEP_1) | instskip(NEXT) | instid1(VALU_DEP_1)
	v_add3_u32 v17, v17, v11, v9
	v_lshlrev_b64 v[9:10], 3, v[16:17]
	s_delay_alu instid0(VALU_DEP_1) | instskip(NEXT) | instid1(VALU_DEP_2)
	v_add_co_u32 v9, vcc_lo, v12, v9
	v_add_co_ci_u32_e32 v10, vcc_lo, v13, v10, vcc_lo
	global_store_b64 v[9:10], v[0:1], off
.LBB18_49:
	s_or_b32 exec_lo, exec_lo, s4
	v_cmp_gt_i32_e32 vcc_lo, s11, v8
	s_and_b32 exec_lo, exec_lo, vcc_lo
	s_cbranch_execz .LBB18_60
; %bb.50:
	s_and_saveexec_b32 s4, s0
	s_delay_alu instid0(SALU_CYCLE_1)
	s_xor_b32 s0, exec_lo, s4
	s_cbranch_execz .LBB18_55
; %bb.51:
	v_ashrrev_i32_e32 v9, 31, v8
	s_and_not1_b32 vcc_lo, exec_lo, s1
	s_mov_b32 s4, -1
	s_cbranch_vccnz .LBB18_53
; %bb.52:
	s_delay_alu instid0(VALU_DEP_1) | instskip(SKIP_1) | instid1(VALU_DEP_1)
	v_lshlrev_b64 v[0:1], 3, v[8:9]
	s_mov_b32 s4, 0
	v_add_co_u32 v0, vcc_lo, v14, v0
	s_delay_alu instid0(VALU_DEP_2)
	v_add_co_ci_u32_e32 v1, vcc_lo, v15, v1, vcc_lo
	v_mul_f64 v[14:15], v[4:5], v[2:3]
	global_load_b64 v[10:11], v[0:1], off
	s_waitcnt vmcnt(0)
	v_fma_f64 v[10:11], v[6:7], v[10:11], v[14:15]
	global_store_b64 v[0:1], v[10:11], off
.LBB18_53:
	s_and_not1_b32 vcc_lo, exec_lo, s4
                                        ; implicit-def: $vgpr14
                                        ; implicit-def: $vgpr15
	s_cbranch_vccnz .LBB18_55
; %bb.54:
	v_mul_lo_u32 v9, v9, s2
	v_mul_lo_u32 v10, v8, s3
	v_mad_u64_u32 v[0:1], null, v8, s2, 0
	v_mul_f64 v[2:3], v[4:5], v[2:3]
                                        ; implicit-def: $vgpr4_vgpr5
                                        ; implicit-def: $vgpr14
                                        ; implicit-def: $vgpr15
	s_delay_alu instid0(VALU_DEP_2) | instskip(NEXT) | instid1(VALU_DEP_1)
	v_add3_u32 v1, v1, v10, v9
	v_lshlrev_b64 v[0:1], 3, v[0:1]
	s_delay_alu instid0(VALU_DEP_1) | instskip(NEXT) | instid1(VALU_DEP_2)
	v_add_co_u32 v0, vcc_lo, v12, v0
	v_add_co_ci_u32_e32 v1, vcc_lo, v13, v1, vcc_lo
                                        ; implicit-def: $vgpr12
                                        ; implicit-def: $vgpr13
	global_load_b64 v[8:9], v[0:1], off
	s_waitcnt vmcnt(0)
	v_fma_f64 v[2:3], v[6:7], v[8:9], v[2:3]
                                        ; implicit-def: $vgpr8
	global_store_b64 v[0:1], v[2:3], off
                                        ; implicit-def: $vgpr0_vgpr1_vgpr2_vgpr3
.LBB18_55:
	s_and_not1_saveexec_b32 s0, s0
	s_cbranch_execz .LBB18_60
; %bb.56:
	v_mul_f64 v[0:1], v[4:5], v[2:3]
	v_ashrrev_i32_e32 v9, 31, v8
	s_and_not1_b32 vcc_lo, exec_lo, s1
	s_mov_b32 s0, -1
	s_cbranch_vccnz .LBB18_58
; %bb.57:
	s_delay_alu instid0(VALU_DEP_1) | instskip(SKIP_1) | instid1(VALU_DEP_1)
	v_lshlrev_b64 v[2:3], 3, v[8:9]
	s_mov_b32 s0, 0
	v_add_co_u32 v2, vcc_lo, v14, v2
	s_delay_alu instid0(VALU_DEP_2)
	v_add_co_ci_u32_e32 v3, vcc_lo, v15, v3, vcc_lo
	global_store_b64 v[2:3], v[0:1], off
.LBB18_58:
	s_and_not1_b32 vcc_lo, exec_lo, s0
	s_cbranch_vccnz .LBB18_60
; %bb.59:
	v_mul_lo_u32 v4, v9, s2
	v_mul_lo_u32 v5, v8, s3
	v_mad_u64_u32 v[2:3], null, v8, s2, 0
	s_delay_alu instid0(VALU_DEP_1) | instskip(NEXT) | instid1(VALU_DEP_1)
	v_add3_u32 v3, v3, v5, v4
	v_lshlrev_b64 v[2:3], 3, v[2:3]
	s_delay_alu instid0(VALU_DEP_1) | instskip(NEXT) | instid1(VALU_DEP_2)
	v_add_co_u32 v2, vcc_lo, v12, v2
	v_add_co_ci_u32_e32 v3, vcc_lo, v13, v3, vcc_lo
	global_store_b64 v[2:3], v[0:1], off
.LBB18_60:
	s_nop 0
	s_sendmsg sendmsg(MSG_DEALLOC_VGPRS)
	s_endpgm
	.section	.rodata,"a",@progbits
	.p2align	6, 0x0
	.amdhsa_kernel _ZN9rocsparseL31bsrmm_large_blockdim_kernel_extILj16ELj16ELj2EliddddEEvb20rocsparse_direction_T3_S2_llNS_24const_host_device_scalarIT7_EEPKT2_PKS2_PKT4_S2_PKT5_llS5_PT6_ll16rocsparse_order_21rocsparse_index_base_b
		.amdhsa_group_segment_fixed_size 6144
		.amdhsa_private_segment_fixed_size 0
		.amdhsa_kernarg_size 140
		.amdhsa_user_sgpr_count 14
		.amdhsa_user_sgpr_dispatch_ptr 0
		.amdhsa_user_sgpr_queue_ptr 0
		.amdhsa_user_sgpr_kernarg_segment_ptr 1
		.amdhsa_user_sgpr_dispatch_id 0
		.amdhsa_user_sgpr_private_segment_size 0
		.amdhsa_wavefront_size32 1
		.amdhsa_uses_dynamic_stack 0
		.amdhsa_enable_private_segment 0
		.amdhsa_system_sgpr_workgroup_id_x 1
		.amdhsa_system_sgpr_workgroup_id_y 1
		.amdhsa_system_sgpr_workgroup_id_z 0
		.amdhsa_system_sgpr_workgroup_info 0
		.amdhsa_system_vgpr_workitem_id 1
		.amdhsa_next_free_vgpr 44
		.amdhsa_next_free_sgpr 35
		.amdhsa_reserve_vcc 1
		.amdhsa_float_round_mode_32 0
		.amdhsa_float_round_mode_16_64 0
		.amdhsa_float_denorm_mode_32 3
		.amdhsa_float_denorm_mode_16_64 3
		.amdhsa_dx10_clamp 1
		.amdhsa_ieee_mode 1
		.amdhsa_fp16_overflow 0
		.amdhsa_workgroup_processor_mode 1
		.amdhsa_memory_ordered 1
		.amdhsa_forward_progress 0
		.amdhsa_shared_vgpr_count 0
		.amdhsa_exception_fp_ieee_invalid_op 0
		.amdhsa_exception_fp_denorm_src 0
		.amdhsa_exception_fp_ieee_div_zero 0
		.amdhsa_exception_fp_ieee_overflow 0
		.amdhsa_exception_fp_ieee_underflow 0
		.amdhsa_exception_fp_ieee_inexact 0
		.amdhsa_exception_int_div_zero 0
	.end_amdhsa_kernel
	.section	.text._ZN9rocsparseL31bsrmm_large_blockdim_kernel_extILj16ELj16ELj2EliddddEEvb20rocsparse_direction_T3_S2_llNS_24const_host_device_scalarIT7_EEPKT2_PKS2_PKT4_S2_PKT5_llS5_PT6_ll16rocsparse_order_21rocsparse_index_base_b,"axG",@progbits,_ZN9rocsparseL31bsrmm_large_blockdim_kernel_extILj16ELj16ELj2EliddddEEvb20rocsparse_direction_T3_S2_llNS_24const_host_device_scalarIT7_EEPKT2_PKS2_PKT4_S2_PKT5_llS5_PT6_ll16rocsparse_order_21rocsparse_index_base_b,comdat
.Lfunc_end18:
	.size	_ZN9rocsparseL31bsrmm_large_blockdim_kernel_extILj16ELj16ELj2EliddddEEvb20rocsparse_direction_T3_S2_llNS_24const_host_device_scalarIT7_EEPKT2_PKS2_PKT4_S2_PKT5_llS5_PT6_ll16rocsparse_order_21rocsparse_index_base_b, .Lfunc_end18-_ZN9rocsparseL31bsrmm_large_blockdim_kernel_extILj16ELj16ELj2EliddddEEvb20rocsparse_direction_T3_S2_llNS_24const_host_device_scalarIT7_EEPKT2_PKS2_PKT4_S2_PKT5_llS5_PT6_ll16rocsparse_order_21rocsparse_index_base_b
                                        ; -- End function
	.section	.AMDGPU.csdata,"",@progbits
; Kernel info:
; codeLenInByte = 2756
; NumSgprs: 37
; NumVgprs: 44
; ScratchSize: 0
; MemoryBound: 0
; FloatMode: 240
; IeeeMode: 1
; LDSByteSize: 6144 bytes/workgroup (compile time only)
; SGPRBlocks: 4
; VGPRBlocks: 5
; NumSGPRsForWavesPerEU: 37
; NumVGPRsForWavesPerEU: 44
; Occupancy: 16
; WaveLimiterHint : 1
; COMPUTE_PGM_RSRC2:SCRATCH_EN: 0
; COMPUTE_PGM_RSRC2:USER_SGPR: 14
; COMPUTE_PGM_RSRC2:TRAP_HANDLER: 0
; COMPUTE_PGM_RSRC2:TGID_X_EN: 1
; COMPUTE_PGM_RSRC2:TGID_Y_EN: 1
; COMPUTE_PGM_RSRC2:TGID_Z_EN: 0
; COMPUTE_PGM_RSRC2:TIDIG_COMP_CNT: 1
	.section	.text._ZN9rocsparseL31bsrmm_large_blockdim_kernel_extILj32ELj32ELj2EliddddEEvb20rocsparse_direction_T3_S2_llNS_24const_host_device_scalarIT7_EEPKT2_PKS2_PKT4_S2_PKT5_llS5_PT6_ll16rocsparse_order_21rocsparse_index_base_b,"axG",@progbits,_ZN9rocsparseL31bsrmm_large_blockdim_kernel_extILj32ELj32ELj2EliddddEEvb20rocsparse_direction_T3_S2_llNS_24const_host_device_scalarIT7_EEPKT2_PKS2_PKT4_S2_PKT5_llS5_PT6_ll16rocsparse_order_21rocsparse_index_base_b,comdat
	.globl	_ZN9rocsparseL31bsrmm_large_blockdim_kernel_extILj32ELj32ELj2EliddddEEvb20rocsparse_direction_T3_S2_llNS_24const_host_device_scalarIT7_EEPKT2_PKS2_PKT4_S2_PKT5_llS5_PT6_ll16rocsparse_order_21rocsparse_index_base_b ; -- Begin function _ZN9rocsparseL31bsrmm_large_blockdim_kernel_extILj32ELj32ELj2EliddddEEvb20rocsparse_direction_T3_S2_llNS_24const_host_device_scalarIT7_EEPKT2_PKS2_PKT4_S2_PKT5_llS5_PT6_ll16rocsparse_order_21rocsparse_index_base_b
	.p2align	8
	.type	_ZN9rocsparseL31bsrmm_large_blockdim_kernel_extILj32ELj32ELj2EliddddEEvb20rocsparse_direction_T3_S2_llNS_24const_host_device_scalarIT7_EEPKT2_PKS2_PKT4_S2_PKT5_llS5_PT6_ll16rocsparse_order_21rocsparse_index_base_b,@function
_ZN9rocsparseL31bsrmm_large_blockdim_kernel_extILj32ELj32ELj2EliddddEEvb20rocsparse_direction_T3_S2_llNS_24const_host_device_scalarIT7_EEPKT2_PKS2_PKT4_S2_PKT5_llS5_PT6_ll16rocsparse_order_21rocsparse_index_base_b: ; @_ZN9rocsparseL31bsrmm_large_blockdim_kernel_extILj32ELj32ELj2EliddddEEvb20rocsparse_direction_T3_S2_llNS_24const_host_device_scalarIT7_EEPKT2_PKS2_PKT4_S2_PKT5_llS5_PT6_ll16rocsparse_order_21rocsparse_index_base_b
; %bb.0:
	s_clause 0x2
	s_load_b128 s[16:19], s[0:1], 0x80
	s_load_b64 s[6:7], s[0:1], 0x20
	s_load_b64 s[4:5], s[0:1], 0x60
	s_mov_b32 s2, s15
	s_waitcnt lgkmcnt(0)
	s_bitcmp1_b32 s18, 0
	v_dual_mov_b32 v4, s6 :: v_dual_mov_b32 v5, s7
	s_cselect_b32 s3, -1, 0
	s_delay_alu instid0(SALU_CYCLE_1)
	s_and_b32 vcc_lo, exec_lo, s3
	s_xor_b32 s3, s3, -1
	s_cbranch_vccnz .LBB19_2
; %bb.1:
	v_dual_mov_b32 v1, s6 :: v_dual_mov_b32 v2, s7
	flat_load_b64 v[4:5], v[1:2]
.LBB19_2:
	v_dual_mov_b32 v7, s5 :: v_dual_mov_b32 v6, s4
	s_and_not1_b32 vcc_lo, exec_lo, s3
	s_cbranch_vccnz .LBB19_4
; %bb.3:
	v_dual_mov_b32 v1, s4 :: v_dual_mov_b32 v2, s5
	flat_load_b64 v[6:7], v[1:2]
.LBB19_4:
	s_waitcnt vmcnt(0) lgkmcnt(0)
	v_cmp_neq_f64_e32 vcc_lo, 0, v[4:5]
	v_cmp_neq_f64_e64 s3, 1.0, v[6:7]
	s_mov_b64 s[6:7], 0
	s_delay_alu instid0(VALU_DEP_1) | instskip(NEXT) | instid1(SALU_CYCLE_1)
	s_or_b32 s3, vcc_lo, s3
	s_and_saveexec_b32 s4, s3
	s_cbranch_execz .LBB19_60
; %bb.5:
	s_clause 0x1
	s_load_b128 s[8:11], s[0:1], 0x0
	s_load_b64 s[4:5], s[0:1], 0x28
	s_waitcnt lgkmcnt(0)
	s_cmp_lt_i32 s14, s10
	s_cselect_b32 s33, -1, 0
	s_cmp_ge_i32 s14, s10
	s_cbranch_scc1 .LBB19_7
; %bb.6:
	s_ashr_i32 s15, s14, 31
	s_delay_alu instid0(SALU_CYCLE_1) | instskip(NEXT) | instid1(SALU_CYCLE_1)
	s_lshl_b64 s[6:7], s[14:15], 3
	s_add_u32 s6, s4, s6
	s_addc_u32 s7, s5, s7
	s_load_b64 s[6:7], s[6:7], 0x0
	s_waitcnt lgkmcnt(0)
	s_sub_u32 s6, s6, s17
	s_subb_u32 s7, s7, 0
.LBB19_7:
	s_and_not1_b32 vcc_lo, exec_lo, s33
	s_mov_b64 s[18:19], 0
	s_cbranch_vccnz .LBB19_9
; %bb.8:
	s_ashr_i32 s15, s14, 31
	s_delay_alu instid0(SALU_CYCLE_1) | instskip(NEXT) | instid1(SALU_CYCLE_1)
	s_lshl_b64 s[12:13], s[14:15], 3
	s_add_u32 s4, s4, s12
	s_addc_u32 s5, s5, s13
	s_load_b64 s[4:5], s[4:5], 0x8
	s_waitcnt lgkmcnt(0)
	s_sub_u32 s18, s4, s17
	s_subb_u32 s19, s5, 0
.LBB19_9:
	s_clause 0x1
	s_load_b32 s10, s[0:1], 0x40
	s_load_b64 s[12:13], s[0:1], 0x68
	v_bfe_u32 v13, v0, 10, 10
	s_mov_b32 s28, 0
	s_delay_alu instid0(SALU_CYCLE_1) | instskip(SKIP_1) | instid1(VALU_DEP_1)
	s_mov_b32 s29, s28
	s_mov_b32 s30, s28
	v_lshl_add_u32 v10, s2, 6, v13
	v_cmp_ge_i64_e64 s2, s[6:7], s[18:19]
	s_mov_b32 s31, s28
	v_and_b32_e32 v12, 0x3ff, v0
	v_dual_mov_b32 v0, s28 :: v_dual_mov_b32 v1, s29
	v_dual_mov_b32 v3, s31 :: v_dual_add_nc_u32 v8, 32, v10
	v_mov_b32_e32 v2, s30
	s_and_b32 vcc_lo, exec_lo, s2
	v_cmp_gt_i32_e64 s3, s11, v10
	s_delay_alu instid0(VALU_DEP_3)
	v_cmp_gt_i32_e64 s4, s11, v8
	s_waitcnt lgkmcnt(0)
	v_cmp_gt_i32_e64 s2, s10, v12
	s_cbranch_vccnz .LBB19_37
; %bb.10:
	s_clause 0x1
	s_load_b128 s[20:23], s[0:1], 0x30
	s_load_b128 s[24:27], s[0:1], 0x48
	v_mul_lo_u32 v0, v13, s10
	v_dual_mov_b32 v1, 0 :: v_dual_lshlrev_b32 v16, 5, v13
	v_cmp_gt_i32_e32 vcc_lo, s10, v13
	v_lshlrev_b32_e32 v9, 3, v12
	v_ashrrev_i32_e32 v11, 31, v10
	v_lshl_add_u32 v19, v12, 5, v13
	v_add_lshl_u32 v22, v16, v12, 3
	v_lshlrev_b64 v[2:3], 3, v[0:1]
	v_mul_lo_u32 v0, v12, s10
	s_and_b32 s15, s2, vcc_lo
	s_bitcmp1_b32 s8, 0
	v_lshl_add_u32 v21, v19, 3, 0x4000
	s_cselect_b32 s5, -1, 0
	s_cmp_eq_u32 s9, 0
	s_delay_alu instid0(VALU_DEP_2) | instskip(SKIP_4) | instid1(VALU_DEP_3)
	v_lshlrev_b64 v[0:1], 3, v[0:1]
	s_waitcnt lgkmcnt(0)
	v_add_co_u32 v2, vcc_lo, s22, v2
	v_add_co_ci_u32_e32 v3, vcc_lo, s23, v3, vcc_lo
	v_mul_lo_u32 v23, v10, s27
	v_add_co_u32 v2, vcc_lo, v2, v9
	v_ashrrev_i32_e32 v9, 31, v8
	s_delay_alu instid0(VALU_DEP_4)
	v_add_co_ci_u32_e32 v3, vcc_lo, 0, v3, vcc_lo
	v_mul_lo_u32 v24, v11, s26
	v_mad_u64_u32 v[14:15], null, v10, s26, 0
	v_mul_lo_u32 v25, v8, s27
	v_mul_lo_u32 v26, v9, s26
	v_mad_u64_u32 v[17:18], null, v8, s26, 0
	v_add_co_u32 v0, vcc_lo, s22, v0
	v_lshlrev_b32_e32 v20, 3, v13
	v_add_co_ci_u32_e32 v1, vcc_lo, s23, v1, vcc_lo
	v_add3_u32 v15, v15, v23, v24
	v_add3_u32 v18, v18, v25, v26
	s_delay_alu instid0(VALU_DEP_4) | instskip(NEXT) | instid1(VALU_DEP_4)
	v_add_co_u32 v0, vcc_lo, v0, v20
	v_add_co_ci_u32_e32 v1, vcc_lo, 0, v1, vcc_lo
	v_lshlrev_b32_e32 v24, 8, v13
	s_cselect_b32 vcc_lo, -1, 0
	s_add_i32 s9, s10, -1
	s_and_b32 s8, s10, 7
	s_cmp_gt_u32 s9, 6
	v_cndmask_b32_e32 v23, v3, v1, vcc_lo
	v_dual_cndmask_b32 v25, v2, v0 :: v_dual_mov_b32 v0, s28
	v_mov_b32_e32 v2, s30
	v_lshlrev_b64 v[13:14], 3, v[14:15]
	v_lshlrev_b64 v[15:16], 3, v[10:11]
	;; [unrolled: 1-line block ×4, first 2 shown]
	s_cselect_b32 s9, -1, 0
	s_and_b32 s22, s10, -8
	v_lshl_add_u32 v26, v12, 8, 0x4000
	v_mov_b32_e32 v1, s29
	v_add_nc_u32_e32 v27, 0x2000, v24
	v_mov_b32_e32 v3, s31
	s_cmp_lg_u32 s8, 0
	s_mul_i32 s23, s10, s10
	s_cselect_b32 s28, -1, 0
	s_branch .LBB19_13
.LBB19_11:                              ;   in Loop: Header=BB19_13 Depth=1
	s_or_b32 exec_lo, exec_lo, s30
.LBB19_12:                              ;   in Loop: Header=BB19_13 Depth=1
	s_delay_alu instid0(SALU_CYCLE_1) | instskip(SKIP_2) | instid1(SALU_CYCLE_1)
	s_or_b32 exec_lo, exec_lo, s29
	s_add_u32 s6, s6, 1
	s_addc_u32 s7, s7, 0
	v_cmp_ge_i64_e64 s29, s[6:7], s[18:19]
	s_barrier
	buffer_gl0_inv
	s_and_b32 vcc_lo, exec_lo, s29
	s_cbranch_vccnz .LBB19_37
.LBB19_13:                              ; =>This Loop Header: Depth=1
                                        ;     Child Loop BB19_24 Depth 2
                                        ;     Child Loop BB19_28 Depth 2
                                        ;     Child Loop BB19_32 Depth 2
                                        ;     Child Loop BB19_36 Depth 2
	s_and_saveexec_b32 s29, s2
	s_cbranch_execz .LBB19_18
; %bb.14:                               ;   in Loop: Header=BB19_13 Depth=1
	s_lshl_b64 s[30:31], s[6:7], 2
	s_delay_alu instid0(SALU_CYCLE_1) | instskip(SKIP_4) | instid1(SALU_CYCLE_1)
	s_add_u32 s30, s20, s30
	s_addc_u32 s31, s21, s31
	s_load_b32 s30, s[30:31], 0x0
	s_waitcnt lgkmcnt(0)
	s_sub_i32 s30, s30, s17
	v_mad_u64_u32 v[28:29], null, s30, s10, v[12:13]
	s_delay_alu instid0(VALU_DEP_1) | instskip(SKIP_2) | instid1(VALU_DEP_3)
	v_ashrrev_i32_e32 v29, 31, v28
	v_mul_lo_u32 v9, v28, s27
	v_mad_u64_u32 v[30:31], null, v28, s26, 0
	v_mul_lo_u32 v11, v29, s26
	v_lshlrev_b64 v[28:29], 3, v[28:29]
	s_delay_alu instid0(VALU_DEP_2) | instskip(NEXT) | instid1(VALU_DEP_1)
	v_add3_u32 v31, v31, v9, v11
	v_lshlrev_b64 v[30:31], 3, v[30:31]
	s_delay_alu instid0(VALU_DEP_1) | instskip(NEXT) | instid1(VALU_DEP_2)
	v_add_co_u32 v9, vcc_lo, s24, v30
	v_add_co_ci_u32_e32 v11, vcc_lo, s25, v31, vcc_lo
	v_add_co_u32 v28, vcc_lo, s24, v28
	v_add_co_ci_u32_e32 v29, vcc_lo, s25, v29, vcc_lo
	s_and_saveexec_b32 s30, s3
	s_cbranch_execz .LBB19_16
; %bb.15:                               ;   in Loop: Header=BB19_13 Depth=1
	s_delay_alu instid0(VALU_DEP_2) | instskip(NEXT) | instid1(VALU_DEP_2)
	v_add_co_u32 v30, vcc_lo, v28, v13
	v_add_co_ci_u32_e32 v31, vcc_lo, v29, v14, vcc_lo
	v_add_co_u32 v32, vcc_lo, v9, v15
	v_add_co_ci_u32_e32 v33, vcc_lo, v11, v16, vcc_lo
	s_delay_alu instid0(VALU_DEP_2) | instskip(NEXT) | instid1(VALU_DEP_2)
	v_cndmask_b32_e64 v30, v32, v30, s5
	v_cndmask_b32_e64 v31, v33, v31, s5
	global_load_b64 v[30:31], v[30:31], off
	s_waitcnt vmcnt(0)
	ds_store_b64 v22, v[30:31]
.LBB19_16:                              ;   in Loop: Header=BB19_13 Depth=1
	s_or_b32 exec_lo, exec_lo, s30
	s_delay_alu instid0(SALU_CYCLE_1)
	s_and_b32 exec_lo, exec_lo, s4
	s_cbranch_execz .LBB19_18
; %bb.17:                               ;   in Loop: Header=BB19_13 Depth=1
	v_add_co_u32 v28, vcc_lo, v28, v17
	v_add_co_ci_u32_e32 v29, vcc_lo, v29, v18, vcc_lo
	v_add_co_u32 v9, vcc_lo, v9, v19
	v_add_co_ci_u32_e32 v11, vcc_lo, v11, v20, vcc_lo
	s_delay_alu instid0(VALU_DEP_2) | instskip(NEXT) | instid1(VALU_DEP_2)
	v_cndmask_b32_e64 v28, v9, v28, s5
	v_cndmask_b32_e64 v29, v11, v29, s5
	global_load_b64 v[28:29], v[28:29], off
	s_waitcnt vmcnt(0)
	ds_store_b64 v22, v[28:29] offset:8192
.LBB19_18:                              ;   in Loop: Header=BB19_13 Depth=1
	s_or_b32 exec_lo, exec_lo, s29
	s_and_saveexec_b32 s29, s15
	s_cbranch_execz .LBB19_20
; %bb.19:                               ;   in Loop: Header=BB19_13 Depth=1
	s_mul_i32 s31, s7, s23
	s_mul_hi_u32 s34, s6, s23
	s_mul_i32 s30, s6, s23
	s_add_i32 s31, s34, s31
	s_delay_alu instid0(SALU_CYCLE_1) | instskip(NEXT) | instid1(SALU_CYCLE_1)
	s_lshl_b64 s[30:31], s[30:31], 3
	v_add_co_u32 v28, vcc_lo, v25, s30
	v_add_co_ci_u32_e32 v29, vcc_lo, s31, v23, vcc_lo
	global_load_b64 v[28:29], v[28:29], off
	s_waitcnt vmcnt(0)
	ds_store_b64 v21, v[28:29]
.LBB19_20:                              ;   in Loop: Header=BB19_13 Depth=1
	s_or_b32 exec_lo, exec_lo, s29
	s_waitcnt lgkmcnt(0)
	s_barrier
	buffer_gl0_inv
	s_and_saveexec_b32 s29, s2
	s_cbranch_execz .LBB19_12
; %bb.21:                               ;   in Loop: Header=BB19_13 Depth=1
	s_and_saveexec_b32 s30, s3
	s_cbranch_execz .LBB19_29
; %bb.22:                               ;   in Loop: Header=BB19_13 Depth=1
	s_and_not1_b32 vcc_lo, exec_lo, s9
	s_cbranch_vccnz .LBB19_26
; %bb.23:                               ;   in Loop: Header=BB19_13 Depth=1
	v_mov_b32_e32 v9, v26
	v_mov_b32_e32 v11, v24
	s_mov_b32 s31, 0
	s_set_inst_prefetch_distance 0x1
	.p2align	6
.LBB19_24:                              ;   Parent Loop BB19_13 Depth=1
                                        ; =>  This Inner Loop Header: Depth=2
	ds_load_b128 v[28:31], v11
	ds_load_b128 v[32:35], v9
	ds_load_b128 v[36:39], v9 offset:16
	ds_load_b128 v[40:43], v11 offset:16
	s_add_i32 s31, s31, 8
	s_delay_alu instid0(SALU_CYCLE_1) | instskip(SKIP_2) | instid1(VALU_DEP_1)
	s_cmp_lg_u32 s22, s31
	s_waitcnt lgkmcnt(2)
	v_fma_f64 v[0:1], v[32:33], v[28:29], v[0:1]
	v_fma_f64 v[0:1], v[34:35], v[30:31], v[0:1]
	s_waitcnt lgkmcnt(0)
	s_delay_alu instid0(VALU_DEP_1) | instskip(NEXT) | instid1(VALU_DEP_1)
	v_fma_f64 v[0:1], v[36:37], v[40:41], v[0:1]
	v_fma_f64 v[0:1], v[38:39], v[42:43], v[0:1]
	ds_load_b128 v[28:31], v11 offset:32
	ds_load_b128 v[32:35], v9 offset:32
	;; [unrolled: 1-line block ×4, first 2 shown]
	v_add_nc_u32_e32 v11, 64, v11
	v_add_nc_u32_e32 v9, 64, v9
	s_waitcnt lgkmcnt(2)
	v_fma_f64 v[0:1], v[32:33], v[28:29], v[0:1]
	s_delay_alu instid0(VALU_DEP_1) | instskip(SKIP_1) | instid1(VALU_DEP_1)
	v_fma_f64 v[0:1], v[34:35], v[30:31], v[0:1]
	s_waitcnt lgkmcnt(0)
	v_fma_f64 v[0:1], v[36:37], v[40:41], v[0:1]
	s_delay_alu instid0(VALU_DEP_1)
	v_fma_f64 v[0:1], v[38:39], v[42:43], v[0:1]
	s_cbranch_scc1 .LBB19_24
; %bb.25:                               ;   in Loop: Header=BB19_13 Depth=1
	s_set_inst_prefetch_distance 0x2
	s_mov_b32 s31, s22
	s_and_not1_b32 vcc_lo, exec_lo, s28
	s_cbranch_vccz .LBB19_27
	s_branch .LBB19_29
.LBB19_26:                              ;   in Loop: Header=BB19_13 Depth=1
	s_mov_b32 s31, 0
	s_and_not1_b32 vcc_lo, exec_lo, s28
	s_cbranch_vccnz .LBB19_29
.LBB19_27:                              ;   in Loop: Header=BB19_13 Depth=1
	s_lshl_b32 s31, s31, 3
	s_delay_alu instid0(SALU_CYCLE_1)
	v_add_nc_u32_e32 v9, s31, v24
	v_add_nc_u32_e32 v11, s31, v26
	s_mov_b32 s31, s8
.LBB19_28:                              ;   Parent Loop BB19_13 Depth=1
                                        ; =>  This Inner Loop Header: Depth=2
	ds_load_b64 v[28:29], v11
	ds_load_b64 v[30:31], v9
	v_add_nc_u32_e32 v9, 8, v9
	v_add_nc_u32_e32 v11, 8, v11
	s_add_i32 s31, s31, -1
	s_delay_alu instid0(SALU_CYCLE_1)
	s_cmp_lg_u32 s31, 0
	s_waitcnt lgkmcnt(0)
	v_fma_f64 v[0:1], v[28:29], v[30:31], v[0:1]
	s_cbranch_scc1 .LBB19_28
.LBB19_29:                              ;   in Loop: Header=BB19_13 Depth=1
	s_or_b32 exec_lo, exec_lo, s30
	s_and_saveexec_b32 s30, s4
	s_cbranch_execz .LBB19_11
; %bb.30:                               ;   in Loop: Header=BB19_13 Depth=1
	s_and_not1_b32 vcc_lo, exec_lo, s9
	s_cbranch_vccnz .LBB19_34
; %bb.31:                               ;   in Loop: Header=BB19_13 Depth=1
	v_mov_b32_e32 v9, v26
	v_mov_b32_e32 v11, v27
	s_mov_b32 s31, 0
	s_set_inst_prefetch_distance 0x1
	.p2align	6
.LBB19_32:                              ;   Parent Loop BB19_13 Depth=1
                                        ; =>  This Inner Loop Header: Depth=2
	ds_load_b128 v[28:31], v11
	ds_load_b128 v[32:35], v9
	ds_load_b128 v[36:39], v9 offset:16
	ds_load_b128 v[40:43], v11 offset:16
	s_add_i32 s31, s31, 8
	s_delay_alu instid0(SALU_CYCLE_1) | instskip(SKIP_2) | instid1(VALU_DEP_1)
	s_cmp_lg_u32 s22, s31
	s_waitcnt lgkmcnt(2)
	v_fma_f64 v[2:3], v[32:33], v[28:29], v[2:3]
	v_fma_f64 v[2:3], v[34:35], v[30:31], v[2:3]
	s_waitcnt lgkmcnt(0)
	s_delay_alu instid0(VALU_DEP_1) | instskip(NEXT) | instid1(VALU_DEP_1)
	v_fma_f64 v[2:3], v[36:37], v[40:41], v[2:3]
	v_fma_f64 v[2:3], v[38:39], v[42:43], v[2:3]
	ds_load_b128 v[28:31], v11 offset:32
	ds_load_b128 v[32:35], v9 offset:32
	;; [unrolled: 1-line block ×4, first 2 shown]
	v_add_nc_u32_e32 v11, 64, v11
	v_add_nc_u32_e32 v9, 64, v9
	s_waitcnt lgkmcnt(2)
	v_fma_f64 v[2:3], v[32:33], v[28:29], v[2:3]
	s_delay_alu instid0(VALU_DEP_1) | instskip(SKIP_1) | instid1(VALU_DEP_1)
	v_fma_f64 v[2:3], v[34:35], v[30:31], v[2:3]
	s_waitcnt lgkmcnt(0)
	v_fma_f64 v[2:3], v[36:37], v[40:41], v[2:3]
	s_delay_alu instid0(VALU_DEP_1)
	v_fma_f64 v[2:3], v[38:39], v[42:43], v[2:3]
	s_cbranch_scc1 .LBB19_32
; %bb.33:                               ;   in Loop: Header=BB19_13 Depth=1
	s_set_inst_prefetch_distance 0x2
	s_mov_b32 s31, s22
	s_and_not1_b32 vcc_lo, exec_lo, s28
	s_cbranch_vccz .LBB19_35
	s_branch .LBB19_11
.LBB19_34:                              ;   in Loop: Header=BB19_13 Depth=1
	s_mov_b32 s31, 0
	s_and_not1_b32 vcc_lo, exec_lo, s28
	s_cbranch_vccnz .LBB19_11
.LBB19_35:                              ;   in Loop: Header=BB19_13 Depth=1
	s_lshl_b32 s31, s31, 3
	s_delay_alu instid0(SALU_CYCLE_1)
	v_add_nc_u32_e32 v9, s31, v27
	v_add_nc_u32_e32 v11, s31, v26
	s_mov_b32 s31, s8
.LBB19_36:                              ;   Parent Loop BB19_13 Depth=1
                                        ; =>  This Inner Loop Header: Depth=2
	ds_load_b64 v[28:29], v11
	ds_load_b64 v[30:31], v9
	v_add_nc_u32_e32 v9, 8, v9
	v_add_nc_u32_e32 v11, 8, v11
	s_add_i32 s31, s31, -1
	s_delay_alu instid0(SALU_CYCLE_1)
	s_cmp_lg_u32 s31, 0
	s_waitcnt lgkmcnt(0)
	v_fma_f64 v[2:3], v[28:29], v[30:31], v[2:3]
	s_cbranch_scc1 .LBB19_36
	s_branch .LBB19_11
.LBB19_37:
	s_delay_alu instid0(VALU_DEP_1) | instskip(NEXT) | instid1(SALU_CYCLE_1)
	s_and_b32 s2, s33, s2
	s_and_b32 exec_lo, exec_lo, s2
	s_cbranch_execz .LBB19_60
; %bb.38:
	s_load_b64 s[2:3], s[0:1], 0x70
	v_mad_u64_u32 v[13:14], null, s14, s10, v[12:13]
	v_cmp_neq_f64_e64 s0, 0, v[6:7]
	s_cmp_lg_u32 s16, 1
	s_mov_b32 s4, exec_lo
	s_cselect_b32 s1, -1, 0
	s_delay_alu instid0(VALU_DEP_2) | instskip(SKIP_1) | instid1(VALU_DEP_1)
	v_ashrrev_i32_e32 v14, 31, v13
	s_waitcnt lgkmcnt(0)
	v_mul_lo_u32 v9, v14, s2
	v_mul_lo_u32 v15, v13, s3
	v_mad_u64_u32 v[11:12], null, v13, s2, 0
	v_lshlrev_b64 v[13:14], 3, v[13:14]
	s_delay_alu instid0(VALU_DEP_2) | instskip(NEXT) | instid1(VALU_DEP_1)
	v_add3_u32 v12, v12, v15, v9
	v_lshlrev_b64 v[15:16], 3, v[11:12]
	s_delay_alu instid0(VALU_DEP_3) | instskip(NEXT) | instid1(VALU_DEP_4)
	v_add_co_u32 v12, vcc_lo, s12, v13
	v_add_co_ci_u32_e32 v13, vcc_lo, s13, v14, vcc_lo
	s_delay_alu instid0(VALU_DEP_3) | instskip(NEXT) | instid1(VALU_DEP_4)
	v_add_co_u32 v14, vcc_lo, s12, v15
	v_add_co_ci_u32_e32 v15, vcc_lo, s13, v16, vcc_lo
	v_cmpx_gt_i32_e64 s11, v10
	s_cbranch_execz .LBB19_49
; %bb.39:
	s_and_saveexec_b32 s5, s0
	s_delay_alu instid0(SALU_CYCLE_1)
	s_xor_b32 s5, exec_lo, s5
	s_cbranch_execz .LBB19_44
; %bb.40:
	v_ashrrev_i32_e32 v11, 31, v10
	s_and_b32 vcc_lo, exec_lo, s1
	s_mov_b32 s6, -1
	s_cbranch_vccz .LBB19_42
; %bb.41:
	s_delay_alu instid0(VALU_DEP_1) | instskip(SKIP_2) | instid1(VALU_DEP_2)
	v_lshlrev_b64 v[16:17], 3, v[10:11]
	v_mul_f64 v[20:21], v[4:5], v[0:1]
	s_mov_b32 s6, 0
	v_add_co_u32 v16, vcc_lo, v14, v16
	s_delay_alu instid0(VALU_DEP_3)
	v_add_co_ci_u32_e32 v17, vcc_lo, v15, v17, vcc_lo
	global_load_b64 v[18:19], v[16:17], off
	s_waitcnt vmcnt(0)
	v_fma_f64 v[18:19], v[6:7], v[18:19], v[20:21]
	global_store_b64 v[16:17], v[18:19], off
.LBB19_42:
	s_and_not1_b32 vcc_lo, exec_lo, s6
	s_cbranch_vccnz .LBB19_44
; %bb.43:
	v_mul_lo_u32 v9, v11, s2
	v_mul_lo_u32 v11, v10, s3
	v_mad_u64_u32 v[16:17], null, v10, s2, 0
	v_mul_f64 v[18:19], v[4:5], v[0:1]
	s_delay_alu instid0(VALU_DEP_2) | instskip(NEXT) | instid1(VALU_DEP_1)
	v_add3_u32 v17, v17, v11, v9
	v_lshlrev_b64 v[9:10], 3, v[16:17]
	s_delay_alu instid0(VALU_DEP_1) | instskip(NEXT) | instid1(VALU_DEP_2)
	v_add_co_u32 v9, vcc_lo, v12, v9
	v_add_co_ci_u32_e32 v10, vcc_lo, v13, v10, vcc_lo
	global_load_b64 v[16:17], v[9:10], off
	s_waitcnt vmcnt(0)
	v_fma_f64 v[16:17], v[6:7], v[16:17], v[18:19]
	global_store_b64 v[9:10], v[16:17], off
                                        ; implicit-def: $vgpr10
.LBB19_44:
	s_and_not1_saveexec_b32 s5, s5
	s_cbranch_execz .LBB19_49
; %bb.45:
	v_mul_f64 v[0:1], v[4:5], v[0:1]
	v_ashrrev_i32_e32 v11, 31, v10
	s_and_b32 vcc_lo, exec_lo, s1
	s_mov_b32 s5, -1
	s_cbranch_vccz .LBB19_47
; %bb.46:
	s_delay_alu instid0(VALU_DEP_1) | instskip(SKIP_1) | instid1(VALU_DEP_1)
	v_lshlrev_b64 v[16:17], 3, v[10:11]
	s_mov_b32 s5, 0
	v_add_co_u32 v16, vcc_lo, v14, v16
	s_delay_alu instid0(VALU_DEP_2)
	v_add_co_ci_u32_e32 v17, vcc_lo, v15, v17, vcc_lo
	global_store_b64 v[16:17], v[0:1], off
.LBB19_47:
	s_and_not1_b32 vcc_lo, exec_lo, s5
	s_cbranch_vccnz .LBB19_49
; %bb.48:
	v_mul_lo_u32 v9, v11, s2
	v_mul_lo_u32 v11, v10, s3
	v_mad_u64_u32 v[16:17], null, v10, s2, 0
	s_delay_alu instid0(VALU_DEP_1) | instskip(NEXT) | instid1(VALU_DEP_1)
	v_add3_u32 v17, v17, v11, v9
	v_lshlrev_b64 v[9:10], 3, v[16:17]
	s_delay_alu instid0(VALU_DEP_1) | instskip(NEXT) | instid1(VALU_DEP_2)
	v_add_co_u32 v9, vcc_lo, v12, v9
	v_add_co_ci_u32_e32 v10, vcc_lo, v13, v10, vcc_lo
	global_store_b64 v[9:10], v[0:1], off
.LBB19_49:
	s_or_b32 exec_lo, exec_lo, s4
	v_cmp_gt_i32_e32 vcc_lo, s11, v8
	s_and_b32 exec_lo, exec_lo, vcc_lo
	s_cbranch_execz .LBB19_60
; %bb.50:
	s_and_saveexec_b32 s4, s0
	s_delay_alu instid0(SALU_CYCLE_1)
	s_xor_b32 s0, exec_lo, s4
	s_cbranch_execz .LBB19_55
; %bb.51:
	v_ashrrev_i32_e32 v9, 31, v8
	s_and_not1_b32 vcc_lo, exec_lo, s1
	s_mov_b32 s4, -1
	s_cbranch_vccnz .LBB19_53
; %bb.52:
	s_delay_alu instid0(VALU_DEP_1) | instskip(SKIP_1) | instid1(VALU_DEP_1)
	v_lshlrev_b64 v[0:1], 3, v[8:9]
	s_mov_b32 s4, 0
	v_add_co_u32 v0, vcc_lo, v14, v0
	s_delay_alu instid0(VALU_DEP_2)
	v_add_co_ci_u32_e32 v1, vcc_lo, v15, v1, vcc_lo
	v_mul_f64 v[14:15], v[4:5], v[2:3]
	global_load_b64 v[10:11], v[0:1], off
	s_waitcnt vmcnt(0)
	v_fma_f64 v[10:11], v[6:7], v[10:11], v[14:15]
	global_store_b64 v[0:1], v[10:11], off
.LBB19_53:
	s_and_not1_b32 vcc_lo, exec_lo, s4
                                        ; implicit-def: $vgpr14
                                        ; implicit-def: $vgpr15
	s_cbranch_vccnz .LBB19_55
; %bb.54:
	v_mul_lo_u32 v9, v9, s2
	v_mul_lo_u32 v10, v8, s3
	v_mad_u64_u32 v[0:1], null, v8, s2, 0
	v_mul_f64 v[2:3], v[4:5], v[2:3]
                                        ; implicit-def: $vgpr4_vgpr5
                                        ; implicit-def: $vgpr14
                                        ; implicit-def: $vgpr15
	s_delay_alu instid0(VALU_DEP_2) | instskip(NEXT) | instid1(VALU_DEP_1)
	v_add3_u32 v1, v1, v10, v9
	v_lshlrev_b64 v[0:1], 3, v[0:1]
	s_delay_alu instid0(VALU_DEP_1) | instskip(NEXT) | instid1(VALU_DEP_2)
	v_add_co_u32 v0, vcc_lo, v12, v0
	v_add_co_ci_u32_e32 v1, vcc_lo, v13, v1, vcc_lo
                                        ; implicit-def: $vgpr12
                                        ; implicit-def: $vgpr13
	global_load_b64 v[8:9], v[0:1], off
	s_waitcnt vmcnt(0)
	v_fma_f64 v[2:3], v[6:7], v[8:9], v[2:3]
                                        ; implicit-def: $vgpr8
	global_store_b64 v[0:1], v[2:3], off
                                        ; implicit-def: $vgpr0_vgpr1_vgpr2_vgpr3
.LBB19_55:
	s_and_not1_saveexec_b32 s0, s0
	s_cbranch_execz .LBB19_60
; %bb.56:
	v_mul_f64 v[0:1], v[4:5], v[2:3]
	v_ashrrev_i32_e32 v9, 31, v8
	s_and_not1_b32 vcc_lo, exec_lo, s1
	s_mov_b32 s0, -1
	s_cbranch_vccnz .LBB19_58
; %bb.57:
	s_delay_alu instid0(VALU_DEP_1) | instskip(SKIP_1) | instid1(VALU_DEP_1)
	v_lshlrev_b64 v[2:3], 3, v[8:9]
	s_mov_b32 s0, 0
	v_add_co_u32 v2, vcc_lo, v14, v2
	s_delay_alu instid0(VALU_DEP_2)
	v_add_co_ci_u32_e32 v3, vcc_lo, v15, v3, vcc_lo
	global_store_b64 v[2:3], v[0:1], off
.LBB19_58:
	s_and_not1_b32 vcc_lo, exec_lo, s0
	s_cbranch_vccnz .LBB19_60
; %bb.59:
	v_mul_lo_u32 v4, v9, s2
	v_mul_lo_u32 v5, v8, s3
	v_mad_u64_u32 v[2:3], null, v8, s2, 0
	s_delay_alu instid0(VALU_DEP_1) | instskip(NEXT) | instid1(VALU_DEP_1)
	v_add3_u32 v3, v3, v5, v4
	v_lshlrev_b64 v[2:3], 3, v[2:3]
	s_delay_alu instid0(VALU_DEP_1) | instskip(NEXT) | instid1(VALU_DEP_2)
	v_add_co_u32 v2, vcc_lo, v12, v2
	v_add_co_ci_u32_e32 v3, vcc_lo, v13, v3, vcc_lo
	global_store_b64 v[2:3], v[0:1], off
.LBB19_60:
	s_nop 0
	s_sendmsg sendmsg(MSG_DEALLOC_VGPRS)
	s_endpgm
	.section	.rodata,"a",@progbits
	.p2align	6, 0x0
	.amdhsa_kernel _ZN9rocsparseL31bsrmm_large_blockdim_kernel_extILj32ELj32ELj2EliddddEEvb20rocsparse_direction_T3_S2_llNS_24const_host_device_scalarIT7_EEPKT2_PKS2_PKT4_S2_PKT5_llS5_PT6_ll16rocsparse_order_21rocsparse_index_base_b
		.amdhsa_group_segment_fixed_size 24576
		.amdhsa_private_segment_fixed_size 0
		.amdhsa_kernarg_size 140
		.amdhsa_user_sgpr_count 14
		.amdhsa_user_sgpr_dispatch_ptr 0
		.amdhsa_user_sgpr_queue_ptr 0
		.amdhsa_user_sgpr_kernarg_segment_ptr 1
		.amdhsa_user_sgpr_dispatch_id 0
		.amdhsa_user_sgpr_private_segment_size 0
		.amdhsa_wavefront_size32 1
		.amdhsa_uses_dynamic_stack 0
		.amdhsa_enable_private_segment 0
		.amdhsa_system_sgpr_workgroup_id_x 1
		.amdhsa_system_sgpr_workgroup_id_y 1
		.amdhsa_system_sgpr_workgroup_id_z 0
		.amdhsa_system_sgpr_workgroup_info 0
		.amdhsa_system_vgpr_workitem_id 1
		.amdhsa_next_free_vgpr 44
		.amdhsa_next_free_sgpr 35
		.amdhsa_reserve_vcc 1
		.amdhsa_float_round_mode_32 0
		.amdhsa_float_round_mode_16_64 0
		.amdhsa_float_denorm_mode_32 3
		.amdhsa_float_denorm_mode_16_64 3
		.amdhsa_dx10_clamp 1
		.amdhsa_ieee_mode 1
		.amdhsa_fp16_overflow 0
		.amdhsa_workgroup_processor_mode 1
		.amdhsa_memory_ordered 1
		.amdhsa_forward_progress 0
		.amdhsa_shared_vgpr_count 0
		.amdhsa_exception_fp_ieee_invalid_op 0
		.amdhsa_exception_fp_denorm_src 0
		.amdhsa_exception_fp_ieee_div_zero 0
		.amdhsa_exception_fp_ieee_overflow 0
		.amdhsa_exception_fp_ieee_underflow 0
		.amdhsa_exception_fp_ieee_inexact 0
		.amdhsa_exception_int_div_zero 0
	.end_amdhsa_kernel
	.section	.text._ZN9rocsparseL31bsrmm_large_blockdim_kernel_extILj32ELj32ELj2EliddddEEvb20rocsparse_direction_T3_S2_llNS_24const_host_device_scalarIT7_EEPKT2_PKS2_PKT4_S2_PKT5_llS5_PT6_ll16rocsparse_order_21rocsparse_index_base_b,"axG",@progbits,_ZN9rocsparseL31bsrmm_large_blockdim_kernel_extILj32ELj32ELj2EliddddEEvb20rocsparse_direction_T3_S2_llNS_24const_host_device_scalarIT7_EEPKT2_PKS2_PKT4_S2_PKT5_llS5_PT6_ll16rocsparse_order_21rocsparse_index_base_b,comdat
.Lfunc_end19:
	.size	_ZN9rocsparseL31bsrmm_large_blockdim_kernel_extILj32ELj32ELj2EliddddEEvb20rocsparse_direction_T3_S2_llNS_24const_host_device_scalarIT7_EEPKT2_PKS2_PKT4_S2_PKT5_llS5_PT6_ll16rocsparse_order_21rocsparse_index_base_b, .Lfunc_end19-_ZN9rocsparseL31bsrmm_large_blockdim_kernel_extILj32ELj32ELj2EliddddEEvb20rocsparse_direction_T3_S2_llNS_24const_host_device_scalarIT7_EEPKT2_PKS2_PKT4_S2_PKT5_llS5_PT6_ll16rocsparse_order_21rocsparse_index_base_b
                                        ; -- End function
	.section	.AMDGPU.csdata,"",@progbits
; Kernel info:
; codeLenInByte = 2756
; NumSgprs: 37
; NumVgprs: 44
; ScratchSize: 0
; MemoryBound: 0
; FloatMode: 240
; IeeeMode: 1
; LDSByteSize: 24576 bytes/workgroup (compile time only)
; SGPRBlocks: 4
; VGPRBlocks: 5
; NumSGPRsForWavesPerEU: 37
; NumVGPRsForWavesPerEU: 44
; Occupancy: 16
; WaveLimiterHint : 1
; COMPUTE_PGM_RSRC2:SCRATCH_EN: 0
; COMPUTE_PGM_RSRC2:USER_SGPR: 14
; COMPUTE_PGM_RSRC2:TRAP_HANDLER: 0
; COMPUTE_PGM_RSRC2:TGID_X_EN: 1
; COMPUTE_PGM_RSRC2:TGID_Y_EN: 1
; COMPUTE_PGM_RSRC2:TGID_Z_EN: 0
; COMPUTE_PGM_RSRC2:TIDIG_COMP_CNT: 1
	.section	.text._ZN9rocsparseL31bsrmm_large_blockdim_kernel_extILj8ELj8ELj2EllddddEEvb20rocsparse_direction_T3_S2_llNS_24const_host_device_scalarIT7_EEPKT2_PKS2_PKT4_S2_PKT5_llS5_PT6_ll16rocsparse_order_21rocsparse_index_base_b,"axG",@progbits,_ZN9rocsparseL31bsrmm_large_blockdim_kernel_extILj8ELj8ELj2EllddddEEvb20rocsparse_direction_T3_S2_llNS_24const_host_device_scalarIT7_EEPKT2_PKS2_PKT4_S2_PKT5_llS5_PT6_ll16rocsparse_order_21rocsparse_index_base_b,comdat
	.globl	_ZN9rocsparseL31bsrmm_large_blockdim_kernel_extILj8ELj8ELj2EllddddEEvb20rocsparse_direction_T3_S2_llNS_24const_host_device_scalarIT7_EEPKT2_PKS2_PKT4_S2_PKT5_llS5_PT6_ll16rocsparse_order_21rocsparse_index_base_b ; -- Begin function _ZN9rocsparseL31bsrmm_large_blockdim_kernel_extILj8ELj8ELj2EllddddEEvb20rocsparse_direction_T3_S2_llNS_24const_host_device_scalarIT7_EEPKT2_PKS2_PKT4_S2_PKT5_llS5_PT6_ll16rocsparse_order_21rocsparse_index_base_b
	.p2align	8
	.type	_ZN9rocsparseL31bsrmm_large_blockdim_kernel_extILj8ELj8ELj2EllddddEEvb20rocsparse_direction_T3_S2_llNS_24const_host_device_scalarIT7_EEPKT2_PKS2_PKT4_S2_PKT5_llS5_PT6_ll16rocsparse_order_21rocsparse_index_base_b,@function
_ZN9rocsparseL31bsrmm_large_blockdim_kernel_extILj8ELj8ELj2EllddddEEvb20rocsparse_direction_T3_S2_llNS_24const_host_device_scalarIT7_EEPKT2_PKS2_PKT4_S2_PKT5_llS5_PT6_ll16rocsparse_order_21rocsparse_index_base_b: ; @_ZN9rocsparseL31bsrmm_large_blockdim_kernel_extILj8ELj8ELj2EllddddEEvb20rocsparse_direction_T3_S2_llNS_24const_host_device_scalarIT7_EEPKT2_PKS2_PKT4_S2_PKT5_llS5_PT6_ll16rocsparse_order_21rocsparse_index_base_b
; %bb.0:
	s_clause 0x2
	s_load_b128 s[8:11], s[0:1], 0x88
	s_load_b64 s[6:7], s[0:1], 0x28
	s_load_b64 s[4:5], s[0:1], 0x68
	s_mov_b32 s2, s15
	s_waitcnt lgkmcnt(0)
	s_bitcmp1_b32 s10, 0
	v_dual_mov_b32 v4, s6 :: v_dual_mov_b32 v5, s7
	s_cselect_b32 s3, -1, 0
	s_delay_alu instid0(SALU_CYCLE_1)
	s_and_b32 vcc_lo, exec_lo, s3
	s_xor_b32 s3, s3, -1
	s_cbranch_vccnz .LBB20_2
; %bb.1:
	v_dual_mov_b32 v1, s6 :: v_dual_mov_b32 v2, s7
	flat_load_b64 v[4:5], v[1:2]
.LBB20_2:
	v_dual_mov_b32 v7, s5 :: v_dual_mov_b32 v6, s4
	s_and_not1_b32 vcc_lo, exec_lo, s3
	s_cbranch_vccnz .LBB20_4
; %bb.3:
	v_dual_mov_b32 v1, s4 :: v_dual_mov_b32 v2, s5
	flat_load_b64 v[6:7], v[1:2]
.LBB20_4:
	s_waitcnt vmcnt(0) lgkmcnt(0)
	v_cmp_neq_f64_e32 vcc_lo, 0, v[4:5]
	v_cmp_neq_f64_e64 s3, 1.0, v[6:7]
	s_mov_b64 s[10:11], 0
	s_delay_alu instid0(VALU_DEP_1) | instskip(NEXT) | instid1(SALU_CYCLE_1)
	s_or_b32 s3, vcc_lo, s3
	s_and_saveexec_b32 s4, s3
	s_cbranch_execz .LBB20_60
; %bb.5:
	s_clause 0x1
	s_load_b128 s[4:7], s[0:1], 0x8
	s_load_b64 s[12:13], s[0:1], 0x30
	s_ashr_i32 s15, s14, 31
	s_waitcnt lgkmcnt(0)
	v_cmp_ge_i64_e64 s3, s[14:15], s[4:5]
	v_cmp_lt_i64_e64 s33, s[14:15], s[4:5]
	s_delay_alu instid0(VALU_DEP_2)
	s_and_b32 vcc_lo, exec_lo, s3
	s_cbranch_vccnz .LBB20_7
; %bb.6:
	s_lshl_b64 s[4:5], s[14:15], 3
	s_delay_alu instid0(SALU_CYCLE_1)
	s_add_u32 s4, s12, s4
	s_addc_u32 s5, s13, s5
	s_load_b64 s[4:5], s[4:5], 0x0
	s_waitcnt lgkmcnt(0)
	s_sub_u32 s10, s4, s9
	s_subb_u32 s11, s5, 0
.LBB20_7:
	s_delay_alu instid0(VALU_DEP_1)
	s_and_not1_b32 vcc_lo, exec_lo, s33
	s_mov_b64 s[30:31], 0
	s_cbranch_vccnz .LBB20_9
; %bb.8:
	s_lshl_b64 s[4:5], s[14:15], 3
	s_delay_alu instid0(SALU_CYCLE_1)
	s_add_u32 s4, s12, s4
	s_addc_u32 s5, s13, s5
	s_load_b64 s[4:5], s[4:5], 0x8
	s_waitcnt lgkmcnt(0)
	s_sub_u32 s30, s4, s9
	s_subb_u32 s31, s5, 0
.LBB20_9:
	s_clause 0x1
	s_load_b64 s[28:29], s[0:1], 0x48
	s_load_b64 s[12:13], s[0:1], 0x70
	v_bfe_u32 v14, v0, 10, 10
	v_dual_mov_b32 v11, 0 :: v_dual_and_b32 v12, 0x3ff, v0
	s_mov_b32 s24, 0
	v_cmp_ge_i64_e64 s3, s[10:11], s[30:31]
	s_delay_alu instid0(VALU_DEP_3)
	v_lshl_add_u32 v10, s2, 4, v14
	s_mov_b32 s25, s24
	s_mov_b32 s26, s24
	v_mov_b32_e32 v9, v11
	s_mov_b32 s27, s24
	v_dual_mov_b32 v13, v11 :: v_dual_add_nc_u32 v8, 8, v10
	v_mov_b32_e32 v0, s24
	s_and_b32 vcc_lo, exec_lo, s3
	v_cmp_gt_i64_e64 s3, s[6:7], v[10:11]
	s_delay_alu instid0(VALU_DEP_3)
	v_cmp_gt_i64_e64 s4, s[6:7], v[8:9]
	v_dual_mov_b32 v1, s25 :: v_dual_mov_b32 v2, s26
	s_waitcnt lgkmcnt(0)
	v_cmp_gt_i64_e64 s2, s[28:29], v[12:13]
	v_mov_b32_e32 v3, s27
	s_cbranch_vccnz .LBB20_37
; %bb.10:
	v_mad_u64_u32 v[0:1], null, v14, s28, 0
	v_mad_u64_u32 v[2:3], null, v12, s28, 0
	v_dual_mov_b32 v15, v11 :: v_dual_lshlrev_b32 v20, 3, v14
	s_clause 0x2
	s_load_b128 s[16:19], s[0:1], 0x38
	s_load_b128 s[20:23], s[0:1], 0x50
	s_load_b64 s[34:35], s[0:1], 0x0
	s_mul_i32 s5, s28, s29
	v_cmp_gt_i64_e32 vcc_lo, s[28:29], v[14:15]
	v_mad_u64_u32 v[15:16], null, v14, s29, v[1:2]
	s_mul_hi_u32 s36, s28, s28
	v_lshl_add_u32 v29, v12, 6, 0x400
	s_add_i32 s36, s36, s5
	s_and_b32 s37, s2, vcc_lo
	s_add_i32 s36, s36, s5
	s_mul_i32 s15, s28, s28
	s_delay_alu instid0(VALU_DEP_2) | instskip(SKIP_2) | instid1(VALU_DEP_3)
	v_mov_b32_e32 v1, v15
	v_mad_u64_u32 v[15:16], null, v12, s29, v[3:4]
	v_lshlrev_b32_e32 v28, 6, v14
	v_lshlrev_b64 v[0:1], 3, v[0:1]
	s_waitcnt lgkmcnt(0)
	v_mad_u64_u32 v[17:18], null, v8, s22, 0
	s_delay_alu instid0(VALU_DEP_4)
	v_mov_b32_e32 v3, v15
	v_mad_u64_u32 v[15:16], null, v10, s22, 0
	v_lshlrev_b32_e32 v19, 3, v12
	v_add_co_u32 v21, vcc_lo, s18, v0
	v_add_co_ci_u32_e32 v24, vcc_lo, s19, v1, vcc_lo
	v_lshlrev_b64 v[0:1], 3, v[2:3]
	v_mov_b32_e32 v2, v16
	s_bitcmp1_b32 s34, 0
	v_add_co_u32 v22, s34, s20, v19
	v_add_nc_u32_e32 v25, v19, v14
	v_add_co_u32 v19, vcc_lo, v21, v19
	v_dual_mov_b32 v3, v18 :: v_dual_add_nc_u32 v30, 0x200, v28
	v_add_co_ci_u32_e32 v21, vcc_lo, 0, v24, vcc_lo
	v_add_co_u32 v16, vcc_lo, s18, v0
	v_add_co_ci_u32_e32 v18, vcc_lo, s19, v1, vcc_lo
	s_delay_alu instid0(VALU_DEP_4)
	v_mad_u64_u32 v[0:1], null, v10, s23, v[2:3]
	v_mad_u64_u32 v[1:2], null, v8, s23, v[3:4]
	v_cmp_gt_i64_e64 s18, s[28:29], 0
	v_add_co_u32 v2, vcc_lo, v16, v20
	s_cselect_b32 s5, -1, 0
	s_cmp_eq_u32 s35, 0
	v_add_co_ci_u32_e32 v3, vcc_lo, 0, v18, vcc_lo
	v_mov_b32_e32 v16, v0
	v_mov_b32_e32 v18, v1
	s_cselect_b32 vcc_lo, -1, 0
	s_and_b32 s38, s3, s18
	s_and_b32 s39, s4, s18
	s_add_u32 s40, s28, -1
	s_addc_u32 s41, s29, -1
	v_dual_cndmask_b32 v26, v21, v3 :: v_dual_cndmask_b32 v27, v19, v2
	v_dual_mov_b32 v0, s24 :: v_dual_mov_b32 v1, s25
	v_lshl_add_u32 v24, v25, 3, 0x400
	v_add_lshl_u32 v25, v20, v12, 3
	s_and_b32 s18, s28, 7
	s_mov_b32 s19, s24
	v_dual_mov_b32 v2, s26 :: v_dual_mov_b32 v3, s27
	v_lshlrev_b64 v[14:15], 3, v[15:16]
	v_lshlrev_b64 v[16:17], 3, v[17:18]
	;; [unrolled: 1-line block ×4, first 2 shown]
	v_cmp_gt_u64_e64 s26, s[40:41], 6
	v_add_co_ci_u32_e64 v23, null, s21, 0, s34
	s_and_b32 s35, s29, 0x7fffffff
	s_and_b32 s34, s28, -8
	s_cmp_lg_u64 s[18:19], 0
	s_cselect_b32 s27, -1, 0
	s_branch .LBB20_13
.LBB20_11:                              ;   in Loop: Header=BB20_13 Depth=1
	s_or_b32 exec_lo, exec_lo, s41
.LBB20_12:                              ;   in Loop: Header=BB20_13 Depth=1
	s_delay_alu instid0(SALU_CYCLE_1) | instskip(SKIP_2) | instid1(SALU_CYCLE_1)
	s_or_b32 exec_lo, exec_lo, s40
	s_add_u32 s10, s10, 1
	s_addc_u32 s11, s11, 0
	v_cmp_ge_i64_e64 s24, s[10:11], s[30:31]
	s_barrier
	buffer_gl0_inv
	s_and_b32 vcc_lo, exec_lo, s24
	s_cbranch_vccnz .LBB20_37
.LBB20_13:                              ; =>This Loop Header: Depth=1
                                        ;     Child Loop BB20_24 Depth 2
                                        ;     Child Loop BB20_28 Depth 2
	;; [unrolled: 1-line block ×4, first 2 shown]
	s_and_saveexec_b32 s24, s2
	s_cbranch_execz .LBB20_18
; %bb.14:                               ;   in Loop: Header=BB20_13 Depth=1
	s_lshl_b64 s[40:41], s[10:11], 3
	s_delay_alu instid0(SALU_CYCLE_1)
	s_add_u32 s40, s16, s40
	s_addc_u32 s41, s17, s41
	s_load_b64 s[40:41], s[40:41], 0x0
	s_waitcnt lgkmcnt(0)
	s_sub_u32 s25, s40, s9
	s_subb_u32 s40, s41, 0
	s_mul_i32 s41, s25, s29
	s_mul_hi_u32 s42, s25, s28
	s_mul_i32 s43, s40, s28
	s_add_i32 s41, s42, s41
	s_mul_i32 s40, s25, s28
	s_add_i32 s41, s41, s43
	v_add_co_u32 v33, s25, s40, v12
	s_delay_alu instid0(VALU_DEP_1) | instskip(SKIP_1) | instid1(VALU_DEP_2)
	v_add_co_ci_u32_e64 v34, null, s41, 0, s25
	s_lshl_b64 s[40:41], s[40:41], 3
	v_mul_lo_u32 v35, v33, s23
	v_mad_u64_u32 v[31:32], null, v33, s22, 0
	s_delay_alu instid0(VALU_DEP_3) | instskip(NEXT) | instid1(VALU_DEP_1)
	v_mul_lo_u32 v33, v34, s22
	v_add3_u32 v32, v32, v35, v33
	s_delay_alu instid0(VALU_DEP_1) | instskip(NEXT) | instid1(VALU_DEP_1)
	v_lshlrev_b64 v[31:32], 3, v[31:32]
	v_add_co_u32 v31, vcc_lo, s20, v31
	s_delay_alu instid0(VALU_DEP_2)
	v_add_co_ci_u32_e32 v32, vcc_lo, s21, v32, vcc_lo
	v_add_co_u32 v33, vcc_lo, v22, s40
	v_add_co_ci_u32_e32 v34, vcc_lo, s41, v23, vcc_lo
	s_and_saveexec_b32 s25, s3
	s_cbranch_execz .LBB20_16
; %bb.15:                               ;   in Loop: Header=BB20_13 Depth=1
	s_delay_alu instid0(VALU_DEP_2) | instskip(NEXT) | instid1(VALU_DEP_2)
	v_add_co_u32 v35, vcc_lo, v33, v14
	v_add_co_ci_u32_e32 v36, vcc_lo, v34, v15, vcc_lo
	v_add_co_u32 v37, vcc_lo, v31, v18
	v_add_co_ci_u32_e32 v38, vcc_lo, v32, v19, vcc_lo
	s_delay_alu instid0(VALU_DEP_2) | instskip(NEXT) | instid1(VALU_DEP_2)
	v_cndmask_b32_e64 v35, v37, v35, s5
	v_cndmask_b32_e64 v36, v38, v36, s5
	global_load_b64 v[35:36], v[35:36], off
	s_waitcnt vmcnt(0)
	ds_store_b64 v25, v[35:36]
.LBB20_16:                              ;   in Loop: Header=BB20_13 Depth=1
	s_or_b32 exec_lo, exec_lo, s25
	s_delay_alu instid0(SALU_CYCLE_1)
	s_and_b32 exec_lo, exec_lo, s4
	s_cbranch_execz .LBB20_18
; %bb.17:                               ;   in Loop: Header=BB20_13 Depth=1
	v_add_co_u32 v33, vcc_lo, v33, v16
	v_add_co_ci_u32_e32 v34, vcc_lo, v34, v17, vcc_lo
	v_add_co_u32 v31, vcc_lo, v31, v20
	v_add_co_ci_u32_e32 v32, vcc_lo, v32, v21, vcc_lo
	s_delay_alu instid0(VALU_DEP_2) | instskip(NEXT) | instid1(VALU_DEP_2)
	v_cndmask_b32_e64 v31, v31, v33, s5
	v_cndmask_b32_e64 v32, v32, v34, s5
	global_load_b64 v[31:32], v[31:32], off
	s_waitcnt vmcnt(0)
	ds_store_b64 v25, v[31:32] offset:512
.LBB20_18:                              ;   in Loop: Header=BB20_13 Depth=1
	s_or_b32 exec_lo, exec_lo, s24
	s_and_saveexec_b32 s24, s37
	s_cbranch_execz .LBB20_20
; %bb.19:                               ;   in Loop: Header=BB20_13 Depth=1
	s_mul_i32 s25, s15, s11
	s_mul_hi_u32 s40, s15, s10
	s_mul_i32 s41, s36, s10
	s_add_i32 s25, s40, s25
	s_mul_i32 s40, s15, s10
	s_add_i32 s41, s25, s41
	s_delay_alu instid0(SALU_CYCLE_1) | instskip(NEXT) | instid1(SALU_CYCLE_1)
	s_lshl_b64 s[40:41], s[40:41], 3
	v_add_co_u32 v31, vcc_lo, v27, s40
	v_add_co_ci_u32_e32 v32, vcc_lo, s41, v26, vcc_lo
	global_load_b64 v[31:32], v[31:32], off
	s_waitcnt vmcnt(0)
	ds_store_b64 v24, v[31:32]
.LBB20_20:                              ;   in Loop: Header=BB20_13 Depth=1
	s_or_b32 exec_lo, exec_lo, s24
	s_waitcnt lgkmcnt(0)
	s_barrier
	buffer_gl0_inv
	s_and_saveexec_b32 s40, s2
	s_cbranch_execz .LBB20_12
; %bb.21:                               ;   in Loop: Header=BB20_13 Depth=1
	s_and_saveexec_b32 s41, s38
	s_cbranch_execz .LBB20_29
; %bb.22:                               ;   in Loop: Header=BB20_13 Depth=1
	s_and_not1_b32 vcc_lo, exec_lo, s26
	s_cbranch_vccnz .LBB20_26
; %bb.23:                               ;   in Loop: Header=BB20_13 Depth=1
	v_dual_mov_b32 v31, v29 :: v_dual_mov_b32 v32, v28
	s_mov_b64 s[24:25], 0
	s_set_inst_prefetch_distance 0x1
	.p2align	6
.LBB20_24:                              ;   Parent Loop BB20_13 Depth=1
                                        ; =>  This Inner Loop Header: Depth=2
	ds_load_b128 v[33:36], v32
	ds_load_b128 v[37:40], v31
	ds_load_b128 v[41:44], v31 offset:16
	ds_load_b128 v[45:48], v32 offset:16
	s_add_u32 s24, s24, 8
	s_addc_u32 s25, s25, 0
	s_delay_alu instid0(SALU_CYCLE_1) | instskip(SKIP_2) | instid1(VALU_DEP_1)
	s_cmp_lg_u64 s[34:35], s[24:25]
	s_waitcnt lgkmcnt(2)
	v_fma_f64 v[0:1], v[37:38], v[33:34], v[0:1]
	v_fma_f64 v[0:1], v[39:40], v[35:36], v[0:1]
	s_waitcnt lgkmcnt(0)
	s_delay_alu instid0(VALU_DEP_1) | instskip(NEXT) | instid1(VALU_DEP_1)
	v_fma_f64 v[0:1], v[41:42], v[45:46], v[0:1]
	v_fma_f64 v[0:1], v[43:44], v[47:48], v[0:1]
	ds_load_b128 v[33:36], v32 offset:32
	ds_load_b128 v[37:40], v31 offset:32
	;; [unrolled: 1-line block ×4, first 2 shown]
	v_add_nc_u32_e32 v32, 64, v32
	v_add_nc_u32_e32 v31, 64, v31
	s_waitcnt lgkmcnt(2)
	v_fma_f64 v[0:1], v[37:38], v[33:34], v[0:1]
	s_delay_alu instid0(VALU_DEP_1) | instskip(SKIP_1) | instid1(VALU_DEP_1)
	v_fma_f64 v[0:1], v[39:40], v[35:36], v[0:1]
	s_waitcnt lgkmcnt(0)
	v_fma_f64 v[0:1], v[41:42], v[45:46], v[0:1]
	s_delay_alu instid0(VALU_DEP_1)
	v_fma_f64 v[0:1], v[43:44], v[47:48], v[0:1]
	s_cbranch_scc1 .LBB20_24
; %bb.25:                               ;   in Loop: Header=BB20_13 Depth=1
	s_set_inst_prefetch_distance 0x2
	s_mov_b64 s[24:25], s[34:35]
	s_and_not1_b32 vcc_lo, exec_lo, s27
	s_cbranch_vccz .LBB20_27
	s_branch .LBB20_29
.LBB20_26:                              ;   in Loop: Header=BB20_13 Depth=1
	s_mov_b64 s[24:25], 0
	s_and_not1_b32 vcc_lo, exec_lo, s27
	s_cbranch_vccnz .LBB20_29
.LBB20_27:                              ;   in Loop: Header=BB20_13 Depth=1
	s_lshl_b32 s24, s24, 3
	s_delay_alu instid0(SALU_CYCLE_1)
	v_add_nc_u32_e32 v31, s24, v28
	v_add_nc_u32_e32 v32, s24, v29
	s_mov_b64 s[24:25], s[18:19]
.LBB20_28:                              ;   Parent Loop BB20_13 Depth=1
                                        ; =>  This Inner Loop Header: Depth=2
	ds_load_b64 v[33:34], v32
	ds_load_b64 v[35:36], v31
	v_add_nc_u32_e32 v31, 8, v31
	v_add_nc_u32_e32 v32, 8, v32
	s_add_u32 s24, s24, -1
	s_addc_u32 s25, s25, -1
	s_delay_alu instid0(SALU_CYCLE_1)
	s_cmp_lg_u64 s[24:25], 0
	s_waitcnt lgkmcnt(0)
	v_fma_f64 v[0:1], v[33:34], v[35:36], v[0:1]
	s_cbranch_scc1 .LBB20_28
.LBB20_29:                              ;   in Loop: Header=BB20_13 Depth=1
	s_or_b32 exec_lo, exec_lo, s41
	s_and_saveexec_b32 s41, s39
	s_cbranch_execz .LBB20_11
; %bb.30:                               ;   in Loop: Header=BB20_13 Depth=1
	s_and_not1_b32 vcc_lo, exec_lo, s26
	s_cbranch_vccnz .LBB20_34
; %bb.31:                               ;   in Loop: Header=BB20_13 Depth=1
	v_dual_mov_b32 v31, v29 :: v_dual_mov_b32 v32, v30
	s_mov_b64 s[24:25], 0
	s_set_inst_prefetch_distance 0x1
	.p2align	6
.LBB20_32:                              ;   Parent Loop BB20_13 Depth=1
                                        ; =>  This Inner Loop Header: Depth=2
	ds_load_b128 v[33:36], v32
	ds_load_b128 v[37:40], v31
	ds_load_b128 v[41:44], v31 offset:16
	ds_load_b128 v[45:48], v32 offset:16
	s_add_u32 s24, s24, 8
	s_addc_u32 s25, s25, 0
	s_delay_alu instid0(SALU_CYCLE_1) | instskip(SKIP_2) | instid1(VALU_DEP_1)
	s_cmp_lg_u64 s[34:35], s[24:25]
	s_waitcnt lgkmcnt(2)
	v_fma_f64 v[2:3], v[37:38], v[33:34], v[2:3]
	v_fma_f64 v[2:3], v[39:40], v[35:36], v[2:3]
	s_waitcnt lgkmcnt(0)
	s_delay_alu instid0(VALU_DEP_1) | instskip(NEXT) | instid1(VALU_DEP_1)
	v_fma_f64 v[2:3], v[41:42], v[45:46], v[2:3]
	v_fma_f64 v[2:3], v[43:44], v[47:48], v[2:3]
	ds_load_b128 v[33:36], v32 offset:32
	ds_load_b128 v[37:40], v31 offset:32
	;; [unrolled: 1-line block ×4, first 2 shown]
	v_add_nc_u32_e32 v32, 64, v32
	v_add_nc_u32_e32 v31, 64, v31
	s_waitcnt lgkmcnt(2)
	v_fma_f64 v[2:3], v[37:38], v[33:34], v[2:3]
	s_delay_alu instid0(VALU_DEP_1) | instskip(SKIP_1) | instid1(VALU_DEP_1)
	v_fma_f64 v[2:3], v[39:40], v[35:36], v[2:3]
	s_waitcnt lgkmcnt(0)
	v_fma_f64 v[2:3], v[41:42], v[45:46], v[2:3]
	s_delay_alu instid0(VALU_DEP_1)
	v_fma_f64 v[2:3], v[43:44], v[47:48], v[2:3]
	s_cbranch_scc1 .LBB20_32
; %bb.33:                               ;   in Loop: Header=BB20_13 Depth=1
	s_set_inst_prefetch_distance 0x2
	s_mov_b64 s[24:25], s[34:35]
	s_and_not1_b32 vcc_lo, exec_lo, s27
	s_cbranch_vccz .LBB20_35
	s_branch .LBB20_11
.LBB20_34:                              ;   in Loop: Header=BB20_13 Depth=1
	s_mov_b64 s[24:25], 0
	s_and_not1_b32 vcc_lo, exec_lo, s27
	s_cbranch_vccnz .LBB20_11
.LBB20_35:                              ;   in Loop: Header=BB20_13 Depth=1
	s_lshl_b32 s24, s24, 3
	s_delay_alu instid0(SALU_CYCLE_1)
	v_add_nc_u32_e32 v31, s24, v30
	v_add_nc_u32_e32 v32, s24, v29
	s_mov_b64 s[24:25], s[18:19]
.LBB20_36:                              ;   Parent Loop BB20_13 Depth=1
                                        ; =>  This Inner Loop Header: Depth=2
	ds_load_b64 v[33:34], v32
	ds_load_b64 v[35:36], v31
	v_add_nc_u32_e32 v31, 8, v31
	v_add_nc_u32_e32 v32, 8, v32
	s_add_u32 s24, s24, -1
	s_addc_u32 s25, s25, -1
	s_delay_alu instid0(SALU_CYCLE_1)
	s_cmp_lg_u64 s[24:25], 0
	s_waitcnt lgkmcnt(0)
	v_fma_f64 v[2:3], v[33:34], v[35:36], v[2:3]
	s_cbranch_scc1 .LBB20_36
	s_branch .LBB20_11
.LBB20_37:
	s_delay_alu instid0(VALU_DEP_2) | instskip(NEXT) | instid1(SALU_CYCLE_1)
	s_and_b32 s2, s33, s2
	s_and_b32 exec_lo, exec_lo, s2
	s_cbranch_execz .LBB20_60
; %bb.38:
	v_mad_u64_u32 v[14:15], null, s14, s28, v[12:13]
	s_load_b64 s[2:3], s[0:1], 0x78
	v_cmp_neq_f64_e64 s0, 0, v[6:7]
	s_cmp_lg_u32 s8, 1
	s_mov_b32 s4, exec_lo
	s_delay_alu instid0(VALU_DEP_2) | instskip(NEXT) | instid1(VALU_DEP_1)
	v_mov_b32_e32 v12, v15
	v_mad_u64_u32 v[15:16], null, s14, s29, v[12:13]
	s_waitcnt lgkmcnt(0)
	v_mul_lo_u32 v16, v14, s3
	v_mad_u64_u32 v[12:13], null, v14, s2, 0
	s_delay_alu instid0(VALU_DEP_3) | instskip(NEXT) | instid1(VALU_DEP_1)
	v_mul_lo_u32 v17, v15, s2
	v_add3_u32 v13, v13, v16, v17
	v_lshlrev_b64 v[16:17], 3, v[14:15]
	s_delay_alu instid0(VALU_DEP_2) | instskip(NEXT) | instid1(VALU_DEP_1)
	v_lshlrev_b64 v[12:13], 3, v[12:13]
	v_add_co_u32 v14, s1, s12, v12
	s_delay_alu instid0(VALU_DEP_1) | instskip(NEXT) | instid1(VALU_DEP_4)
	v_add_co_ci_u32_e64 v15, s1, s13, v13, s1
	v_add_co_u32 v12, s1, s12, v16
	s_delay_alu instid0(VALU_DEP_1)
	v_add_co_ci_u32_e64 v13, s1, s13, v17, s1
	s_cselect_b32 s1, -1, 0
	v_cmpx_gt_i64_e64 s[6:7], v[10:11]
	s_cbranch_execz .LBB20_49
; %bb.39:
	s_and_saveexec_b32 s5, s0
	s_delay_alu instid0(SALU_CYCLE_1)
	s_xor_b32 s5, exec_lo, s5
	s_cbranch_execz .LBB20_44
; %bb.40:
	s_and_b32 vcc_lo, exec_lo, s1
	s_mov_b32 s8, -1
	s_cbranch_vccz .LBB20_42
; %bb.41:
	v_lshlrev_b64 v[16:17], 3, v[10:11]
	v_mul_f64 v[20:21], v[4:5], v[0:1]
	s_mov_b32 s8, 0
	s_delay_alu instid0(VALU_DEP_2) | instskip(NEXT) | instid1(VALU_DEP_3)
	v_add_co_u32 v16, vcc_lo, v14, v16
	v_add_co_ci_u32_e32 v17, vcc_lo, v15, v17, vcc_lo
	global_load_b64 v[18:19], v[16:17], off
	s_waitcnt vmcnt(0)
	v_fma_f64 v[18:19], v[6:7], v[18:19], v[20:21]
	global_store_b64 v[16:17], v[18:19], off
.LBB20_42:
	s_and_not1_b32 vcc_lo, exec_lo, s8
	s_cbranch_vccnz .LBB20_44
; %bb.43:
	v_mad_u64_u32 v[16:17], null, v10, s2, 0
	s_delay_alu instid0(VALU_DEP_1) | instskip(NEXT) | instid1(VALU_DEP_1)
	v_mov_b32_e32 v11, v17
	v_mad_u64_u32 v[17:18], null, v10, s3, v[11:12]
	v_mul_f64 v[18:19], v[4:5], v[0:1]
	s_delay_alu instid0(VALU_DEP_2) | instskip(NEXT) | instid1(VALU_DEP_1)
	v_lshlrev_b64 v[10:11], 3, v[16:17]
	v_add_co_u32 v10, vcc_lo, v12, v10
	s_delay_alu instid0(VALU_DEP_2)
	v_add_co_ci_u32_e32 v11, vcc_lo, v13, v11, vcc_lo
	global_load_b64 v[16:17], v[10:11], off
	s_waitcnt vmcnt(0)
	v_fma_f64 v[16:17], v[6:7], v[16:17], v[18:19]
	global_store_b64 v[10:11], v[16:17], off
                                        ; implicit-def: $vgpr10_vgpr11
.LBB20_44:
	s_and_not1_saveexec_b32 s5, s5
	s_cbranch_execz .LBB20_49
; %bb.45:
	v_mul_f64 v[0:1], v[4:5], v[0:1]
	s_and_b32 vcc_lo, exec_lo, s1
	s_mov_b32 s5, -1
	s_cbranch_vccz .LBB20_47
; %bb.46:
	v_lshlrev_b64 v[16:17], 3, v[10:11]
	s_mov_b32 s5, 0
	s_delay_alu instid0(VALU_DEP_1) | instskip(NEXT) | instid1(VALU_DEP_2)
	v_add_co_u32 v16, vcc_lo, v14, v16
	v_add_co_ci_u32_e32 v17, vcc_lo, v15, v17, vcc_lo
	global_store_b64 v[16:17], v[0:1], off
.LBB20_47:
	s_and_not1_b32 vcc_lo, exec_lo, s5
	s_cbranch_vccnz .LBB20_49
; %bb.48:
	v_mad_u64_u32 v[16:17], null, v10, s2, 0
	s_delay_alu instid0(VALU_DEP_1) | instskip(NEXT) | instid1(VALU_DEP_1)
	v_mov_b32_e32 v11, v17
	v_mad_u64_u32 v[17:18], null, v10, s3, v[11:12]
	s_delay_alu instid0(VALU_DEP_1) | instskip(NEXT) | instid1(VALU_DEP_1)
	v_lshlrev_b64 v[10:11], 3, v[16:17]
	v_add_co_u32 v10, vcc_lo, v12, v10
	s_delay_alu instid0(VALU_DEP_2)
	v_add_co_ci_u32_e32 v11, vcc_lo, v13, v11, vcc_lo
	global_store_b64 v[10:11], v[0:1], off
.LBB20_49:
	s_or_b32 exec_lo, exec_lo, s4
	v_cmp_gt_i64_e32 vcc_lo, s[6:7], v[8:9]
	s_and_b32 exec_lo, exec_lo, vcc_lo
	s_cbranch_execz .LBB20_60
; %bb.50:
	s_and_saveexec_b32 s4, s0
	s_delay_alu instid0(SALU_CYCLE_1)
	s_xor_b32 s0, exec_lo, s4
	s_cbranch_execz .LBB20_55
; %bb.51:
	s_and_not1_b32 vcc_lo, exec_lo, s1
	s_mov_b32 s4, -1
	s_cbranch_vccnz .LBB20_53
; %bb.52:
	v_lshlrev_b64 v[0:1], 3, v[8:9]
	s_mov_b32 s4, 0
	s_delay_alu instid0(VALU_DEP_1) | instskip(NEXT) | instid1(VALU_DEP_2)
	v_add_co_u32 v0, vcc_lo, v14, v0
	v_add_co_ci_u32_e32 v1, vcc_lo, v15, v1, vcc_lo
	v_mul_f64 v[14:15], v[4:5], v[2:3]
	global_load_b64 v[9:10], v[0:1], off
	s_waitcnt vmcnt(0)
	v_fma_f64 v[9:10], v[6:7], v[9:10], v[14:15]
	global_store_b64 v[0:1], v[9:10], off
.LBB20_53:
	s_and_not1_b32 vcc_lo, exec_lo, s4
                                        ; implicit-def: $vgpr14
                                        ; implicit-def: $vgpr15
	s_cbranch_vccnz .LBB20_55
; %bb.54:
	v_mad_u64_u32 v[0:1], null, v8, s2, 0
                                        ; implicit-def: $vgpr14
                                        ; implicit-def: $vgpr15
	s_delay_alu instid0(VALU_DEP_1) | instskip(SKIP_1) | instid1(VALU_DEP_2)
	v_mad_u64_u32 v[9:10], null, v8, s3, v[1:2]
	v_mul_f64 v[2:3], v[4:5], v[2:3]
                                        ; implicit-def: $vgpr4_vgpr5
	v_mov_b32_e32 v1, v9
	s_delay_alu instid0(VALU_DEP_1) | instskip(NEXT) | instid1(VALU_DEP_1)
	v_lshlrev_b64 v[0:1], 3, v[0:1]
	v_add_co_u32 v0, vcc_lo, v12, v0
	s_delay_alu instid0(VALU_DEP_2)
	v_add_co_ci_u32_e32 v1, vcc_lo, v13, v1, vcc_lo
                                        ; implicit-def: $vgpr12
                                        ; implicit-def: $vgpr13
	global_load_b64 v[8:9], v[0:1], off
	s_waitcnt vmcnt(0)
	v_fma_f64 v[2:3], v[6:7], v[8:9], v[2:3]
                                        ; implicit-def: $vgpr8_vgpr9
	global_store_b64 v[0:1], v[2:3], off
                                        ; implicit-def: $vgpr0_vgpr1_vgpr2_vgpr3
.LBB20_55:
	s_and_not1_saveexec_b32 s0, s0
	s_cbranch_execz .LBB20_60
; %bb.56:
	v_mul_f64 v[0:1], v[4:5], v[2:3]
	s_and_not1_b32 vcc_lo, exec_lo, s1
	s_mov_b32 s0, -1
	s_cbranch_vccnz .LBB20_58
; %bb.57:
	v_lshlrev_b64 v[2:3], 3, v[8:9]
	s_mov_b32 s0, 0
	s_delay_alu instid0(VALU_DEP_1) | instskip(NEXT) | instid1(VALU_DEP_2)
	v_add_co_u32 v2, vcc_lo, v14, v2
	v_add_co_ci_u32_e32 v3, vcc_lo, v15, v3, vcc_lo
	global_store_b64 v[2:3], v[0:1], off
.LBB20_58:
	s_and_not1_b32 vcc_lo, exec_lo, s0
	s_cbranch_vccnz .LBB20_60
; %bb.59:
	v_mad_u64_u32 v[2:3], null, v8, s2, 0
	s_delay_alu instid0(VALU_DEP_1) | instskip(NEXT) | instid1(VALU_DEP_1)
	v_mad_u64_u32 v[4:5], null, v8, s3, v[3:4]
	v_mov_b32_e32 v3, v4
	s_delay_alu instid0(VALU_DEP_1) | instskip(NEXT) | instid1(VALU_DEP_1)
	v_lshlrev_b64 v[2:3], 3, v[2:3]
	v_add_co_u32 v2, vcc_lo, v12, v2
	s_delay_alu instid0(VALU_DEP_2)
	v_add_co_ci_u32_e32 v3, vcc_lo, v13, v3, vcc_lo
	global_store_b64 v[2:3], v[0:1], off
.LBB20_60:
	s_nop 0
	s_sendmsg sendmsg(MSG_DEALLOC_VGPRS)
	s_endpgm
	.section	.rodata,"a",@progbits
	.p2align	6, 0x0
	.amdhsa_kernel _ZN9rocsparseL31bsrmm_large_blockdim_kernel_extILj8ELj8ELj2EllddddEEvb20rocsparse_direction_T3_S2_llNS_24const_host_device_scalarIT7_EEPKT2_PKS2_PKT4_S2_PKT5_llS5_PT6_ll16rocsparse_order_21rocsparse_index_base_b
		.amdhsa_group_segment_fixed_size 1536
		.amdhsa_private_segment_fixed_size 0
		.amdhsa_kernarg_size 148
		.amdhsa_user_sgpr_count 14
		.amdhsa_user_sgpr_dispatch_ptr 0
		.amdhsa_user_sgpr_queue_ptr 0
		.amdhsa_user_sgpr_kernarg_segment_ptr 1
		.amdhsa_user_sgpr_dispatch_id 0
		.amdhsa_user_sgpr_private_segment_size 0
		.amdhsa_wavefront_size32 1
		.amdhsa_uses_dynamic_stack 0
		.amdhsa_enable_private_segment 0
		.amdhsa_system_sgpr_workgroup_id_x 1
		.amdhsa_system_sgpr_workgroup_id_y 1
		.amdhsa_system_sgpr_workgroup_id_z 0
		.amdhsa_system_sgpr_workgroup_info 0
		.amdhsa_system_vgpr_workitem_id 1
		.amdhsa_next_free_vgpr 49
		.amdhsa_next_free_sgpr 44
		.amdhsa_reserve_vcc 1
		.amdhsa_float_round_mode_32 0
		.amdhsa_float_round_mode_16_64 0
		.amdhsa_float_denorm_mode_32 3
		.amdhsa_float_denorm_mode_16_64 3
		.amdhsa_dx10_clamp 1
		.amdhsa_ieee_mode 1
		.amdhsa_fp16_overflow 0
		.amdhsa_workgroup_processor_mode 1
		.amdhsa_memory_ordered 1
		.amdhsa_forward_progress 0
		.amdhsa_shared_vgpr_count 0
		.amdhsa_exception_fp_ieee_invalid_op 0
		.amdhsa_exception_fp_denorm_src 0
		.amdhsa_exception_fp_ieee_div_zero 0
		.amdhsa_exception_fp_ieee_overflow 0
		.amdhsa_exception_fp_ieee_underflow 0
		.amdhsa_exception_fp_ieee_inexact 0
		.amdhsa_exception_int_div_zero 0
	.end_amdhsa_kernel
	.section	.text._ZN9rocsparseL31bsrmm_large_blockdim_kernel_extILj8ELj8ELj2EllddddEEvb20rocsparse_direction_T3_S2_llNS_24const_host_device_scalarIT7_EEPKT2_PKS2_PKT4_S2_PKT5_llS5_PT6_ll16rocsparse_order_21rocsparse_index_base_b,"axG",@progbits,_ZN9rocsparseL31bsrmm_large_blockdim_kernel_extILj8ELj8ELj2EllddddEEvb20rocsparse_direction_T3_S2_llNS_24const_host_device_scalarIT7_EEPKT2_PKS2_PKT4_S2_PKT5_llS5_PT6_ll16rocsparse_order_21rocsparse_index_base_b,comdat
.Lfunc_end20:
	.size	_ZN9rocsparseL31bsrmm_large_blockdim_kernel_extILj8ELj8ELj2EllddddEEvb20rocsparse_direction_T3_S2_llNS_24const_host_device_scalarIT7_EEPKT2_PKS2_PKT4_S2_PKT5_llS5_PT6_ll16rocsparse_order_21rocsparse_index_base_b, .Lfunc_end20-_ZN9rocsparseL31bsrmm_large_blockdim_kernel_extILj8ELj8ELj2EllddddEEvb20rocsparse_direction_T3_S2_llNS_24const_host_device_scalarIT7_EEPKT2_PKS2_PKT4_S2_PKT5_llS5_PT6_ll16rocsparse_order_21rocsparse_index_base_b
                                        ; -- End function
	.section	.AMDGPU.csdata,"",@progbits
; Kernel info:
; codeLenInByte = 2856
; NumSgprs: 46
; NumVgprs: 49
; ScratchSize: 0
; MemoryBound: 0
; FloatMode: 240
; IeeeMode: 1
; LDSByteSize: 1536 bytes/workgroup (compile time only)
; SGPRBlocks: 5
; VGPRBlocks: 6
; NumSGPRsForWavesPerEU: 46
; NumVGPRsForWavesPerEU: 49
; Occupancy: 16
; WaveLimiterHint : 1
; COMPUTE_PGM_RSRC2:SCRATCH_EN: 0
; COMPUTE_PGM_RSRC2:USER_SGPR: 14
; COMPUTE_PGM_RSRC2:TRAP_HANDLER: 0
; COMPUTE_PGM_RSRC2:TGID_X_EN: 1
; COMPUTE_PGM_RSRC2:TGID_Y_EN: 1
; COMPUTE_PGM_RSRC2:TGID_Z_EN: 0
; COMPUTE_PGM_RSRC2:TIDIG_COMP_CNT: 1
	.section	.text._ZN9rocsparseL31bsrmm_large_blockdim_kernel_extILj4ELj16ELj2EllddddEEvb20rocsparse_direction_T3_S2_llNS_24const_host_device_scalarIT7_EEPKT2_PKS2_PKT4_S2_PKT5_llS5_PT6_ll16rocsparse_order_21rocsparse_index_base_b,"axG",@progbits,_ZN9rocsparseL31bsrmm_large_blockdim_kernel_extILj4ELj16ELj2EllddddEEvb20rocsparse_direction_T3_S2_llNS_24const_host_device_scalarIT7_EEPKT2_PKS2_PKT4_S2_PKT5_llS5_PT6_ll16rocsparse_order_21rocsparse_index_base_b,comdat
	.globl	_ZN9rocsparseL31bsrmm_large_blockdim_kernel_extILj4ELj16ELj2EllddddEEvb20rocsparse_direction_T3_S2_llNS_24const_host_device_scalarIT7_EEPKT2_PKS2_PKT4_S2_PKT5_llS5_PT6_ll16rocsparse_order_21rocsparse_index_base_b ; -- Begin function _ZN9rocsparseL31bsrmm_large_blockdim_kernel_extILj4ELj16ELj2EllddddEEvb20rocsparse_direction_T3_S2_llNS_24const_host_device_scalarIT7_EEPKT2_PKS2_PKT4_S2_PKT5_llS5_PT6_ll16rocsparse_order_21rocsparse_index_base_b
	.p2align	8
	.type	_ZN9rocsparseL31bsrmm_large_blockdim_kernel_extILj4ELj16ELj2EllddddEEvb20rocsparse_direction_T3_S2_llNS_24const_host_device_scalarIT7_EEPKT2_PKS2_PKT4_S2_PKT5_llS5_PT6_ll16rocsparse_order_21rocsparse_index_base_b,@function
_ZN9rocsparseL31bsrmm_large_blockdim_kernel_extILj4ELj16ELj2EllddddEEvb20rocsparse_direction_T3_S2_llNS_24const_host_device_scalarIT7_EEPKT2_PKS2_PKT4_S2_PKT5_llS5_PT6_ll16rocsparse_order_21rocsparse_index_base_b: ; @_ZN9rocsparseL31bsrmm_large_blockdim_kernel_extILj4ELj16ELj2EllddddEEvb20rocsparse_direction_T3_S2_llNS_24const_host_device_scalarIT7_EEPKT2_PKS2_PKT4_S2_PKT5_llS5_PT6_ll16rocsparse_order_21rocsparse_index_base_b
; %bb.0:
	s_clause 0x2
	s_load_b128 s[8:11], s[0:1], 0x88
	s_load_b64 s[6:7], s[0:1], 0x28
	s_load_b64 s[4:5], s[0:1], 0x68
	s_mov_b32 s2, s15
	s_waitcnt lgkmcnt(0)
	s_bitcmp1_b32 s10, 0
	v_dual_mov_b32 v4, s6 :: v_dual_mov_b32 v5, s7
	s_cselect_b32 s3, -1, 0
	s_delay_alu instid0(SALU_CYCLE_1)
	s_and_b32 vcc_lo, exec_lo, s3
	s_xor_b32 s3, s3, -1
	s_cbranch_vccnz .LBB21_2
; %bb.1:
	v_dual_mov_b32 v1, s6 :: v_dual_mov_b32 v2, s7
	flat_load_b64 v[4:5], v[1:2]
.LBB21_2:
	v_dual_mov_b32 v7, s5 :: v_dual_mov_b32 v6, s4
	s_and_not1_b32 vcc_lo, exec_lo, s3
	s_cbranch_vccnz .LBB21_4
; %bb.3:
	v_dual_mov_b32 v1, s4 :: v_dual_mov_b32 v2, s5
	flat_load_b64 v[6:7], v[1:2]
.LBB21_4:
	s_waitcnt vmcnt(0) lgkmcnt(0)
	v_cmp_neq_f64_e32 vcc_lo, 0, v[4:5]
	v_cmp_neq_f64_e64 s3, 1.0, v[6:7]
	s_mov_b64 s[10:11], 0
	s_delay_alu instid0(VALU_DEP_1) | instskip(NEXT) | instid1(SALU_CYCLE_1)
	s_or_b32 s3, vcc_lo, s3
	s_and_saveexec_b32 s4, s3
	s_cbranch_execz .LBB21_60
; %bb.5:
	s_clause 0x1
	s_load_b128 s[4:7], s[0:1], 0x8
	s_load_b64 s[12:13], s[0:1], 0x30
	s_ashr_i32 s15, s14, 31
	s_waitcnt lgkmcnt(0)
	v_cmp_ge_i64_e64 s3, s[14:15], s[4:5]
	v_cmp_lt_i64_e64 s33, s[14:15], s[4:5]
	s_delay_alu instid0(VALU_DEP_2)
	s_and_b32 vcc_lo, exec_lo, s3
	s_cbranch_vccnz .LBB21_7
; %bb.6:
	s_lshl_b64 s[4:5], s[14:15], 3
	s_delay_alu instid0(SALU_CYCLE_1)
	s_add_u32 s4, s12, s4
	s_addc_u32 s5, s13, s5
	s_load_b64 s[4:5], s[4:5], 0x0
	s_waitcnt lgkmcnt(0)
	s_sub_u32 s10, s4, s9
	s_subb_u32 s11, s5, 0
.LBB21_7:
	s_delay_alu instid0(VALU_DEP_1)
	s_and_not1_b32 vcc_lo, exec_lo, s33
	s_mov_b64 s[30:31], 0
	s_cbranch_vccnz .LBB21_9
; %bb.8:
	s_lshl_b64 s[4:5], s[14:15], 3
	s_delay_alu instid0(SALU_CYCLE_1)
	s_add_u32 s4, s12, s4
	s_addc_u32 s5, s13, s5
	s_load_b64 s[4:5], s[4:5], 0x8
	s_waitcnt lgkmcnt(0)
	s_sub_u32 s30, s4, s9
	s_subb_u32 s31, s5, 0
.LBB21_9:
	s_clause 0x1
	s_load_b64 s[28:29], s[0:1], 0x48
	s_load_b64 s[12:13], s[0:1], 0x70
	v_bfe_u32 v14, v0, 10, 10
	v_dual_mov_b32 v11, 0 :: v_dual_and_b32 v12, 0x3ff, v0
	s_mov_b32 s24, 0
	v_cmp_ge_i64_e64 s3, s[10:11], s[30:31]
	s_delay_alu instid0(VALU_DEP_3)
	v_lshl_add_u32 v10, s2, 5, v14
	s_mov_b32 s25, s24
	s_mov_b32 s26, s24
	v_mov_b32_e32 v9, v11
	s_mov_b32 s27, s24
	v_dual_mov_b32 v13, v11 :: v_dual_add_nc_u32 v8, 16, v10
	v_mov_b32_e32 v0, s24
	s_and_b32 vcc_lo, exec_lo, s3
	v_cmp_gt_i64_e64 s3, s[6:7], v[10:11]
	s_delay_alu instid0(VALU_DEP_3)
	v_cmp_gt_i64_e64 s4, s[6:7], v[8:9]
	v_dual_mov_b32 v1, s25 :: v_dual_mov_b32 v2, s26
	s_waitcnt lgkmcnt(0)
	v_cmp_gt_i64_e64 s2, s[28:29], v[12:13]
	v_mov_b32_e32 v3, s27
	s_cbranch_vccnz .LBB21_37
; %bb.10:
	s_clause 0x2
	s_load_b64 s[34:35], s[0:1], 0x0
	s_load_b128 s[16:19], s[0:1], 0x38
	s_load_b128 s[20:23], s[0:1], 0x50
	v_mad_u64_u32 v[0:1], null, v14, s28, 0
	v_mad_u64_u32 v[2:3], null, v12, s28, 0
	v_dual_mov_b32 v15, v11 :: v_dual_lshlrev_b32 v20, 2, v14
	s_mul_i32 s5, s28, s29
	s_mul_hi_u32 s36, s28, s28
	v_lshl_add_u32 v25, v12, 2, v14
	s_delay_alu instid0(VALU_DEP_2) | instskip(NEXT) | instid1(VALU_DEP_4)
	v_cmp_gt_i64_e32 vcc_lo, s[28:29], v[14:15]
	v_mad_u64_u32 v[16:17], null, v14, s29, v[1:2]
	s_add_i32 s36, s36, s5
	v_lshlrev_b32_e32 v28, 5, v14
	s_add_i32 s36, s36, s5
	s_and_b32 s37, s2, vcc_lo
	v_lshl_add_u32 v29, v12, 5, 0x400
	s_waitcnt lgkmcnt(0)
	s_bitcmp1_b32 s34, 0
	v_add_nc_u32_e32 v30, 0x200, v28
	v_mad_u64_u32 v[17:18], null, v8, s22, 0
	v_mov_b32_e32 v1, v16
	v_mad_u64_u32 v[15:16], null, v12, s29, v[3:4]
	s_cselect_b32 s5, -1, 0
	s_cmp_eq_u32 s35, 0
	s_delay_alu instid0(VALU_DEP_2) | instskip(SKIP_2) | instid1(VALU_DEP_3)
	v_lshlrev_b64 v[0:1], 3, v[0:1]
	v_lshlrev_b32_e32 v26, 3, v14
	s_mul_i32 s15, s28, s28
	v_mov_b32_e32 v3, v15
	v_mad_u64_u32 v[15:16], null, v10, s22, 0
	v_lshlrev_b32_e32 v19, 3, v12
	v_add_co_u32 v21, vcc_lo, s18, v0
	v_add_co_ci_u32_e32 v24, vcc_lo, s19, v1, vcc_lo
	v_lshlrev_b64 v[0:1], 3, v[2:3]
	v_mov_b32_e32 v2, v16
	s_delay_alu instid0(VALU_DEP_4) | instskip(NEXT) | instid1(VALU_DEP_4)
	v_add_co_u32 v3, vcc_lo, v21, v19
	v_add_co_ci_u32_e32 v21, vcc_lo, 0, v24, vcc_lo
	s_delay_alu instid0(VALU_DEP_4)
	v_add_co_u32 v16, vcc_lo, s18, v0
	v_mov_b32_e32 v0, v18
	v_add_co_u32 v22, s34, s20, v19
	v_lshl_add_u32 v24, v25, 3, 0x400
	v_add_co_ci_u32_e32 v25, vcc_lo, s19, v1, vcc_lo
	v_mad_u64_u32 v[18:19], null, v10, s23, v[2:3]
	v_mad_u64_u32 v[1:2], null, v8, s23, v[0:1]
	v_cmp_gt_i64_e64 s18, s[28:29], 0
	v_add_co_u32 v0, vcc_lo, v16, v26
	v_add_co_ci_u32_e32 v2, vcc_lo, 0, v25, vcc_lo
	s_cselect_b32 vcc_lo, -1, 0
	s_delay_alu instid0(VALU_DEP_2)
	v_dual_mov_b32 v16, v18 :: v_dual_cndmask_b32 v27, v3, v0
	v_mov_b32_e32 v18, v1
	s_and_b32 s38, s3, s18
	s_and_b32 s39, s4, s18
	s_add_u32 s40, s28, -1
	s_addc_u32 s41, s29, -1
	v_cndmask_b32_e32 v26, v21, v2, vcc_lo
	v_dual_mov_b32 v0, s24 :: v_dual_mov_b32 v3, s27
	v_add_lshl_u32 v25, v20, v12, 3
	s_and_b32 s18, s28, 7
	s_mov_b32 s19, s24
	v_dual_mov_b32 v1, s25 :: v_dual_mov_b32 v2, s26
	v_lshlrev_b64 v[14:15], 3, v[15:16]
	v_lshlrev_b64 v[16:17], 3, v[17:18]
	;; [unrolled: 1-line block ×4, first 2 shown]
	v_cmp_gt_u64_e64 s26, s[40:41], 6
	v_add_co_ci_u32_e64 v23, null, s21, 0, s34
	s_and_b32 s35, s29, 0x7fffffff
	s_and_b32 s34, s28, -8
	s_cmp_lg_u64 s[18:19], 0
	s_cselect_b32 s27, -1, 0
	s_branch .LBB21_13
.LBB21_11:                              ;   in Loop: Header=BB21_13 Depth=1
	s_or_b32 exec_lo, exec_lo, s41
.LBB21_12:                              ;   in Loop: Header=BB21_13 Depth=1
	s_delay_alu instid0(SALU_CYCLE_1) | instskip(SKIP_2) | instid1(SALU_CYCLE_1)
	s_or_b32 exec_lo, exec_lo, s40
	s_add_u32 s10, s10, 1
	s_addc_u32 s11, s11, 0
	v_cmp_ge_i64_e64 s24, s[10:11], s[30:31]
	s_barrier
	buffer_gl0_inv
	s_and_b32 vcc_lo, exec_lo, s24
	s_cbranch_vccnz .LBB21_37
.LBB21_13:                              ; =>This Loop Header: Depth=1
                                        ;     Child Loop BB21_24 Depth 2
                                        ;     Child Loop BB21_28 Depth 2
	;; [unrolled: 1-line block ×4, first 2 shown]
	s_and_saveexec_b32 s24, s2
	s_cbranch_execz .LBB21_18
; %bb.14:                               ;   in Loop: Header=BB21_13 Depth=1
	s_lshl_b64 s[40:41], s[10:11], 3
	s_delay_alu instid0(SALU_CYCLE_1)
	s_add_u32 s40, s16, s40
	s_addc_u32 s41, s17, s41
	s_load_b64 s[40:41], s[40:41], 0x0
	s_waitcnt lgkmcnt(0)
	s_sub_u32 s25, s40, s9
	s_subb_u32 s40, s41, 0
	s_mul_i32 s41, s25, s29
	s_mul_hi_u32 s42, s25, s28
	s_mul_i32 s43, s40, s28
	s_add_i32 s41, s42, s41
	s_mul_i32 s40, s25, s28
	s_add_i32 s41, s41, s43
	v_add_co_u32 v33, s25, s40, v12
	s_delay_alu instid0(VALU_DEP_1) | instskip(SKIP_1) | instid1(VALU_DEP_2)
	v_add_co_ci_u32_e64 v34, null, s41, 0, s25
	s_lshl_b64 s[40:41], s[40:41], 3
	v_mul_lo_u32 v35, v33, s23
	v_mad_u64_u32 v[31:32], null, v33, s22, 0
	s_delay_alu instid0(VALU_DEP_3) | instskip(NEXT) | instid1(VALU_DEP_1)
	v_mul_lo_u32 v33, v34, s22
	v_add3_u32 v32, v32, v35, v33
	s_delay_alu instid0(VALU_DEP_1) | instskip(NEXT) | instid1(VALU_DEP_1)
	v_lshlrev_b64 v[31:32], 3, v[31:32]
	v_add_co_u32 v31, vcc_lo, s20, v31
	s_delay_alu instid0(VALU_DEP_2)
	v_add_co_ci_u32_e32 v32, vcc_lo, s21, v32, vcc_lo
	v_add_co_u32 v33, vcc_lo, v22, s40
	v_add_co_ci_u32_e32 v34, vcc_lo, s41, v23, vcc_lo
	s_and_saveexec_b32 s25, s3
	s_cbranch_execz .LBB21_16
; %bb.15:                               ;   in Loop: Header=BB21_13 Depth=1
	s_delay_alu instid0(VALU_DEP_2) | instskip(NEXT) | instid1(VALU_DEP_2)
	v_add_co_u32 v35, vcc_lo, v33, v14
	v_add_co_ci_u32_e32 v36, vcc_lo, v34, v15, vcc_lo
	v_add_co_u32 v37, vcc_lo, v31, v18
	v_add_co_ci_u32_e32 v38, vcc_lo, v32, v19, vcc_lo
	s_delay_alu instid0(VALU_DEP_2) | instskip(NEXT) | instid1(VALU_DEP_2)
	v_cndmask_b32_e64 v35, v37, v35, s5
	v_cndmask_b32_e64 v36, v38, v36, s5
	global_load_b64 v[35:36], v[35:36], off
	s_waitcnt vmcnt(0)
	ds_store_b64 v25, v[35:36]
.LBB21_16:                              ;   in Loop: Header=BB21_13 Depth=1
	s_or_b32 exec_lo, exec_lo, s25
	s_delay_alu instid0(SALU_CYCLE_1)
	s_and_b32 exec_lo, exec_lo, s4
	s_cbranch_execz .LBB21_18
; %bb.17:                               ;   in Loop: Header=BB21_13 Depth=1
	v_add_co_u32 v33, vcc_lo, v33, v16
	v_add_co_ci_u32_e32 v34, vcc_lo, v34, v17, vcc_lo
	v_add_co_u32 v31, vcc_lo, v31, v20
	v_add_co_ci_u32_e32 v32, vcc_lo, v32, v21, vcc_lo
	s_delay_alu instid0(VALU_DEP_2) | instskip(NEXT) | instid1(VALU_DEP_2)
	v_cndmask_b32_e64 v31, v31, v33, s5
	v_cndmask_b32_e64 v32, v32, v34, s5
	global_load_b64 v[31:32], v[31:32], off
	s_waitcnt vmcnt(0)
	ds_store_b64 v25, v[31:32] offset:512
.LBB21_18:                              ;   in Loop: Header=BB21_13 Depth=1
	s_or_b32 exec_lo, exec_lo, s24
	s_and_saveexec_b32 s24, s37
	s_cbranch_execz .LBB21_20
; %bb.19:                               ;   in Loop: Header=BB21_13 Depth=1
	s_mul_i32 s25, s15, s11
	s_mul_hi_u32 s40, s15, s10
	s_mul_i32 s41, s36, s10
	s_add_i32 s25, s40, s25
	s_mul_i32 s40, s15, s10
	s_add_i32 s41, s25, s41
	s_delay_alu instid0(SALU_CYCLE_1) | instskip(NEXT) | instid1(SALU_CYCLE_1)
	s_lshl_b64 s[40:41], s[40:41], 3
	v_add_co_u32 v31, vcc_lo, v27, s40
	v_add_co_ci_u32_e32 v32, vcc_lo, s41, v26, vcc_lo
	global_load_b64 v[31:32], v[31:32], off
	s_waitcnt vmcnt(0)
	ds_store_b64 v24, v[31:32]
.LBB21_20:                              ;   in Loop: Header=BB21_13 Depth=1
	s_or_b32 exec_lo, exec_lo, s24
	s_waitcnt lgkmcnt(0)
	s_barrier
	buffer_gl0_inv
	s_and_saveexec_b32 s40, s2
	s_cbranch_execz .LBB21_12
; %bb.21:                               ;   in Loop: Header=BB21_13 Depth=1
	s_and_saveexec_b32 s41, s38
	s_cbranch_execz .LBB21_29
; %bb.22:                               ;   in Loop: Header=BB21_13 Depth=1
	s_and_not1_b32 vcc_lo, exec_lo, s26
	s_cbranch_vccnz .LBB21_26
; %bb.23:                               ;   in Loop: Header=BB21_13 Depth=1
	v_dual_mov_b32 v31, v29 :: v_dual_mov_b32 v32, v28
	s_mov_b64 s[24:25], 0
	s_set_inst_prefetch_distance 0x1
	.p2align	6
.LBB21_24:                              ;   Parent Loop BB21_13 Depth=1
                                        ; =>  This Inner Loop Header: Depth=2
	ds_load_b128 v[33:36], v32
	ds_load_b128 v[37:40], v31
	ds_load_b128 v[41:44], v31 offset:16
	ds_load_b128 v[45:48], v32 offset:16
	s_add_u32 s24, s24, 8
	s_addc_u32 s25, s25, 0
	s_delay_alu instid0(SALU_CYCLE_1) | instskip(SKIP_2) | instid1(VALU_DEP_1)
	s_cmp_lg_u64 s[34:35], s[24:25]
	s_waitcnt lgkmcnt(2)
	v_fma_f64 v[0:1], v[37:38], v[33:34], v[0:1]
	v_fma_f64 v[0:1], v[39:40], v[35:36], v[0:1]
	s_waitcnt lgkmcnt(0)
	s_delay_alu instid0(VALU_DEP_1) | instskip(NEXT) | instid1(VALU_DEP_1)
	v_fma_f64 v[0:1], v[41:42], v[45:46], v[0:1]
	v_fma_f64 v[0:1], v[43:44], v[47:48], v[0:1]
	ds_load_b128 v[33:36], v32 offset:32
	ds_load_b128 v[37:40], v31 offset:32
	;; [unrolled: 1-line block ×4, first 2 shown]
	v_add_nc_u32_e32 v32, 64, v32
	v_add_nc_u32_e32 v31, 64, v31
	s_waitcnt lgkmcnt(2)
	v_fma_f64 v[0:1], v[37:38], v[33:34], v[0:1]
	s_delay_alu instid0(VALU_DEP_1) | instskip(SKIP_1) | instid1(VALU_DEP_1)
	v_fma_f64 v[0:1], v[39:40], v[35:36], v[0:1]
	s_waitcnt lgkmcnt(0)
	v_fma_f64 v[0:1], v[41:42], v[45:46], v[0:1]
	s_delay_alu instid0(VALU_DEP_1)
	v_fma_f64 v[0:1], v[43:44], v[47:48], v[0:1]
	s_cbranch_scc1 .LBB21_24
; %bb.25:                               ;   in Loop: Header=BB21_13 Depth=1
	s_set_inst_prefetch_distance 0x2
	s_mov_b64 s[24:25], s[34:35]
	s_and_not1_b32 vcc_lo, exec_lo, s27
	s_cbranch_vccz .LBB21_27
	s_branch .LBB21_29
.LBB21_26:                              ;   in Loop: Header=BB21_13 Depth=1
	s_mov_b64 s[24:25], 0
	s_and_not1_b32 vcc_lo, exec_lo, s27
	s_cbranch_vccnz .LBB21_29
.LBB21_27:                              ;   in Loop: Header=BB21_13 Depth=1
	s_lshl_b32 s24, s24, 3
	s_delay_alu instid0(SALU_CYCLE_1)
	v_add_nc_u32_e32 v31, s24, v28
	v_add_nc_u32_e32 v32, s24, v29
	s_mov_b64 s[24:25], s[18:19]
.LBB21_28:                              ;   Parent Loop BB21_13 Depth=1
                                        ; =>  This Inner Loop Header: Depth=2
	ds_load_b64 v[33:34], v32
	ds_load_b64 v[35:36], v31
	v_add_nc_u32_e32 v31, 8, v31
	v_add_nc_u32_e32 v32, 8, v32
	s_add_u32 s24, s24, -1
	s_addc_u32 s25, s25, -1
	s_delay_alu instid0(SALU_CYCLE_1)
	s_cmp_lg_u64 s[24:25], 0
	s_waitcnt lgkmcnt(0)
	v_fma_f64 v[0:1], v[33:34], v[35:36], v[0:1]
	s_cbranch_scc1 .LBB21_28
.LBB21_29:                              ;   in Loop: Header=BB21_13 Depth=1
	s_or_b32 exec_lo, exec_lo, s41
	s_and_saveexec_b32 s41, s39
	s_cbranch_execz .LBB21_11
; %bb.30:                               ;   in Loop: Header=BB21_13 Depth=1
	s_and_not1_b32 vcc_lo, exec_lo, s26
	s_cbranch_vccnz .LBB21_34
; %bb.31:                               ;   in Loop: Header=BB21_13 Depth=1
	v_dual_mov_b32 v31, v29 :: v_dual_mov_b32 v32, v30
	s_mov_b64 s[24:25], 0
	s_set_inst_prefetch_distance 0x1
	.p2align	6
.LBB21_32:                              ;   Parent Loop BB21_13 Depth=1
                                        ; =>  This Inner Loop Header: Depth=2
	ds_load_b128 v[33:36], v32
	ds_load_b128 v[37:40], v31
	ds_load_b128 v[41:44], v31 offset:16
	ds_load_b128 v[45:48], v32 offset:16
	s_add_u32 s24, s24, 8
	s_addc_u32 s25, s25, 0
	s_delay_alu instid0(SALU_CYCLE_1) | instskip(SKIP_2) | instid1(VALU_DEP_1)
	s_cmp_lg_u64 s[34:35], s[24:25]
	s_waitcnt lgkmcnt(2)
	v_fma_f64 v[2:3], v[37:38], v[33:34], v[2:3]
	v_fma_f64 v[2:3], v[39:40], v[35:36], v[2:3]
	s_waitcnt lgkmcnt(0)
	s_delay_alu instid0(VALU_DEP_1) | instskip(NEXT) | instid1(VALU_DEP_1)
	v_fma_f64 v[2:3], v[41:42], v[45:46], v[2:3]
	v_fma_f64 v[2:3], v[43:44], v[47:48], v[2:3]
	ds_load_b128 v[33:36], v32 offset:32
	ds_load_b128 v[37:40], v31 offset:32
	;; [unrolled: 1-line block ×4, first 2 shown]
	v_add_nc_u32_e32 v32, 64, v32
	v_add_nc_u32_e32 v31, 64, v31
	s_waitcnt lgkmcnt(2)
	v_fma_f64 v[2:3], v[37:38], v[33:34], v[2:3]
	s_delay_alu instid0(VALU_DEP_1) | instskip(SKIP_1) | instid1(VALU_DEP_1)
	v_fma_f64 v[2:3], v[39:40], v[35:36], v[2:3]
	s_waitcnt lgkmcnt(0)
	v_fma_f64 v[2:3], v[41:42], v[45:46], v[2:3]
	s_delay_alu instid0(VALU_DEP_1)
	v_fma_f64 v[2:3], v[43:44], v[47:48], v[2:3]
	s_cbranch_scc1 .LBB21_32
; %bb.33:                               ;   in Loop: Header=BB21_13 Depth=1
	s_set_inst_prefetch_distance 0x2
	s_mov_b64 s[24:25], s[34:35]
	s_and_not1_b32 vcc_lo, exec_lo, s27
	s_cbranch_vccz .LBB21_35
	s_branch .LBB21_11
.LBB21_34:                              ;   in Loop: Header=BB21_13 Depth=1
	s_mov_b64 s[24:25], 0
	s_and_not1_b32 vcc_lo, exec_lo, s27
	s_cbranch_vccnz .LBB21_11
.LBB21_35:                              ;   in Loop: Header=BB21_13 Depth=1
	s_lshl_b32 s24, s24, 3
	s_delay_alu instid0(SALU_CYCLE_1)
	v_add_nc_u32_e32 v31, s24, v30
	v_add_nc_u32_e32 v32, s24, v29
	s_mov_b64 s[24:25], s[18:19]
.LBB21_36:                              ;   Parent Loop BB21_13 Depth=1
                                        ; =>  This Inner Loop Header: Depth=2
	ds_load_b64 v[33:34], v32
	ds_load_b64 v[35:36], v31
	v_add_nc_u32_e32 v31, 8, v31
	v_add_nc_u32_e32 v32, 8, v32
	s_add_u32 s24, s24, -1
	s_addc_u32 s25, s25, -1
	s_delay_alu instid0(SALU_CYCLE_1)
	s_cmp_lg_u64 s[24:25], 0
	s_waitcnt lgkmcnt(0)
	v_fma_f64 v[2:3], v[33:34], v[35:36], v[2:3]
	s_cbranch_scc1 .LBB21_36
	s_branch .LBB21_11
.LBB21_37:
	s_delay_alu instid0(VALU_DEP_2) | instskip(NEXT) | instid1(SALU_CYCLE_1)
	s_and_b32 s2, s33, s2
	s_and_b32 exec_lo, exec_lo, s2
	s_cbranch_execz .LBB21_60
; %bb.38:
	v_mad_u64_u32 v[14:15], null, s14, s28, v[12:13]
	s_load_b64 s[2:3], s[0:1], 0x78
	v_cmp_neq_f64_e64 s0, 0, v[6:7]
	s_cmp_lg_u32 s8, 1
	s_mov_b32 s4, exec_lo
	s_delay_alu instid0(VALU_DEP_2) | instskip(NEXT) | instid1(VALU_DEP_1)
	v_mov_b32_e32 v12, v15
	v_mad_u64_u32 v[15:16], null, s14, s29, v[12:13]
	s_waitcnt lgkmcnt(0)
	v_mul_lo_u32 v16, v14, s3
	v_mad_u64_u32 v[12:13], null, v14, s2, 0
	s_delay_alu instid0(VALU_DEP_3) | instskip(NEXT) | instid1(VALU_DEP_1)
	v_mul_lo_u32 v17, v15, s2
	v_add3_u32 v13, v13, v16, v17
	v_lshlrev_b64 v[16:17], 3, v[14:15]
	s_delay_alu instid0(VALU_DEP_2) | instskip(NEXT) | instid1(VALU_DEP_1)
	v_lshlrev_b64 v[12:13], 3, v[12:13]
	v_add_co_u32 v14, s1, s12, v12
	s_delay_alu instid0(VALU_DEP_1) | instskip(NEXT) | instid1(VALU_DEP_4)
	v_add_co_ci_u32_e64 v15, s1, s13, v13, s1
	v_add_co_u32 v12, s1, s12, v16
	s_delay_alu instid0(VALU_DEP_1)
	v_add_co_ci_u32_e64 v13, s1, s13, v17, s1
	s_cselect_b32 s1, -1, 0
	v_cmpx_gt_i64_e64 s[6:7], v[10:11]
	s_cbranch_execz .LBB21_49
; %bb.39:
	s_and_saveexec_b32 s5, s0
	s_delay_alu instid0(SALU_CYCLE_1)
	s_xor_b32 s5, exec_lo, s5
	s_cbranch_execz .LBB21_44
; %bb.40:
	s_and_b32 vcc_lo, exec_lo, s1
	s_mov_b32 s8, -1
	s_cbranch_vccz .LBB21_42
; %bb.41:
	v_lshlrev_b64 v[16:17], 3, v[10:11]
	v_mul_f64 v[20:21], v[4:5], v[0:1]
	s_mov_b32 s8, 0
	s_delay_alu instid0(VALU_DEP_2) | instskip(NEXT) | instid1(VALU_DEP_3)
	v_add_co_u32 v16, vcc_lo, v14, v16
	v_add_co_ci_u32_e32 v17, vcc_lo, v15, v17, vcc_lo
	global_load_b64 v[18:19], v[16:17], off
	s_waitcnt vmcnt(0)
	v_fma_f64 v[18:19], v[6:7], v[18:19], v[20:21]
	global_store_b64 v[16:17], v[18:19], off
.LBB21_42:
	s_and_not1_b32 vcc_lo, exec_lo, s8
	s_cbranch_vccnz .LBB21_44
; %bb.43:
	v_mad_u64_u32 v[16:17], null, v10, s2, 0
	s_delay_alu instid0(VALU_DEP_1) | instskip(NEXT) | instid1(VALU_DEP_1)
	v_mov_b32_e32 v11, v17
	v_mad_u64_u32 v[17:18], null, v10, s3, v[11:12]
	v_mul_f64 v[18:19], v[4:5], v[0:1]
	s_delay_alu instid0(VALU_DEP_2) | instskip(NEXT) | instid1(VALU_DEP_1)
	v_lshlrev_b64 v[10:11], 3, v[16:17]
	v_add_co_u32 v10, vcc_lo, v12, v10
	s_delay_alu instid0(VALU_DEP_2)
	v_add_co_ci_u32_e32 v11, vcc_lo, v13, v11, vcc_lo
	global_load_b64 v[16:17], v[10:11], off
	s_waitcnt vmcnt(0)
	v_fma_f64 v[16:17], v[6:7], v[16:17], v[18:19]
	global_store_b64 v[10:11], v[16:17], off
                                        ; implicit-def: $vgpr10_vgpr11
.LBB21_44:
	s_and_not1_saveexec_b32 s5, s5
	s_cbranch_execz .LBB21_49
; %bb.45:
	v_mul_f64 v[0:1], v[4:5], v[0:1]
	s_and_b32 vcc_lo, exec_lo, s1
	s_mov_b32 s5, -1
	s_cbranch_vccz .LBB21_47
; %bb.46:
	v_lshlrev_b64 v[16:17], 3, v[10:11]
	s_mov_b32 s5, 0
	s_delay_alu instid0(VALU_DEP_1) | instskip(NEXT) | instid1(VALU_DEP_2)
	v_add_co_u32 v16, vcc_lo, v14, v16
	v_add_co_ci_u32_e32 v17, vcc_lo, v15, v17, vcc_lo
	global_store_b64 v[16:17], v[0:1], off
.LBB21_47:
	s_and_not1_b32 vcc_lo, exec_lo, s5
	s_cbranch_vccnz .LBB21_49
; %bb.48:
	v_mad_u64_u32 v[16:17], null, v10, s2, 0
	s_delay_alu instid0(VALU_DEP_1) | instskip(NEXT) | instid1(VALU_DEP_1)
	v_mov_b32_e32 v11, v17
	v_mad_u64_u32 v[17:18], null, v10, s3, v[11:12]
	s_delay_alu instid0(VALU_DEP_1) | instskip(NEXT) | instid1(VALU_DEP_1)
	v_lshlrev_b64 v[10:11], 3, v[16:17]
	v_add_co_u32 v10, vcc_lo, v12, v10
	s_delay_alu instid0(VALU_DEP_2)
	v_add_co_ci_u32_e32 v11, vcc_lo, v13, v11, vcc_lo
	global_store_b64 v[10:11], v[0:1], off
.LBB21_49:
	s_or_b32 exec_lo, exec_lo, s4
	v_cmp_gt_i64_e32 vcc_lo, s[6:7], v[8:9]
	s_and_b32 exec_lo, exec_lo, vcc_lo
	s_cbranch_execz .LBB21_60
; %bb.50:
	s_and_saveexec_b32 s4, s0
	s_delay_alu instid0(SALU_CYCLE_1)
	s_xor_b32 s0, exec_lo, s4
	s_cbranch_execz .LBB21_55
; %bb.51:
	s_and_not1_b32 vcc_lo, exec_lo, s1
	s_mov_b32 s4, -1
	s_cbranch_vccnz .LBB21_53
; %bb.52:
	v_lshlrev_b64 v[0:1], 3, v[8:9]
	s_mov_b32 s4, 0
	s_delay_alu instid0(VALU_DEP_1) | instskip(NEXT) | instid1(VALU_DEP_2)
	v_add_co_u32 v0, vcc_lo, v14, v0
	v_add_co_ci_u32_e32 v1, vcc_lo, v15, v1, vcc_lo
	v_mul_f64 v[14:15], v[4:5], v[2:3]
	global_load_b64 v[9:10], v[0:1], off
	s_waitcnt vmcnt(0)
	v_fma_f64 v[9:10], v[6:7], v[9:10], v[14:15]
	global_store_b64 v[0:1], v[9:10], off
.LBB21_53:
	s_and_not1_b32 vcc_lo, exec_lo, s4
                                        ; implicit-def: $vgpr14
                                        ; implicit-def: $vgpr15
	s_cbranch_vccnz .LBB21_55
; %bb.54:
	v_mad_u64_u32 v[0:1], null, v8, s2, 0
                                        ; implicit-def: $vgpr14
                                        ; implicit-def: $vgpr15
	s_delay_alu instid0(VALU_DEP_1) | instskip(SKIP_1) | instid1(VALU_DEP_2)
	v_mad_u64_u32 v[9:10], null, v8, s3, v[1:2]
	v_mul_f64 v[2:3], v[4:5], v[2:3]
                                        ; implicit-def: $vgpr4_vgpr5
	v_mov_b32_e32 v1, v9
	s_delay_alu instid0(VALU_DEP_1) | instskip(NEXT) | instid1(VALU_DEP_1)
	v_lshlrev_b64 v[0:1], 3, v[0:1]
	v_add_co_u32 v0, vcc_lo, v12, v0
	s_delay_alu instid0(VALU_DEP_2)
	v_add_co_ci_u32_e32 v1, vcc_lo, v13, v1, vcc_lo
                                        ; implicit-def: $vgpr12
                                        ; implicit-def: $vgpr13
	global_load_b64 v[8:9], v[0:1], off
	s_waitcnt vmcnt(0)
	v_fma_f64 v[2:3], v[6:7], v[8:9], v[2:3]
                                        ; implicit-def: $vgpr8_vgpr9
	global_store_b64 v[0:1], v[2:3], off
                                        ; implicit-def: $vgpr0_vgpr1_vgpr2_vgpr3
.LBB21_55:
	s_and_not1_saveexec_b32 s0, s0
	s_cbranch_execz .LBB21_60
; %bb.56:
	v_mul_f64 v[0:1], v[4:5], v[2:3]
	s_and_not1_b32 vcc_lo, exec_lo, s1
	s_mov_b32 s0, -1
	s_cbranch_vccnz .LBB21_58
; %bb.57:
	v_lshlrev_b64 v[2:3], 3, v[8:9]
	s_mov_b32 s0, 0
	s_delay_alu instid0(VALU_DEP_1) | instskip(NEXT) | instid1(VALU_DEP_2)
	v_add_co_u32 v2, vcc_lo, v14, v2
	v_add_co_ci_u32_e32 v3, vcc_lo, v15, v3, vcc_lo
	global_store_b64 v[2:3], v[0:1], off
.LBB21_58:
	s_and_not1_b32 vcc_lo, exec_lo, s0
	s_cbranch_vccnz .LBB21_60
; %bb.59:
	v_mad_u64_u32 v[2:3], null, v8, s2, 0
	s_delay_alu instid0(VALU_DEP_1) | instskip(NEXT) | instid1(VALU_DEP_1)
	v_mad_u64_u32 v[4:5], null, v8, s3, v[3:4]
	v_mov_b32_e32 v3, v4
	s_delay_alu instid0(VALU_DEP_1) | instskip(NEXT) | instid1(VALU_DEP_1)
	v_lshlrev_b64 v[2:3], 3, v[2:3]
	v_add_co_u32 v2, vcc_lo, v12, v2
	s_delay_alu instid0(VALU_DEP_2)
	v_add_co_ci_u32_e32 v3, vcc_lo, v13, v3, vcc_lo
	global_store_b64 v[2:3], v[0:1], off
.LBB21_60:
	s_nop 0
	s_sendmsg sendmsg(MSG_DEALLOC_VGPRS)
	s_endpgm
	.section	.rodata,"a",@progbits
	.p2align	6, 0x0
	.amdhsa_kernel _ZN9rocsparseL31bsrmm_large_blockdim_kernel_extILj4ELj16ELj2EllddddEEvb20rocsparse_direction_T3_S2_llNS_24const_host_device_scalarIT7_EEPKT2_PKS2_PKT4_S2_PKT5_llS5_PT6_ll16rocsparse_order_21rocsparse_index_base_b
		.amdhsa_group_segment_fixed_size 1152
		.amdhsa_private_segment_fixed_size 0
		.amdhsa_kernarg_size 148
		.amdhsa_user_sgpr_count 14
		.amdhsa_user_sgpr_dispatch_ptr 0
		.amdhsa_user_sgpr_queue_ptr 0
		.amdhsa_user_sgpr_kernarg_segment_ptr 1
		.amdhsa_user_sgpr_dispatch_id 0
		.amdhsa_user_sgpr_private_segment_size 0
		.amdhsa_wavefront_size32 1
		.amdhsa_uses_dynamic_stack 0
		.amdhsa_enable_private_segment 0
		.amdhsa_system_sgpr_workgroup_id_x 1
		.amdhsa_system_sgpr_workgroup_id_y 1
		.amdhsa_system_sgpr_workgroup_id_z 0
		.amdhsa_system_sgpr_workgroup_info 0
		.amdhsa_system_vgpr_workitem_id 1
		.amdhsa_next_free_vgpr 49
		.amdhsa_next_free_sgpr 44
		.amdhsa_reserve_vcc 1
		.amdhsa_float_round_mode_32 0
		.amdhsa_float_round_mode_16_64 0
		.amdhsa_float_denorm_mode_32 3
		.amdhsa_float_denorm_mode_16_64 3
		.amdhsa_dx10_clamp 1
		.amdhsa_ieee_mode 1
		.amdhsa_fp16_overflow 0
		.amdhsa_workgroup_processor_mode 1
		.amdhsa_memory_ordered 1
		.amdhsa_forward_progress 0
		.amdhsa_shared_vgpr_count 0
		.amdhsa_exception_fp_ieee_invalid_op 0
		.amdhsa_exception_fp_denorm_src 0
		.amdhsa_exception_fp_ieee_div_zero 0
		.amdhsa_exception_fp_ieee_overflow 0
		.amdhsa_exception_fp_ieee_underflow 0
		.amdhsa_exception_fp_ieee_inexact 0
		.amdhsa_exception_int_div_zero 0
	.end_amdhsa_kernel
	.section	.text._ZN9rocsparseL31bsrmm_large_blockdim_kernel_extILj4ELj16ELj2EllddddEEvb20rocsparse_direction_T3_S2_llNS_24const_host_device_scalarIT7_EEPKT2_PKS2_PKT4_S2_PKT5_llS5_PT6_ll16rocsparse_order_21rocsparse_index_base_b,"axG",@progbits,_ZN9rocsparseL31bsrmm_large_blockdim_kernel_extILj4ELj16ELj2EllddddEEvb20rocsparse_direction_T3_S2_llNS_24const_host_device_scalarIT7_EEPKT2_PKS2_PKT4_S2_PKT5_llS5_PT6_ll16rocsparse_order_21rocsparse_index_base_b,comdat
.Lfunc_end21:
	.size	_ZN9rocsparseL31bsrmm_large_blockdim_kernel_extILj4ELj16ELj2EllddddEEvb20rocsparse_direction_T3_S2_llNS_24const_host_device_scalarIT7_EEPKT2_PKS2_PKT4_S2_PKT5_llS5_PT6_ll16rocsparse_order_21rocsparse_index_base_b, .Lfunc_end21-_ZN9rocsparseL31bsrmm_large_blockdim_kernel_extILj4ELj16ELj2EllddddEEvb20rocsparse_direction_T3_S2_llNS_24const_host_device_scalarIT7_EEPKT2_PKS2_PKT4_S2_PKT5_llS5_PT6_ll16rocsparse_order_21rocsparse_index_base_b
                                        ; -- End function
	.section	.AMDGPU.csdata,"",@progbits
; Kernel info:
; codeLenInByte = 2872
; NumSgprs: 46
; NumVgprs: 49
; ScratchSize: 0
; MemoryBound: 0
; FloatMode: 240
; IeeeMode: 1
; LDSByteSize: 1152 bytes/workgroup (compile time only)
; SGPRBlocks: 5
; VGPRBlocks: 6
; NumSGPRsForWavesPerEU: 46
; NumVGPRsForWavesPerEU: 49
; Occupancy: 16
; WaveLimiterHint : 1
; COMPUTE_PGM_RSRC2:SCRATCH_EN: 0
; COMPUTE_PGM_RSRC2:USER_SGPR: 14
; COMPUTE_PGM_RSRC2:TRAP_HANDLER: 0
; COMPUTE_PGM_RSRC2:TGID_X_EN: 1
; COMPUTE_PGM_RSRC2:TGID_Y_EN: 1
; COMPUTE_PGM_RSRC2:TGID_Z_EN: 0
; COMPUTE_PGM_RSRC2:TIDIG_COMP_CNT: 1
	.section	.text._ZN9rocsparseL31bsrmm_large_blockdim_kernel_extILj16ELj16ELj2EllddddEEvb20rocsparse_direction_T3_S2_llNS_24const_host_device_scalarIT7_EEPKT2_PKS2_PKT4_S2_PKT5_llS5_PT6_ll16rocsparse_order_21rocsparse_index_base_b,"axG",@progbits,_ZN9rocsparseL31bsrmm_large_blockdim_kernel_extILj16ELj16ELj2EllddddEEvb20rocsparse_direction_T3_S2_llNS_24const_host_device_scalarIT7_EEPKT2_PKS2_PKT4_S2_PKT5_llS5_PT6_ll16rocsparse_order_21rocsparse_index_base_b,comdat
	.globl	_ZN9rocsparseL31bsrmm_large_blockdim_kernel_extILj16ELj16ELj2EllddddEEvb20rocsparse_direction_T3_S2_llNS_24const_host_device_scalarIT7_EEPKT2_PKS2_PKT4_S2_PKT5_llS5_PT6_ll16rocsparse_order_21rocsparse_index_base_b ; -- Begin function _ZN9rocsparseL31bsrmm_large_blockdim_kernel_extILj16ELj16ELj2EllddddEEvb20rocsparse_direction_T3_S2_llNS_24const_host_device_scalarIT7_EEPKT2_PKS2_PKT4_S2_PKT5_llS5_PT6_ll16rocsparse_order_21rocsparse_index_base_b
	.p2align	8
	.type	_ZN9rocsparseL31bsrmm_large_blockdim_kernel_extILj16ELj16ELj2EllddddEEvb20rocsparse_direction_T3_S2_llNS_24const_host_device_scalarIT7_EEPKT2_PKS2_PKT4_S2_PKT5_llS5_PT6_ll16rocsparse_order_21rocsparse_index_base_b,@function
_ZN9rocsparseL31bsrmm_large_blockdim_kernel_extILj16ELj16ELj2EllddddEEvb20rocsparse_direction_T3_S2_llNS_24const_host_device_scalarIT7_EEPKT2_PKS2_PKT4_S2_PKT5_llS5_PT6_ll16rocsparse_order_21rocsparse_index_base_b: ; @_ZN9rocsparseL31bsrmm_large_blockdim_kernel_extILj16ELj16ELj2EllddddEEvb20rocsparse_direction_T3_S2_llNS_24const_host_device_scalarIT7_EEPKT2_PKS2_PKT4_S2_PKT5_llS5_PT6_ll16rocsparse_order_21rocsparse_index_base_b
; %bb.0:
	s_clause 0x2
	s_load_b128 s[8:11], s[0:1], 0x88
	s_load_b64 s[6:7], s[0:1], 0x28
	s_load_b64 s[4:5], s[0:1], 0x68
	s_mov_b32 s2, s15
	s_waitcnt lgkmcnt(0)
	s_bitcmp1_b32 s10, 0
	v_dual_mov_b32 v4, s6 :: v_dual_mov_b32 v5, s7
	s_cselect_b32 s3, -1, 0
	s_delay_alu instid0(SALU_CYCLE_1)
	s_and_b32 vcc_lo, exec_lo, s3
	s_xor_b32 s3, s3, -1
	s_cbranch_vccnz .LBB22_2
; %bb.1:
	v_dual_mov_b32 v1, s6 :: v_dual_mov_b32 v2, s7
	flat_load_b64 v[4:5], v[1:2]
.LBB22_2:
	v_dual_mov_b32 v7, s5 :: v_dual_mov_b32 v6, s4
	s_and_not1_b32 vcc_lo, exec_lo, s3
	s_cbranch_vccnz .LBB22_4
; %bb.3:
	v_dual_mov_b32 v1, s4 :: v_dual_mov_b32 v2, s5
	flat_load_b64 v[6:7], v[1:2]
.LBB22_4:
	s_waitcnt vmcnt(0) lgkmcnt(0)
	v_cmp_neq_f64_e32 vcc_lo, 0, v[4:5]
	v_cmp_neq_f64_e64 s3, 1.0, v[6:7]
	s_mov_b64 s[10:11], 0
	s_delay_alu instid0(VALU_DEP_1) | instskip(NEXT) | instid1(SALU_CYCLE_1)
	s_or_b32 s3, vcc_lo, s3
	s_and_saveexec_b32 s4, s3
	s_cbranch_execz .LBB22_60
; %bb.5:
	s_clause 0x1
	s_load_b128 s[4:7], s[0:1], 0x8
	s_load_b64 s[12:13], s[0:1], 0x30
	s_ashr_i32 s15, s14, 31
	s_waitcnt lgkmcnt(0)
	v_cmp_ge_i64_e64 s3, s[14:15], s[4:5]
	v_cmp_lt_i64_e64 s33, s[14:15], s[4:5]
	s_delay_alu instid0(VALU_DEP_2)
	s_and_b32 vcc_lo, exec_lo, s3
	s_cbranch_vccnz .LBB22_7
; %bb.6:
	s_lshl_b64 s[4:5], s[14:15], 3
	s_delay_alu instid0(SALU_CYCLE_1)
	s_add_u32 s4, s12, s4
	s_addc_u32 s5, s13, s5
	s_load_b64 s[4:5], s[4:5], 0x0
	s_waitcnt lgkmcnt(0)
	s_sub_u32 s10, s4, s9
	s_subb_u32 s11, s5, 0
.LBB22_7:
	s_delay_alu instid0(VALU_DEP_1)
	s_and_not1_b32 vcc_lo, exec_lo, s33
	s_mov_b64 s[30:31], 0
	s_cbranch_vccnz .LBB22_9
; %bb.8:
	s_lshl_b64 s[4:5], s[14:15], 3
	s_delay_alu instid0(SALU_CYCLE_1)
	s_add_u32 s4, s12, s4
	s_addc_u32 s5, s13, s5
	s_load_b64 s[4:5], s[4:5], 0x8
	s_waitcnt lgkmcnt(0)
	s_sub_u32 s30, s4, s9
	s_subb_u32 s31, s5, 0
.LBB22_9:
	s_clause 0x1
	s_load_b64 s[28:29], s[0:1], 0x48
	s_load_b64 s[12:13], s[0:1], 0x70
	v_bfe_u32 v14, v0, 10, 10
	v_dual_mov_b32 v11, 0 :: v_dual_and_b32 v12, 0x3ff, v0
	s_mov_b32 s24, 0
	v_cmp_ge_i64_e64 s3, s[10:11], s[30:31]
	s_delay_alu instid0(VALU_DEP_3)
	v_lshl_add_u32 v10, s2, 5, v14
	s_mov_b32 s25, s24
	s_mov_b32 s26, s24
	v_mov_b32_e32 v9, v11
	s_mov_b32 s27, s24
	v_dual_mov_b32 v13, v11 :: v_dual_add_nc_u32 v8, 16, v10
	v_mov_b32_e32 v0, s24
	s_and_b32 vcc_lo, exec_lo, s3
	v_cmp_gt_i64_e64 s3, s[6:7], v[10:11]
	s_delay_alu instid0(VALU_DEP_3)
	v_cmp_gt_i64_e64 s4, s[6:7], v[8:9]
	v_dual_mov_b32 v1, s25 :: v_dual_mov_b32 v2, s26
	s_waitcnt lgkmcnt(0)
	v_cmp_gt_i64_e64 s2, s[28:29], v[12:13]
	v_mov_b32_e32 v3, s27
	s_cbranch_vccnz .LBB22_37
; %bb.10:
	s_clause 0x2
	s_load_b64 s[34:35], s[0:1], 0x0
	s_load_b128 s[16:19], s[0:1], 0x38
	s_load_b128 s[20:23], s[0:1], 0x50
	v_mad_u64_u32 v[0:1], null, v14, s28, 0
	v_mad_u64_u32 v[2:3], null, v12, s28, 0
	v_dual_mov_b32 v15, v11 :: v_dual_lshlrev_b32 v20, 4, v14
	s_mul_i32 s5, s28, s29
	s_mul_hi_u32 s36, s28, s28
	v_lshl_add_u32 v25, v12, 4, v14
	s_delay_alu instid0(VALU_DEP_2) | instskip(NEXT) | instid1(VALU_DEP_4)
	v_cmp_gt_i64_e32 vcc_lo, s[28:29], v[14:15]
	v_mad_u64_u32 v[16:17], null, v14, s29, v[1:2]
	s_add_i32 s36, s36, s5
	v_lshlrev_b32_e32 v28, 7, v14
	s_add_i32 s36, s36, s5
	s_and_b32 s37, s2, vcc_lo
	v_lshl_add_u32 v29, v12, 7, 0x1000
	s_waitcnt lgkmcnt(0)
	s_bitcmp1_b32 s34, 0
	v_add_nc_u32_e32 v30, 0x800, v28
	v_mad_u64_u32 v[17:18], null, v8, s22, 0
	v_mov_b32_e32 v1, v16
	v_mad_u64_u32 v[15:16], null, v12, s29, v[3:4]
	s_cselect_b32 s5, -1, 0
	s_cmp_eq_u32 s35, 0
	s_delay_alu instid0(VALU_DEP_2) | instskip(SKIP_2) | instid1(VALU_DEP_3)
	v_lshlrev_b64 v[0:1], 3, v[0:1]
	v_lshlrev_b32_e32 v26, 3, v14
	s_mul_i32 s15, s28, s28
	v_mov_b32_e32 v3, v15
	v_mad_u64_u32 v[15:16], null, v10, s22, 0
	v_lshlrev_b32_e32 v19, 3, v12
	v_add_co_u32 v21, vcc_lo, s18, v0
	v_add_co_ci_u32_e32 v24, vcc_lo, s19, v1, vcc_lo
	v_lshlrev_b64 v[0:1], 3, v[2:3]
	v_mov_b32_e32 v2, v16
	s_delay_alu instid0(VALU_DEP_4) | instskip(NEXT) | instid1(VALU_DEP_4)
	v_add_co_u32 v3, vcc_lo, v21, v19
	v_add_co_ci_u32_e32 v21, vcc_lo, 0, v24, vcc_lo
	s_delay_alu instid0(VALU_DEP_4)
	v_add_co_u32 v16, vcc_lo, s18, v0
	v_mov_b32_e32 v0, v18
	v_add_co_u32 v22, s34, s20, v19
	v_lshl_add_u32 v24, v25, 3, 0x1000
	v_add_co_ci_u32_e32 v25, vcc_lo, s19, v1, vcc_lo
	v_mad_u64_u32 v[18:19], null, v10, s23, v[2:3]
	v_mad_u64_u32 v[1:2], null, v8, s23, v[0:1]
	v_cmp_gt_i64_e64 s18, s[28:29], 0
	v_add_co_u32 v0, vcc_lo, v16, v26
	v_add_co_ci_u32_e32 v2, vcc_lo, 0, v25, vcc_lo
	s_cselect_b32 vcc_lo, -1, 0
	s_delay_alu instid0(VALU_DEP_2)
	v_dual_mov_b32 v16, v18 :: v_dual_cndmask_b32 v27, v3, v0
	v_mov_b32_e32 v18, v1
	s_and_b32 s38, s3, s18
	s_and_b32 s39, s4, s18
	s_add_u32 s40, s28, -1
	s_addc_u32 s41, s29, -1
	v_cndmask_b32_e32 v26, v21, v2, vcc_lo
	v_dual_mov_b32 v0, s24 :: v_dual_mov_b32 v3, s27
	v_add_lshl_u32 v25, v20, v12, 3
	s_and_b32 s18, s28, 7
	s_mov_b32 s19, s24
	v_dual_mov_b32 v1, s25 :: v_dual_mov_b32 v2, s26
	v_lshlrev_b64 v[14:15], 3, v[15:16]
	v_lshlrev_b64 v[16:17], 3, v[17:18]
	;; [unrolled: 1-line block ×4, first 2 shown]
	v_cmp_gt_u64_e64 s26, s[40:41], 6
	v_add_co_ci_u32_e64 v23, null, s21, 0, s34
	s_and_b32 s35, s29, 0x7fffffff
	s_and_b32 s34, s28, -8
	s_cmp_lg_u64 s[18:19], 0
	s_cselect_b32 s27, -1, 0
	s_branch .LBB22_13
.LBB22_11:                              ;   in Loop: Header=BB22_13 Depth=1
	s_or_b32 exec_lo, exec_lo, s41
.LBB22_12:                              ;   in Loop: Header=BB22_13 Depth=1
	s_delay_alu instid0(SALU_CYCLE_1) | instskip(SKIP_2) | instid1(SALU_CYCLE_1)
	s_or_b32 exec_lo, exec_lo, s40
	s_add_u32 s10, s10, 1
	s_addc_u32 s11, s11, 0
	v_cmp_ge_i64_e64 s24, s[10:11], s[30:31]
	s_barrier
	buffer_gl0_inv
	s_and_b32 vcc_lo, exec_lo, s24
	s_cbranch_vccnz .LBB22_37
.LBB22_13:                              ; =>This Loop Header: Depth=1
                                        ;     Child Loop BB22_24 Depth 2
                                        ;     Child Loop BB22_28 Depth 2
	;; [unrolled: 1-line block ×4, first 2 shown]
	s_and_saveexec_b32 s24, s2
	s_cbranch_execz .LBB22_18
; %bb.14:                               ;   in Loop: Header=BB22_13 Depth=1
	s_lshl_b64 s[40:41], s[10:11], 3
	s_delay_alu instid0(SALU_CYCLE_1)
	s_add_u32 s40, s16, s40
	s_addc_u32 s41, s17, s41
	s_load_b64 s[40:41], s[40:41], 0x0
	s_waitcnt lgkmcnt(0)
	s_sub_u32 s25, s40, s9
	s_subb_u32 s40, s41, 0
	s_mul_i32 s41, s25, s29
	s_mul_hi_u32 s42, s25, s28
	s_mul_i32 s43, s40, s28
	s_add_i32 s41, s42, s41
	s_mul_i32 s40, s25, s28
	s_add_i32 s41, s41, s43
	v_add_co_u32 v33, s25, s40, v12
	s_delay_alu instid0(VALU_DEP_1) | instskip(SKIP_1) | instid1(VALU_DEP_2)
	v_add_co_ci_u32_e64 v34, null, s41, 0, s25
	s_lshl_b64 s[40:41], s[40:41], 3
	v_mul_lo_u32 v35, v33, s23
	v_mad_u64_u32 v[31:32], null, v33, s22, 0
	s_delay_alu instid0(VALU_DEP_3) | instskip(NEXT) | instid1(VALU_DEP_1)
	v_mul_lo_u32 v33, v34, s22
	v_add3_u32 v32, v32, v35, v33
	s_delay_alu instid0(VALU_DEP_1) | instskip(NEXT) | instid1(VALU_DEP_1)
	v_lshlrev_b64 v[31:32], 3, v[31:32]
	v_add_co_u32 v31, vcc_lo, s20, v31
	s_delay_alu instid0(VALU_DEP_2)
	v_add_co_ci_u32_e32 v32, vcc_lo, s21, v32, vcc_lo
	v_add_co_u32 v33, vcc_lo, v22, s40
	v_add_co_ci_u32_e32 v34, vcc_lo, s41, v23, vcc_lo
	s_and_saveexec_b32 s25, s3
	s_cbranch_execz .LBB22_16
; %bb.15:                               ;   in Loop: Header=BB22_13 Depth=1
	s_delay_alu instid0(VALU_DEP_2) | instskip(NEXT) | instid1(VALU_DEP_2)
	v_add_co_u32 v35, vcc_lo, v33, v14
	v_add_co_ci_u32_e32 v36, vcc_lo, v34, v15, vcc_lo
	v_add_co_u32 v37, vcc_lo, v31, v18
	v_add_co_ci_u32_e32 v38, vcc_lo, v32, v19, vcc_lo
	s_delay_alu instid0(VALU_DEP_2) | instskip(NEXT) | instid1(VALU_DEP_2)
	v_cndmask_b32_e64 v35, v37, v35, s5
	v_cndmask_b32_e64 v36, v38, v36, s5
	global_load_b64 v[35:36], v[35:36], off
	s_waitcnt vmcnt(0)
	ds_store_b64 v25, v[35:36]
.LBB22_16:                              ;   in Loop: Header=BB22_13 Depth=1
	s_or_b32 exec_lo, exec_lo, s25
	s_delay_alu instid0(SALU_CYCLE_1)
	s_and_b32 exec_lo, exec_lo, s4
	s_cbranch_execz .LBB22_18
; %bb.17:                               ;   in Loop: Header=BB22_13 Depth=1
	v_add_co_u32 v33, vcc_lo, v33, v16
	v_add_co_ci_u32_e32 v34, vcc_lo, v34, v17, vcc_lo
	v_add_co_u32 v31, vcc_lo, v31, v20
	v_add_co_ci_u32_e32 v32, vcc_lo, v32, v21, vcc_lo
	s_delay_alu instid0(VALU_DEP_2) | instskip(NEXT) | instid1(VALU_DEP_2)
	v_cndmask_b32_e64 v31, v31, v33, s5
	v_cndmask_b32_e64 v32, v32, v34, s5
	global_load_b64 v[31:32], v[31:32], off
	s_waitcnt vmcnt(0)
	ds_store_b64 v25, v[31:32] offset:2048
.LBB22_18:                              ;   in Loop: Header=BB22_13 Depth=1
	s_or_b32 exec_lo, exec_lo, s24
	s_and_saveexec_b32 s24, s37
	s_cbranch_execz .LBB22_20
; %bb.19:                               ;   in Loop: Header=BB22_13 Depth=1
	s_mul_i32 s25, s15, s11
	s_mul_hi_u32 s40, s15, s10
	s_mul_i32 s41, s36, s10
	s_add_i32 s25, s40, s25
	s_mul_i32 s40, s15, s10
	s_add_i32 s41, s25, s41
	s_delay_alu instid0(SALU_CYCLE_1) | instskip(NEXT) | instid1(SALU_CYCLE_1)
	s_lshl_b64 s[40:41], s[40:41], 3
	v_add_co_u32 v31, vcc_lo, v27, s40
	v_add_co_ci_u32_e32 v32, vcc_lo, s41, v26, vcc_lo
	global_load_b64 v[31:32], v[31:32], off
	s_waitcnt vmcnt(0)
	ds_store_b64 v24, v[31:32]
.LBB22_20:                              ;   in Loop: Header=BB22_13 Depth=1
	s_or_b32 exec_lo, exec_lo, s24
	s_waitcnt lgkmcnt(0)
	s_barrier
	buffer_gl0_inv
	s_and_saveexec_b32 s40, s2
	s_cbranch_execz .LBB22_12
; %bb.21:                               ;   in Loop: Header=BB22_13 Depth=1
	s_and_saveexec_b32 s41, s38
	s_cbranch_execz .LBB22_29
; %bb.22:                               ;   in Loop: Header=BB22_13 Depth=1
	s_and_not1_b32 vcc_lo, exec_lo, s26
	s_cbranch_vccnz .LBB22_26
; %bb.23:                               ;   in Loop: Header=BB22_13 Depth=1
	v_dual_mov_b32 v31, v29 :: v_dual_mov_b32 v32, v28
	s_mov_b64 s[24:25], 0
	s_set_inst_prefetch_distance 0x1
	.p2align	6
.LBB22_24:                              ;   Parent Loop BB22_13 Depth=1
                                        ; =>  This Inner Loop Header: Depth=2
	ds_load_b128 v[33:36], v32
	ds_load_b128 v[37:40], v31
	ds_load_b128 v[41:44], v31 offset:16
	ds_load_b128 v[45:48], v32 offset:16
	s_add_u32 s24, s24, 8
	s_addc_u32 s25, s25, 0
	s_delay_alu instid0(SALU_CYCLE_1) | instskip(SKIP_2) | instid1(VALU_DEP_1)
	s_cmp_lg_u64 s[34:35], s[24:25]
	s_waitcnt lgkmcnt(2)
	v_fma_f64 v[0:1], v[37:38], v[33:34], v[0:1]
	v_fma_f64 v[0:1], v[39:40], v[35:36], v[0:1]
	s_waitcnt lgkmcnt(0)
	s_delay_alu instid0(VALU_DEP_1) | instskip(NEXT) | instid1(VALU_DEP_1)
	v_fma_f64 v[0:1], v[41:42], v[45:46], v[0:1]
	v_fma_f64 v[0:1], v[43:44], v[47:48], v[0:1]
	ds_load_b128 v[33:36], v32 offset:32
	ds_load_b128 v[37:40], v31 offset:32
	;; [unrolled: 1-line block ×4, first 2 shown]
	v_add_nc_u32_e32 v32, 64, v32
	v_add_nc_u32_e32 v31, 64, v31
	s_waitcnt lgkmcnt(2)
	v_fma_f64 v[0:1], v[37:38], v[33:34], v[0:1]
	s_delay_alu instid0(VALU_DEP_1) | instskip(SKIP_1) | instid1(VALU_DEP_1)
	v_fma_f64 v[0:1], v[39:40], v[35:36], v[0:1]
	s_waitcnt lgkmcnt(0)
	v_fma_f64 v[0:1], v[41:42], v[45:46], v[0:1]
	s_delay_alu instid0(VALU_DEP_1)
	v_fma_f64 v[0:1], v[43:44], v[47:48], v[0:1]
	s_cbranch_scc1 .LBB22_24
; %bb.25:                               ;   in Loop: Header=BB22_13 Depth=1
	s_set_inst_prefetch_distance 0x2
	s_mov_b64 s[24:25], s[34:35]
	s_and_not1_b32 vcc_lo, exec_lo, s27
	s_cbranch_vccz .LBB22_27
	s_branch .LBB22_29
.LBB22_26:                              ;   in Loop: Header=BB22_13 Depth=1
	s_mov_b64 s[24:25], 0
	s_and_not1_b32 vcc_lo, exec_lo, s27
	s_cbranch_vccnz .LBB22_29
.LBB22_27:                              ;   in Loop: Header=BB22_13 Depth=1
	s_lshl_b32 s24, s24, 3
	s_delay_alu instid0(SALU_CYCLE_1)
	v_add_nc_u32_e32 v31, s24, v28
	v_add_nc_u32_e32 v32, s24, v29
	s_mov_b64 s[24:25], s[18:19]
.LBB22_28:                              ;   Parent Loop BB22_13 Depth=1
                                        ; =>  This Inner Loop Header: Depth=2
	ds_load_b64 v[33:34], v32
	ds_load_b64 v[35:36], v31
	v_add_nc_u32_e32 v31, 8, v31
	v_add_nc_u32_e32 v32, 8, v32
	s_add_u32 s24, s24, -1
	s_addc_u32 s25, s25, -1
	s_delay_alu instid0(SALU_CYCLE_1)
	s_cmp_lg_u64 s[24:25], 0
	s_waitcnt lgkmcnt(0)
	v_fma_f64 v[0:1], v[33:34], v[35:36], v[0:1]
	s_cbranch_scc1 .LBB22_28
.LBB22_29:                              ;   in Loop: Header=BB22_13 Depth=1
	s_or_b32 exec_lo, exec_lo, s41
	s_and_saveexec_b32 s41, s39
	s_cbranch_execz .LBB22_11
; %bb.30:                               ;   in Loop: Header=BB22_13 Depth=1
	s_and_not1_b32 vcc_lo, exec_lo, s26
	s_cbranch_vccnz .LBB22_34
; %bb.31:                               ;   in Loop: Header=BB22_13 Depth=1
	v_dual_mov_b32 v31, v29 :: v_dual_mov_b32 v32, v30
	s_mov_b64 s[24:25], 0
	s_set_inst_prefetch_distance 0x1
	.p2align	6
.LBB22_32:                              ;   Parent Loop BB22_13 Depth=1
                                        ; =>  This Inner Loop Header: Depth=2
	ds_load_b128 v[33:36], v32
	ds_load_b128 v[37:40], v31
	ds_load_b128 v[41:44], v31 offset:16
	ds_load_b128 v[45:48], v32 offset:16
	s_add_u32 s24, s24, 8
	s_addc_u32 s25, s25, 0
	s_delay_alu instid0(SALU_CYCLE_1) | instskip(SKIP_2) | instid1(VALU_DEP_1)
	s_cmp_lg_u64 s[34:35], s[24:25]
	s_waitcnt lgkmcnt(2)
	v_fma_f64 v[2:3], v[37:38], v[33:34], v[2:3]
	v_fma_f64 v[2:3], v[39:40], v[35:36], v[2:3]
	s_waitcnt lgkmcnt(0)
	s_delay_alu instid0(VALU_DEP_1) | instskip(NEXT) | instid1(VALU_DEP_1)
	v_fma_f64 v[2:3], v[41:42], v[45:46], v[2:3]
	v_fma_f64 v[2:3], v[43:44], v[47:48], v[2:3]
	ds_load_b128 v[33:36], v32 offset:32
	ds_load_b128 v[37:40], v31 offset:32
	;; [unrolled: 1-line block ×4, first 2 shown]
	v_add_nc_u32_e32 v32, 64, v32
	v_add_nc_u32_e32 v31, 64, v31
	s_waitcnt lgkmcnt(2)
	v_fma_f64 v[2:3], v[37:38], v[33:34], v[2:3]
	s_delay_alu instid0(VALU_DEP_1) | instskip(SKIP_1) | instid1(VALU_DEP_1)
	v_fma_f64 v[2:3], v[39:40], v[35:36], v[2:3]
	s_waitcnt lgkmcnt(0)
	v_fma_f64 v[2:3], v[41:42], v[45:46], v[2:3]
	s_delay_alu instid0(VALU_DEP_1)
	v_fma_f64 v[2:3], v[43:44], v[47:48], v[2:3]
	s_cbranch_scc1 .LBB22_32
; %bb.33:                               ;   in Loop: Header=BB22_13 Depth=1
	s_set_inst_prefetch_distance 0x2
	s_mov_b64 s[24:25], s[34:35]
	s_and_not1_b32 vcc_lo, exec_lo, s27
	s_cbranch_vccz .LBB22_35
	s_branch .LBB22_11
.LBB22_34:                              ;   in Loop: Header=BB22_13 Depth=1
	s_mov_b64 s[24:25], 0
	s_and_not1_b32 vcc_lo, exec_lo, s27
	s_cbranch_vccnz .LBB22_11
.LBB22_35:                              ;   in Loop: Header=BB22_13 Depth=1
	s_lshl_b32 s24, s24, 3
	s_delay_alu instid0(SALU_CYCLE_1)
	v_add_nc_u32_e32 v31, s24, v30
	v_add_nc_u32_e32 v32, s24, v29
	s_mov_b64 s[24:25], s[18:19]
.LBB22_36:                              ;   Parent Loop BB22_13 Depth=1
                                        ; =>  This Inner Loop Header: Depth=2
	ds_load_b64 v[33:34], v32
	ds_load_b64 v[35:36], v31
	v_add_nc_u32_e32 v31, 8, v31
	v_add_nc_u32_e32 v32, 8, v32
	s_add_u32 s24, s24, -1
	s_addc_u32 s25, s25, -1
	s_delay_alu instid0(SALU_CYCLE_1)
	s_cmp_lg_u64 s[24:25], 0
	s_waitcnt lgkmcnt(0)
	v_fma_f64 v[2:3], v[33:34], v[35:36], v[2:3]
	s_cbranch_scc1 .LBB22_36
	s_branch .LBB22_11
.LBB22_37:
	s_delay_alu instid0(VALU_DEP_2) | instskip(NEXT) | instid1(SALU_CYCLE_1)
	s_and_b32 s2, s33, s2
	s_and_b32 exec_lo, exec_lo, s2
	s_cbranch_execz .LBB22_60
; %bb.38:
	v_mad_u64_u32 v[14:15], null, s14, s28, v[12:13]
	s_load_b64 s[2:3], s[0:1], 0x78
	v_cmp_neq_f64_e64 s0, 0, v[6:7]
	s_cmp_lg_u32 s8, 1
	s_mov_b32 s4, exec_lo
	s_delay_alu instid0(VALU_DEP_2) | instskip(NEXT) | instid1(VALU_DEP_1)
	v_mov_b32_e32 v12, v15
	v_mad_u64_u32 v[15:16], null, s14, s29, v[12:13]
	s_waitcnt lgkmcnt(0)
	v_mul_lo_u32 v16, v14, s3
	v_mad_u64_u32 v[12:13], null, v14, s2, 0
	s_delay_alu instid0(VALU_DEP_3) | instskip(NEXT) | instid1(VALU_DEP_1)
	v_mul_lo_u32 v17, v15, s2
	v_add3_u32 v13, v13, v16, v17
	v_lshlrev_b64 v[16:17], 3, v[14:15]
	s_delay_alu instid0(VALU_DEP_2) | instskip(NEXT) | instid1(VALU_DEP_1)
	v_lshlrev_b64 v[12:13], 3, v[12:13]
	v_add_co_u32 v14, s1, s12, v12
	s_delay_alu instid0(VALU_DEP_1) | instskip(NEXT) | instid1(VALU_DEP_4)
	v_add_co_ci_u32_e64 v15, s1, s13, v13, s1
	v_add_co_u32 v12, s1, s12, v16
	s_delay_alu instid0(VALU_DEP_1)
	v_add_co_ci_u32_e64 v13, s1, s13, v17, s1
	s_cselect_b32 s1, -1, 0
	v_cmpx_gt_i64_e64 s[6:7], v[10:11]
	s_cbranch_execz .LBB22_49
; %bb.39:
	s_and_saveexec_b32 s5, s0
	s_delay_alu instid0(SALU_CYCLE_1)
	s_xor_b32 s5, exec_lo, s5
	s_cbranch_execz .LBB22_44
; %bb.40:
	s_and_b32 vcc_lo, exec_lo, s1
	s_mov_b32 s8, -1
	s_cbranch_vccz .LBB22_42
; %bb.41:
	v_lshlrev_b64 v[16:17], 3, v[10:11]
	v_mul_f64 v[20:21], v[4:5], v[0:1]
	s_mov_b32 s8, 0
	s_delay_alu instid0(VALU_DEP_2) | instskip(NEXT) | instid1(VALU_DEP_3)
	v_add_co_u32 v16, vcc_lo, v14, v16
	v_add_co_ci_u32_e32 v17, vcc_lo, v15, v17, vcc_lo
	global_load_b64 v[18:19], v[16:17], off
	s_waitcnt vmcnt(0)
	v_fma_f64 v[18:19], v[6:7], v[18:19], v[20:21]
	global_store_b64 v[16:17], v[18:19], off
.LBB22_42:
	s_and_not1_b32 vcc_lo, exec_lo, s8
	s_cbranch_vccnz .LBB22_44
; %bb.43:
	v_mad_u64_u32 v[16:17], null, v10, s2, 0
	s_delay_alu instid0(VALU_DEP_1) | instskip(NEXT) | instid1(VALU_DEP_1)
	v_mov_b32_e32 v11, v17
	v_mad_u64_u32 v[17:18], null, v10, s3, v[11:12]
	v_mul_f64 v[18:19], v[4:5], v[0:1]
	s_delay_alu instid0(VALU_DEP_2) | instskip(NEXT) | instid1(VALU_DEP_1)
	v_lshlrev_b64 v[10:11], 3, v[16:17]
	v_add_co_u32 v10, vcc_lo, v12, v10
	s_delay_alu instid0(VALU_DEP_2)
	v_add_co_ci_u32_e32 v11, vcc_lo, v13, v11, vcc_lo
	global_load_b64 v[16:17], v[10:11], off
	s_waitcnt vmcnt(0)
	v_fma_f64 v[16:17], v[6:7], v[16:17], v[18:19]
	global_store_b64 v[10:11], v[16:17], off
                                        ; implicit-def: $vgpr10_vgpr11
.LBB22_44:
	s_and_not1_saveexec_b32 s5, s5
	s_cbranch_execz .LBB22_49
; %bb.45:
	v_mul_f64 v[0:1], v[4:5], v[0:1]
	s_and_b32 vcc_lo, exec_lo, s1
	s_mov_b32 s5, -1
	s_cbranch_vccz .LBB22_47
; %bb.46:
	v_lshlrev_b64 v[16:17], 3, v[10:11]
	s_mov_b32 s5, 0
	s_delay_alu instid0(VALU_DEP_1) | instskip(NEXT) | instid1(VALU_DEP_2)
	v_add_co_u32 v16, vcc_lo, v14, v16
	v_add_co_ci_u32_e32 v17, vcc_lo, v15, v17, vcc_lo
	global_store_b64 v[16:17], v[0:1], off
.LBB22_47:
	s_and_not1_b32 vcc_lo, exec_lo, s5
	s_cbranch_vccnz .LBB22_49
; %bb.48:
	v_mad_u64_u32 v[16:17], null, v10, s2, 0
	s_delay_alu instid0(VALU_DEP_1) | instskip(NEXT) | instid1(VALU_DEP_1)
	v_mov_b32_e32 v11, v17
	v_mad_u64_u32 v[17:18], null, v10, s3, v[11:12]
	s_delay_alu instid0(VALU_DEP_1) | instskip(NEXT) | instid1(VALU_DEP_1)
	v_lshlrev_b64 v[10:11], 3, v[16:17]
	v_add_co_u32 v10, vcc_lo, v12, v10
	s_delay_alu instid0(VALU_DEP_2)
	v_add_co_ci_u32_e32 v11, vcc_lo, v13, v11, vcc_lo
	global_store_b64 v[10:11], v[0:1], off
.LBB22_49:
	s_or_b32 exec_lo, exec_lo, s4
	v_cmp_gt_i64_e32 vcc_lo, s[6:7], v[8:9]
	s_and_b32 exec_lo, exec_lo, vcc_lo
	s_cbranch_execz .LBB22_60
; %bb.50:
	s_and_saveexec_b32 s4, s0
	s_delay_alu instid0(SALU_CYCLE_1)
	s_xor_b32 s0, exec_lo, s4
	s_cbranch_execz .LBB22_55
; %bb.51:
	s_and_not1_b32 vcc_lo, exec_lo, s1
	s_mov_b32 s4, -1
	s_cbranch_vccnz .LBB22_53
; %bb.52:
	v_lshlrev_b64 v[0:1], 3, v[8:9]
	s_mov_b32 s4, 0
	s_delay_alu instid0(VALU_DEP_1) | instskip(NEXT) | instid1(VALU_DEP_2)
	v_add_co_u32 v0, vcc_lo, v14, v0
	v_add_co_ci_u32_e32 v1, vcc_lo, v15, v1, vcc_lo
	v_mul_f64 v[14:15], v[4:5], v[2:3]
	global_load_b64 v[9:10], v[0:1], off
	s_waitcnt vmcnt(0)
	v_fma_f64 v[9:10], v[6:7], v[9:10], v[14:15]
	global_store_b64 v[0:1], v[9:10], off
.LBB22_53:
	s_and_not1_b32 vcc_lo, exec_lo, s4
                                        ; implicit-def: $vgpr14
                                        ; implicit-def: $vgpr15
	s_cbranch_vccnz .LBB22_55
; %bb.54:
	v_mad_u64_u32 v[0:1], null, v8, s2, 0
                                        ; implicit-def: $vgpr14
                                        ; implicit-def: $vgpr15
	s_delay_alu instid0(VALU_DEP_1) | instskip(SKIP_1) | instid1(VALU_DEP_2)
	v_mad_u64_u32 v[9:10], null, v8, s3, v[1:2]
	v_mul_f64 v[2:3], v[4:5], v[2:3]
                                        ; implicit-def: $vgpr4_vgpr5
	v_mov_b32_e32 v1, v9
	s_delay_alu instid0(VALU_DEP_1) | instskip(NEXT) | instid1(VALU_DEP_1)
	v_lshlrev_b64 v[0:1], 3, v[0:1]
	v_add_co_u32 v0, vcc_lo, v12, v0
	s_delay_alu instid0(VALU_DEP_2)
	v_add_co_ci_u32_e32 v1, vcc_lo, v13, v1, vcc_lo
                                        ; implicit-def: $vgpr12
                                        ; implicit-def: $vgpr13
	global_load_b64 v[8:9], v[0:1], off
	s_waitcnt vmcnt(0)
	v_fma_f64 v[2:3], v[6:7], v[8:9], v[2:3]
                                        ; implicit-def: $vgpr8_vgpr9
	global_store_b64 v[0:1], v[2:3], off
                                        ; implicit-def: $vgpr0_vgpr1_vgpr2_vgpr3
.LBB22_55:
	s_and_not1_saveexec_b32 s0, s0
	s_cbranch_execz .LBB22_60
; %bb.56:
	v_mul_f64 v[0:1], v[4:5], v[2:3]
	s_and_not1_b32 vcc_lo, exec_lo, s1
	s_mov_b32 s0, -1
	s_cbranch_vccnz .LBB22_58
; %bb.57:
	v_lshlrev_b64 v[2:3], 3, v[8:9]
	s_mov_b32 s0, 0
	s_delay_alu instid0(VALU_DEP_1) | instskip(NEXT) | instid1(VALU_DEP_2)
	v_add_co_u32 v2, vcc_lo, v14, v2
	v_add_co_ci_u32_e32 v3, vcc_lo, v15, v3, vcc_lo
	global_store_b64 v[2:3], v[0:1], off
.LBB22_58:
	s_and_not1_b32 vcc_lo, exec_lo, s0
	s_cbranch_vccnz .LBB22_60
; %bb.59:
	v_mad_u64_u32 v[2:3], null, v8, s2, 0
	s_delay_alu instid0(VALU_DEP_1) | instskip(NEXT) | instid1(VALU_DEP_1)
	v_mad_u64_u32 v[4:5], null, v8, s3, v[3:4]
	v_mov_b32_e32 v3, v4
	s_delay_alu instid0(VALU_DEP_1) | instskip(NEXT) | instid1(VALU_DEP_1)
	v_lshlrev_b64 v[2:3], 3, v[2:3]
	v_add_co_u32 v2, vcc_lo, v12, v2
	s_delay_alu instid0(VALU_DEP_2)
	v_add_co_ci_u32_e32 v3, vcc_lo, v13, v3, vcc_lo
	global_store_b64 v[2:3], v[0:1], off
.LBB22_60:
	s_nop 0
	s_sendmsg sendmsg(MSG_DEALLOC_VGPRS)
	s_endpgm
	.section	.rodata,"a",@progbits
	.p2align	6, 0x0
	.amdhsa_kernel _ZN9rocsparseL31bsrmm_large_blockdim_kernel_extILj16ELj16ELj2EllddddEEvb20rocsparse_direction_T3_S2_llNS_24const_host_device_scalarIT7_EEPKT2_PKS2_PKT4_S2_PKT5_llS5_PT6_ll16rocsparse_order_21rocsparse_index_base_b
		.amdhsa_group_segment_fixed_size 6144
		.amdhsa_private_segment_fixed_size 0
		.amdhsa_kernarg_size 148
		.amdhsa_user_sgpr_count 14
		.amdhsa_user_sgpr_dispatch_ptr 0
		.amdhsa_user_sgpr_queue_ptr 0
		.amdhsa_user_sgpr_kernarg_segment_ptr 1
		.amdhsa_user_sgpr_dispatch_id 0
		.amdhsa_user_sgpr_private_segment_size 0
		.amdhsa_wavefront_size32 1
		.amdhsa_uses_dynamic_stack 0
		.amdhsa_enable_private_segment 0
		.amdhsa_system_sgpr_workgroup_id_x 1
		.amdhsa_system_sgpr_workgroup_id_y 1
		.amdhsa_system_sgpr_workgroup_id_z 0
		.amdhsa_system_sgpr_workgroup_info 0
		.amdhsa_system_vgpr_workitem_id 1
		.amdhsa_next_free_vgpr 49
		.amdhsa_next_free_sgpr 44
		.amdhsa_reserve_vcc 1
		.amdhsa_float_round_mode_32 0
		.amdhsa_float_round_mode_16_64 0
		.amdhsa_float_denorm_mode_32 3
		.amdhsa_float_denorm_mode_16_64 3
		.amdhsa_dx10_clamp 1
		.amdhsa_ieee_mode 1
		.amdhsa_fp16_overflow 0
		.amdhsa_workgroup_processor_mode 1
		.amdhsa_memory_ordered 1
		.amdhsa_forward_progress 0
		.amdhsa_shared_vgpr_count 0
		.amdhsa_exception_fp_ieee_invalid_op 0
		.amdhsa_exception_fp_denorm_src 0
		.amdhsa_exception_fp_ieee_div_zero 0
		.amdhsa_exception_fp_ieee_overflow 0
		.amdhsa_exception_fp_ieee_underflow 0
		.amdhsa_exception_fp_ieee_inexact 0
		.amdhsa_exception_int_div_zero 0
	.end_amdhsa_kernel
	.section	.text._ZN9rocsparseL31bsrmm_large_blockdim_kernel_extILj16ELj16ELj2EllddddEEvb20rocsparse_direction_T3_S2_llNS_24const_host_device_scalarIT7_EEPKT2_PKS2_PKT4_S2_PKT5_llS5_PT6_ll16rocsparse_order_21rocsparse_index_base_b,"axG",@progbits,_ZN9rocsparseL31bsrmm_large_blockdim_kernel_extILj16ELj16ELj2EllddddEEvb20rocsparse_direction_T3_S2_llNS_24const_host_device_scalarIT7_EEPKT2_PKS2_PKT4_S2_PKT5_llS5_PT6_ll16rocsparse_order_21rocsparse_index_base_b,comdat
.Lfunc_end22:
	.size	_ZN9rocsparseL31bsrmm_large_blockdim_kernel_extILj16ELj16ELj2EllddddEEvb20rocsparse_direction_T3_S2_llNS_24const_host_device_scalarIT7_EEPKT2_PKS2_PKT4_S2_PKT5_llS5_PT6_ll16rocsparse_order_21rocsparse_index_base_b, .Lfunc_end22-_ZN9rocsparseL31bsrmm_large_blockdim_kernel_extILj16ELj16ELj2EllddddEEvb20rocsparse_direction_T3_S2_llNS_24const_host_device_scalarIT7_EEPKT2_PKS2_PKT4_S2_PKT5_llS5_PT6_ll16rocsparse_order_21rocsparse_index_base_b
                                        ; -- End function
	.section	.AMDGPU.csdata,"",@progbits
; Kernel info:
; codeLenInByte = 2872
; NumSgprs: 46
; NumVgprs: 49
; ScratchSize: 0
; MemoryBound: 0
; FloatMode: 240
; IeeeMode: 1
; LDSByteSize: 6144 bytes/workgroup (compile time only)
; SGPRBlocks: 5
; VGPRBlocks: 6
; NumSGPRsForWavesPerEU: 46
; NumVGPRsForWavesPerEU: 49
; Occupancy: 16
; WaveLimiterHint : 1
; COMPUTE_PGM_RSRC2:SCRATCH_EN: 0
; COMPUTE_PGM_RSRC2:USER_SGPR: 14
; COMPUTE_PGM_RSRC2:TRAP_HANDLER: 0
; COMPUTE_PGM_RSRC2:TGID_X_EN: 1
; COMPUTE_PGM_RSRC2:TGID_Y_EN: 1
; COMPUTE_PGM_RSRC2:TGID_Z_EN: 0
; COMPUTE_PGM_RSRC2:TIDIG_COMP_CNT: 1
	.section	.text._ZN9rocsparseL31bsrmm_large_blockdim_kernel_extILj32ELj32ELj2EllddddEEvb20rocsparse_direction_T3_S2_llNS_24const_host_device_scalarIT7_EEPKT2_PKS2_PKT4_S2_PKT5_llS5_PT6_ll16rocsparse_order_21rocsparse_index_base_b,"axG",@progbits,_ZN9rocsparseL31bsrmm_large_blockdim_kernel_extILj32ELj32ELj2EllddddEEvb20rocsparse_direction_T3_S2_llNS_24const_host_device_scalarIT7_EEPKT2_PKS2_PKT4_S2_PKT5_llS5_PT6_ll16rocsparse_order_21rocsparse_index_base_b,comdat
	.globl	_ZN9rocsparseL31bsrmm_large_blockdim_kernel_extILj32ELj32ELj2EllddddEEvb20rocsparse_direction_T3_S2_llNS_24const_host_device_scalarIT7_EEPKT2_PKS2_PKT4_S2_PKT5_llS5_PT6_ll16rocsparse_order_21rocsparse_index_base_b ; -- Begin function _ZN9rocsparseL31bsrmm_large_blockdim_kernel_extILj32ELj32ELj2EllddddEEvb20rocsparse_direction_T3_S2_llNS_24const_host_device_scalarIT7_EEPKT2_PKS2_PKT4_S2_PKT5_llS5_PT6_ll16rocsparse_order_21rocsparse_index_base_b
	.p2align	8
	.type	_ZN9rocsparseL31bsrmm_large_blockdim_kernel_extILj32ELj32ELj2EllddddEEvb20rocsparse_direction_T3_S2_llNS_24const_host_device_scalarIT7_EEPKT2_PKS2_PKT4_S2_PKT5_llS5_PT6_ll16rocsparse_order_21rocsparse_index_base_b,@function
_ZN9rocsparseL31bsrmm_large_blockdim_kernel_extILj32ELj32ELj2EllddddEEvb20rocsparse_direction_T3_S2_llNS_24const_host_device_scalarIT7_EEPKT2_PKS2_PKT4_S2_PKT5_llS5_PT6_ll16rocsparse_order_21rocsparse_index_base_b: ; @_ZN9rocsparseL31bsrmm_large_blockdim_kernel_extILj32ELj32ELj2EllddddEEvb20rocsparse_direction_T3_S2_llNS_24const_host_device_scalarIT7_EEPKT2_PKS2_PKT4_S2_PKT5_llS5_PT6_ll16rocsparse_order_21rocsparse_index_base_b
; %bb.0:
	s_clause 0x2
	s_load_b128 s[8:11], s[0:1], 0x88
	s_load_b64 s[6:7], s[0:1], 0x28
	s_load_b64 s[4:5], s[0:1], 0x68
	s_mov_b32 s2, s15
	s_waitcnt lgkmcnt(0)
	s_bitcmp1_b32 s10, 0
	v_dual_mov_b32 v4, s6 :: v_dual_mov_b32 v5, s7
	s_cselect_b32 s3, -1, 0
	s_delay_alu instid0(SALU_CYCLE_1)
	s_and_b32 vcc_lo, exec_lo, s3
	s_xor_b32 s3, s3, -1
	s_cbranch_vccnz .LBB23_2
; %bb.1:
	v_dual_mov_b32 v1, s6 :: v_dual_mov_b32 v2, s7
	flat_load_b64 v[4:5], v[1:2]
.LBB23_2:
	v_dual_mov_b32 v7, s5 :: v_dual_mov_b32 v6, s4
	s_and_not1_b32 vcc_lo, exec_lo, s3
	s_cbranch_vccnz .LBB23_4
; %bb.3:
	v_dual_mov_b32 v1, s4 :: v_dual_mov_b32 v2, s5
	flat_load_b64 v[6:7], v[1:2]
.LBB23_4:
	s_waitcnt vmcnt(0) lgkmcnt(0)
	v_cmp_neq_f64_e32 vcc_lo, 0, v[4:5]
	v_cmp_neq_f64_e64 s3, 1.0, v[6:7]
	s_mov_b64 s[10:11], 0
	s_delay_alu instid0(VALU_DEP_1) | instskip(NEXT) | instid1(SALU_CYCLE_1)
	s_or_b32 s3, vcc_lo, s3
	s_and_saveexec_b32 s4, s3
	s_cbranch_execz .LBB23_60
; %bb.5:
	s_clause 0x1
	s_load_b128 s[4:7], s[0:1], 0x8
	s_load_b64 s[12:13], s[0:1], 0x30
	s_ashr_i32 s15, s14, 31
	s_waitcnt lgkmcnt(0)
	v_cmp_ge_i64_e64 s3, s[14:15], s[4:5]
	v_cmp_lt_i64_e64 s33, s[14:15], s[4:5]
	s_delay_alu instid0(VALU_DEP_2)
	s_and_b32 vcc_lo, exec_lo, s3
	s_cbranch_vccnz .LBB23_7
; %bb.6:
	s_lshl_b64 s[4:5], s[14:15], 3
	s_delay_alu instid0(SALU_CYCLE_1)
	s_add_u32 s4, s12, s4
	s_addc_u32 s5, s13, s5
	s_load_b64 s[4:5], s[4:5], 0x0
	s_waitcnt lgkmcnt(0)
	s_sub_u32 s10, s4, s9
	s_subb_u32 s11, s5, 0
.LBB23_7:
	s_delay_alu instid0(VALU_DEP_1)
	s_and_not1_b32 vcc_lo, exec_lo, s33
	s_mov_b64 s[30:31], 0
	s_cbranch_vccnz .LBB23_9
; %bb.8:
	s_lshl_b64 s[4:5], s[14:15], 3
	s_delay_alu instid0(SALU_CYCLE_1)
	s_add_u32 s4, s12, s4
	s_addc_u32 s5, s13, s5
	s_load_b64 s[4:5], s[4:5], 0x8
	s_waitcnt lgkmcnt(0)
	s_sub_u32 s30, s4, s9
	s_subb_u32 s31, s5, 0
.LBB23_9:
	s_clause 0x1
	s_load_b64 s[28:29], s[0:1], 0x48
	s_load_b64 s[12:13], s[0:1], 0x70
	v_bfe_u32 v14, v0, 10, 10
	v_dual_mov_b32 v11, 0 :: v_dual_and_b32 v12, 0x3ff, v0
	s_mov_b32 s24, 0
	v_cmp_ge_i64_e64 s3, s[10:11], s[30:31]
	s_delay_alu instid0(VALU_DEP_3)
	v_lshl_add_u32 v10, s2, 6, v14
	s_mov_b32 s25, s24
	s_mov_b32 s26, s24
	v_mov_b32_e32 v9, v11
	s_mov_b32 s27, s24
	v_dual_mov_b32 v13, v11 :: v_dual_add_nc_u32 v8, 32, v10
	v_mov_b32_e32 v0, s24
	s_and_b32 vcc_lo, exec_lo, s3
	v_cmp_gt_i64_e64 s3, s[6:7], v[10:11]
	s_delay_alu instid0(VALU_DEP_3)
	v_cmp_gt_i64_e64 s4, s[6:7], v[8:9]
	v_dual_mov_b32 v1, s25 :: v_dual_mov_b32 v2, s26
	s_waitcnt lgkmcnt(0)
	v_cmp_gt_i64_e64 s2, s[28:29], v[12:13]
	v_mov_b32_e32 v3, s27
	s_cbranch_vccnz .LBB23_37
; %bb.10:
	s_clause 0x2
	s_load_b64 s[34:35], s[0:1], 0x0
	s_load_b128 s[16:19], s[0:1], 0x38
	s_load_b128 s[20:23], s[0:1], 0x50
	v_mad_u64_u32 v[0:1], null, v14, s28, 0
	v_mad_u64_u32 v[2:3], null, v12, s28, 0
	v_dual_mov_b32 v15, v11 :: v_dual_lshlrev_b32 v20, 5, v14
	s_mul_i32 s5, s28, s29
	s_mul_hi_u32 s36, s28, s28
	v_lshl_add_u32 v25, v12, 5, v14
	s_delay_alu instid0(VALU_DEP_2) | instskip(NEXT) | instid1(VALU_DEP_4)
	v_cmp_gt_i64_e32 vcc_lo, s[28:29], v[14:15]
	v_mad_u64_u32 v[16:17], null, v14, s29, v[1:2]
	s_add_i32 s36, s36, s5
	v_lshlrev_b32_e32 v28, 8, v14
	s_add_i32 s36, s36, s5
	s_and_b32 s37, s2, vcc_lo
	v_lshl_add_u32 v29, v12, 8, 0x4000
	s_waitcnt lgkmcnt(0)
	s_bitcmp1_b32 s34, 0
	v_add_nc_u32_e32 v30, 0x2000, v28
	v_mad_u64_u32 v[17:18], null, v8, s22, 0
	v_mov_b32_e32 v1, v16
	v_mad_u64_u32 v[15:16], null, v12, s29, v[3:4]
	s_cselect_b32 s5, -1, 0
	s_cmp_eq_u32 s35, 0
	s_delay_alu instid0(VALU_DEP_2) | instskip(SKIP_2) | instid1(VALU_DEP_3)
	v_lshlrev_b64 v[0:1], 3, v[0:1]
	v_lshlrev_b32_e32 v26, 3, v14
	s_mul_i32 s15, s28, s28
	v_mov_b32_e32 v3, v15
	v_mad_u64_u32 v[15:16], null, v10, s22, 0
	v_lshlrev_b32_e32 v19, 3, v12
	v_add_co_u32 v21, vcc_lo, s18, v0
	v_add_co_ci_u32_e32 v24, vcc_lo, s19, v1, vcc_lo
	v_lshlrev_b64 v[0:1], 3, v[2:3]
	v_mov_b32_e32 v2, v16
	s_delay_alu instid0(VALU_DEP_4) | instskip(NEXT) | instid1(VALU_DEP_4)
	v_add_co_u32 v3, vcc_lo, v21, v19
	v_add_co_ci_u32_e32 v21, vcc_lo, 0, v24, vcc_lo
	s_delay_alu instid0(VALU_DEP_4)
	v_add_co_u32 v16, vcc_lo, s18, v0
	v_mov_b32_e32 v0, v18
	v_add_co_u32 v22, s34, s20, v19
	v_lshl_add_u32 v24, v25, 3, 0x4000
	v_add_co_ci_u32_e32 v25, vcc_lo, s19, v1, vcc_lo
	v_mad_u64_u32 v[18:19], null, v10, s23, v[2:3]
	v_mad_u64_u32 v[1:2], null, v8, s23, v[0:1]
	v_cmp_gt_i64_e64 s18, s[28:29], 0
	v_add_co_u32 v0, vcc_lo, v16, v26
	v_add_co_ci_u32_e32 v2, vcc_lo, 0, v25, vcc_lo
	s_cselect_b32 vcc_lo, -1, 0
	s_delay_alu instid0(VALU_DEP_2)
	v_dual_mov_b32 v16, v18 :: v_dual_cndmask_b32 v27, v3, v0
	v_mov_b32_e32 v18, v1
	s_and_b32 s38, s3, s18
	s_and_b32 s39, s4, s18
	s_add_u32 s40, s28, -1
	s_addc_u32 s41, s29, -1
	v_cndmask_b32_e32 v26, v21, v2, vcc_lo
	v_dual_mov_b32 v0, s24 :: v_dual_mov_b32 v3, s27
	v_add_lshl_u32 v25, v20, v12, 3
	s_and_b32 s18, s28, 7
	s_mov_b32 s19, s24
	v_dual_mov_b32 v1, s25 :: v_dual_mov_b32 v2, s26
	v_lshlrev_b64 v[14:15], 3, v[15:16]
	v_lshlrev_b64 v[16:17], 3, v[17:18]
	;; [unrolled: 1-line block ×4, first 2 shown]
	v_cmp_gt_u64_e64 s26, s[40:41], 6
	v_add_co_ci_u32_e64 v23, null, s21, 0, s34
	s_and_b32 s35, s29, 0x7fffffff
	s_and_b32 s34, s28, -8
	s_cmp_lg_u64 s[18:19], 0
	s_cselect_b32 s27, -1, 0
	s_branch .LBB23_13
.LBB23_11:                              ;   in Loop: Header=BB23_13 Depth=1
	s_or_b32 exec_lo, exec_lo, s41
.LBB23_12:                              ;   in Loop: Header=BB23_13 Depth=1
	s_delay_alu instid0(SALU_CYCLE_1) | instskip(SKIP_2) | instid1(SALU_CYCLE_1)
	s_or_b32 exec_lo, exec_lo, s40
	s_add_u32 s10, s10, 1
	s_addc_u32 s11, s11, 0
	v_cmp_ge_i64_e64 s24, s[10:11], s[30:31]
	s_barrier
	buffer_gl0_inv
	s_and_b32 vcc_lo, exec_lo, s24
	s_cbranch_vccnz .LBB23_37
.LBB23_13:                              ; =>This Loop Header: Depth=1
                                        ;     Child Loop BB23_24 Depth 2
                                        ;     Child Loop BB23_28 Depth 2
	;; [unrolled: 1-line block ×4, first 2 shown]
	s_and_saveexec_b32 s24, s2
	s_cbranch_execz .LBB23_18
; %bb.14:                               ;   in Loop: Header=BB23_13 Depth=1
	s_lshl_b64 s[40:41], s[10:11], 3
	s_delay_alu instid0(SALU_CYCLE_1)
	s_add_u32 s40, s16, s40
	s_addc_u32 s41, s17, s41
	s_load_b64 s[40:41], s[40:41], 0x0
	s_waitcnt lgkmcnt(0)
	s_sub_u32 s25, s40, s9
	s_subb_u32 s40, s41, 0
	s_mul_i32 s41, s25, s29
	s_mul_hi_u32 s42, s25, s28
	s_mul_i32 s43, s40, s28
	s_add_i32 s41, s42, s41
	s_mul_i32 s40, s25, s28
	s_add_i32 s41, s41, s43
	v_add_co_u32 v33, s25, s40, v12
	s_delay_alu instid0(VALU_DEP_1) | instskip(SKIP_1) | instid1(VALU_DEP_2)
	v_add_co_ci_u32_e64 v34, null, s41, 0, s25
	s_lshl_b64 s[40:41], s[40:41], 3
	v_mul_lo_u32 v35, v33, s23
	v_mad_u64_u32 v[31:32], null, v33, s22, 0
	s_delay_alu instid0(VALU_DEP_3) | instskip(NEXT) | instid1(VALU_DEP_1)
	v_mul_lo_u32 v33, v34, s22
	v_add3_u32 v32, v32, v35, v33
	s_delay_alu instid0(VALU_DEP_1) | instskip(NEXT) | instid1(VALU_DEP_1)
	v_lshlrev_b64 v[31:32], 3, v[31:32]
	v_add_co_u32 v31, vcc_lo, s20, v31
	s_delay_alu instid0(VALU_DEP_2)
	v_add_co_ci_u32_e32 v32, vcc_lo, s21, v32, vcc_lo
	v_add_co_u32 v33, vcc_lo, v22, s40
	v_add_co_ci_u32_e32 v34, vcc_lo, s41, v23, vcc_lo
	s_and_saveexec_b32 s25, s3
	s_cbranch_execz .LBB23_16
; %bb.15:                               ;   in Loop: Header=BB23_13 Depth=1
	s_delay_alu instid0(VALU_DEP_2) | instskip(NEXT) | instid1(VALU_DEP_2)
	v_add_co_u32 v35, vcc_lo, v33, v14
	v_add_co_ci_u32_e32 v36, vcc_lo, v34, v15, vcc_lo
	v_add_co_u32 v37, vcc_lo, v31, v18
	v_add_co_ci_u32_e32 v38, vcc_lo, v32, v19, vcc_lo
	s_delay_alu instid0(VALU_DEP_2) | instskip(NEXT) | instid1(VALU_DEP_2)
	v_cndmask_b32_e64 v35, v37, v35, s5
	v_cndmask_b32_e64 v36, v38, v36, s5
	global_load_b64 v[35:36], v[35:36], off
	s_waitcnt vmcnt(0)
	ds_store_b64 v25, v[35:36]
.LBB23_16:                              ;   in Loop: Header=BB23_13 Depth=1
	s_or_b32 exec_lo, exec_lo, s25
	s_delay_alu instid0(SALU_CYCLE_1)
	s_and_b32 exec_lo, exec_lo, s4
	s_cbranch_execz .LBB23_18
; %bb.17:                               ;   in Loop: Header=BB23_13 Depth=1
	v_add_co_u32 v33, vcc_lo, v33, v16
	v_add_co_ci_u32_e32 v34, vcc_lo, v34, v17, vcc_lo
	v_add_co_u32 v31, vcc_lo, v31, v20
	v_add_co_ci_u32_e32 v32, vcc_lo, v32, v21, vcc_lo
	s_delay_alu instid0(VALU_DEP_2) | instskip(NEXT) | instid1(VALU_DEP_2)
	v_cndmask_b32_e64 v31, v31, v33, s5
	v_cndmask_b32_e64 v32, v32, v34, s5
	global_load_b64 v[31:32], v[31:32], off
	s_waitcnt vmcnt(0)
	ds_store_b64 v25, v[31:32] offset:8192
.LBB23_18:                              ;   in Loop: Header=BB23_13 Depth=1
	s_or_b32 exec_lo, exec_lo, s24
	s_and_saveexec_b32 s24, s37
	s_cbranch_execz .LBB23_20
; %bb.19:                               ;   in Loop: Header=BB23_13 Depth=1
	s_mul_i32 s25, s15, s11
	s_mul_hi_u32 s40, s15, s10
	s_mul_i32 s41, s36, s10
	s_add_i32 s25, s40, s25
	s_mul_i32 s40, s15, s10
	s_add_i32 s41, s25, s41
	s_delay_alu instid0(SALU_CYCLE_1) | instskip(NEXT) | instid1(SALU_CYCLE_1)
	s_lshl_b64 s[40:41], s[40:41], 3
	v_add_co_u32 v31, vcc_lo, v27, s40
	v_add_co_ci_u32_e32 v32, vcc_lo, s41, v26, vcc_lo
	global_load_b64 v[31:32], v[31:32], off
	s_waitcnt vmcnt(0)
	ds_store_b64 v24, v[31:32]
.LBB23_20:                              ;   in Loop: Header=BB23_13 Depth=1
	s_or_b32 exec_lo, exec_lo, s24
	s_waitcnt lgkmcnt(0)
	s_barrier
	buffer_gl0_inv
	s_and_saveexec_b32 s40, s2
	s_cbranch_execz .LBB23_12
; %bb.21:                               ;   in Loop: Header=BB23_13 Depth=1
	s_and_saveexec_b32 s41, s38
	s_cbranch_execz .LBB23_29
; %bb.22:                               ;   in Loop: Header=BB23_13 Depth=1
	s_and_not1_b32 vcc_lo, exec_lo, s26
	s_cbranch_vccnz .LBB23_26
; %bb.23:                               ;   in Loop: Header=BB23_13 Depth=1
	v_dual_mov_b32 v31, v29 :: v_dual_mov_b32 v32, v28
	s_mov_b64 s[24:25], 0
	s_set_inst_prefetch_distance 0x1
	.p2align	6
.LBB23_24:                              ;   Parent Loop BB23_13 Depth=1
                                        ; =>  This Inner Loop Header: Depth=2
	ds_load_b128 v[33:36], v32
	ds_load_b128 v[37:40], v31
	ds_load_b128 v[41:44], v31 offset:16
	ds_load_b128 v[45:48], v32 offset:16
	s_add_u32 s24, s24, 8
	s_addc_u32 s25, s25, 0
	s_delay_alu instid0(SALU_CYCLE_1) | instskip(SKIP_2) | instid1(VALU_DEP_1)
	s_cmp_lg_u64 s[34:35], s[24:25]
	s_waitcnt lgkmcnt(2)
	v_fma_f64 v[0:1], v[37:38], v[33:34], v[0:1]
	v_fma_f64 v[0:1], v[39:40], v[35:36], v[0:1]
	s_waitcnt lgkmcnt(0)
	s_delay_alu instid0(VALU_DEP_1) | instskip(NEXT) | instid1(VALU_DEP_1)
	v_fma_f64 v[0:1], v[41:42], v[45:46], v[0:1]
	v_fma_f64 v[0:1], v[43:44], v[47:48], v[0:1]
	ds_load_b128 v[33:36], v32 offset:32
	ds_load_b128 v[37:40], v31 offset:32
	;; [unrolled: 1-line block ×4, first 2 shown]
	v_add_nc_u32_e32 v32, 64, v32
	v_add_nc_u32_e32 v31, 64, v31
	s_waitcnt lgkmcnt(2)
	v_fma_f64 v[0:1], v[37:38], v[33:34], v[0:1]
	s_delay_alu instid0(VALU_DEP_1) | instskip(SKIP_1) | instid1(VALU_DEP_1)
	v_fma_f64 v[0:1], v[39:40], v[35:36], v[0:1]
	s_waitcnt lgkmcnt(0)
	v_fma_f64 v[0:1], v[41:42], v[45:46], v[0:1]
	s_delay_alu instid0(VALU_DEP_1)
	v_fma_f64 v[0:1], v[43:44], v[47:48], v[0:1]
	s_cbranch_scc1 .LBB23_24
; %bb.25:                               ;   in Loop: Header=BB23_13 Depth=1
	s_set_inst_prefetch_distance 0x2
	s_mov_b64 s[24:25], s[34:35]
	s_and_not1_b32 vcc_lo, exec_lo, s27
	s_cbranch_vccz .LBB23_27
	s_branch .LBB23_29
.LBB23_26:                              ;   in Loop: Header=BB23_13 Depth=1
	s_mov_b64 s[24:25], 0
	s_and_not1_b32 vcc_lo, exec_lo, s27
	s_cbranch_vccnz .LBB23_29
.LBB23_27:                              ;   in Loop: Header=BB23_13 Depth=1
	s_lshl_b32 s24, s24, 3
	s_delay_alu instid0(SALU_CYCLE_1)
	v_add_nc_u32_e32 v31, s24, v28
	v_add_nc_u32_e32 v32, s24, v29
	s_mov_b64 s[24:25], s[18:19]
.LBB23_28:                              ;   Parent Loop BB23_13 Depth=1
                                        ; =>  This Inner Loop Header: Depth=2
	ds_load_b64 v[33:34], v32
	ds_load_b64 v[35:36], v31
	v_add_nc_u32_e32 v31, 8, v31
	v_add_nc_u32_e32 v32, 8, v32
	s_add_u32 s24, s24, -1
	s_addc_u32 s25, s25, -1
	s_delay_alu instid0(SALU_CYCLE_1)
	s_cmp_lg_u64 s[24:25], 0
	s_waitcnt lgkmcnt(0)
	v_fma_f64 v[0:1], v[33:34], v[35:36], v[0:1]
	s_cbranch_scc1 .LBB23_28
.LBB23_29:                              ;   in Loop: Header=BB23_13 Depth=1
	s_or_b32 exec_lo, exec_lo, s41
	s_and_saveexec_b32 s41, s39
	s_cbranch_execz .LBB23_11
; %bb.30:                               ;   in Loop: Header=BB23_13 Depth=1
	s_and_not1_b32 vcc_lo, exec_lo, s26
	s_cbranch_vccnz .LBB23_34
; %bb.31:                               ;   in Loop: Header=BB23_13 Depth=1
	v_dual_mov_b32 v31, v29 :: v_dual_mov_b32 v32, v30
	s_mov_b64 s[24:25], 0
	s_set_inst_prefetch_distance 0x1
	.p2align	6
.LBB23_32:                              ;   Parent Loop BB23_13 Depth=1
                                        ; =>  This Inner Loop Header: Depth=2
	ds_load_b128 v[33:36], v32
	ds_load_b128 v[37:40], v31
	ds_load_b128 v[41:44], v31 offset:16
	ds_load_b128 v[45:48], v32 offset:16
	s_add_u32 s24, s24, 8
	s_addc_u32 s25, s25, 0
	s_delay_alu instid0(SALU_CYCLE_1) | instskip(SKIP_2) | instid1(VALU_DEP_1)
	s_cmp_lg_u64 s[34:35], s[24:25]
	s_waitcnt lgkmcnt(2)
	v_fma_f64 v[2:3], v[37:38], v[33:34], v[2:3]
	v_fma_f64 v[2:3], v[39:40], v[35:36], v[2:3]
	s_waitcnt lgkmcnt(0)
	s_delay_alu instid0(VALU_DEP_1) | instskip(NEXT) | instid1(VALU_DEP_1)
	v_fma_f64 v[2:3], v[41:42], v[45:46], v[2:3]
	v_fma_f64 v[2:3], v[43:44], v[47:48], v[2:3]
	ds_load_b128 v[33:36], v32 offset:32
	ds_load_b128 v[37:40], v31 offset:32
	;; [unrolled: 1-line block ×4, first 2 shown]
	v_add_nc_u32_e32 v32, 64, v32
	v_add_nc_u32_e32 v31, 64, v31
	s_waitcnt lgkmcnt(2)
	v_fma_f64 v[2:3], v[37:38], v[33:34], v[2:3]
	s_delay_alu instid0(VALU_DEP_1) | instskip(SKIP_1) | instid1(VALU_DEP_1)
	v_fma_f64 v[2:3], v[39:40], v[35:36], v[2:3]
	s_waitcnt lgkmcnt(0)
	v_fma_f64 v[2:3], v[41:42], v[45:46], v[2:3]
	s_delay_alu instid0(VALU_DEP_1)
	v_fma_f64 v[2:3], v[43:44], v[47:48], v[2:3]
	s_cbranch_scc1 .LBB23_32
; %bb.33:                               ;   in Loop: Header=BB23_13 Depth=1
	s_set_inst_prefetch_distance 0x2
	s_mov_b64 s[24:25], s[34:35]
	s_and_not1_b32 vcc_lo, exec_lo, s27
	s_cbranch_vccz .LBB23_35
	s_branch .LBB23_11
.LBB23_34:                              ;   in Loop: Header=BB23_13 Depth=1
	s_mov_b64 s[24:25], 0
	s_and_not1_b32 vcc_lo, exec_lo, s27
	s_cbranch_vccnz .LBB23_11
.LBB23_35:                              ;   in Loop: Header=BB23_13 Depth=1
	s_lshl_b32 s24, s24, 3
	s_delay_alu instid0(SALU_CYCLE_1)
	v_add_nc_u32_e32 v31, s24, v30
	v_add_nc_u32_e32 v32, s24, v29
	s_mov_b64 s[24:25], s[18:19]
.LBB23_36:                              ;   Parent Loop BB23_13 Depth=1
                                        ; =>  This Inner Loop Header: Depth=2
	ds_load_b64 v[33:34], v32
	ds_load_b64 v[35:36], v31
	v_add_nc_u32_e32 v31, 8, v31
	v_add_nc_u32_e32 v32, 8, v32
	s_add_u32 s24, s24, -1
	s_addc_u32 s25, s25, -1
	s_delay_alu instid0(SALU_CYCLE_1)
	s_cmp_lg_u64 s[24:25], 0
	s_waitcnt lgkmcnt(0)
	v_fma_f64 v[2:3], v[33:34], v[35:36], v[2:3]
	s_cbranch_scc1 .LBB23_36
	s_branch .LBB23_11
.LBB23_37:
	s_delay_alu instid0(VALU_DEP_2) | instskip(NEXT) | instid1(SALU_CYCLE_1)
	s_and_b32 s2, s33, s2
	s_and_b32 exec_lo, exec_lo, s2
	s_cbranch_execz .LBB23_60
; %bb.38:
	v_mad_u64_u32 v[14:15], null, s14, s28, v[12:13]
	s_load_b64 s[2:3], s[0:1], 0x78
	v_cmp_neq_f64_e64 s0, 0, v[6:7]
	s_cmp_lg_u32 s8, 1
	s_mov_b32 s4, exec_lo
	s_delay_alu instid0(VALU_DEP_2) | instskip(NEXT) | instid1(VALU_DEP_1)
	v_mov_b32_e32 v12, v15
	v_mad_u64_u32 v[15:16], null, s14, s29, v[12:13]
	s_waitcnt lgkmcnt(0)
	v_mul_lo_u32 v16, v14, s3
	v_mad_u64_u32 v[12:13], null, v14, s2, 0
	s_delay_alu instid0(VALU_DEP_3) | instskip(NEXT) | instid1(VALU_DEP_1)
	v_mul_lo_u32 v17, v15, s2
	v_add3_u32 v13, v13, v16, v17
	v_lshlrev_b64 v[16:17], 3, v[14:15]
	s_delay_alu instid0(VALU_DEP_2) | instskip(NEXT) | instid1(VALU_DEP_1)
	v_lshlrev_b64 v[12:13], 3, v[12:13]
	v_add_co_u32 v14, s1, s12, v12
	s_delay_alu instid0(VALU_DEP_1) | instskip(NEXT) | instid1(VALU_DEP_4)
	v_add_co_ci_u32_e64 v15, s1, s13, v13, s1
	v_add_co_u32 v12, s1, s12, v16
	s_delay_alu instid0(VALU_DEP_1)
	v_add_co_ci_u32_e64 v13, s1, s13, v17, s1
	s_cselect_b32 s1, -1, 0
	v_cmpx_gt_i64_e64 s[6:7], v[10:11]
	s_cbranch_execz .LBB23_49
; %bb.39:
	s_and_saveexec_b32 s5, s0
	s_delay_alu instid0(SALU_CYCLE_1)
	s_xor_b32 s5, exec_lo, s5
	s_cbranch_execz .LBB23_44
; %bb.40:
	s_and_b32 vcc_lo, exec_lo, s1
	s_mov_b32 s8, -1
	s_cbranch_vccz .LBB23_42
; %bb.41:
	v_lshlrev_b64 v[16:17], 3, v[10:11]
	v_mul_f64 v[20:21], v[4:5], v[0:1]
	s_mov_b32 s8, 0
	s_delay_alu instid0(VALU_DEP_2) | instskip(NEXT) | instid1(VALU_DEP_3)
	v_add_co_u32 v16, vcc_lo, v14, v16
	v_add_co_ci_u32_e32 v17, vcc_lo, v15, v17, vcc_lo
	global_load_b64 v[18:19], v[16:17], off
	s_waitcnt vmcnt(0)
	v_fma_f64 v[18:19], v[6:7], v[18:19], v[20:21]
	global_store_b64 v[16:17], v[18:19], off
.LBB23_42:
	s_and_not1_b32 vcc_lo, exec_lo, s8
	s_cbranch_vccnz .LBB23_44
; %bb.43:
	v_mad_u64_u32 v[16:17], null, v10, s2, 0
	s_delay_alu instid0(VALU_DEP_1) | instskip(NEXT) | instid1(VALU_DEP_1)
	v_mov_b32_e32 v11, v17
	v_mad_u64_u32 v[17:18], null, v10, s3, v[11:12]
	v_mul_f64 v[18:19], v[4:5], v[0:1]
	s_delay_alu instid0(VALU_DEP_2) | instskip(NEXT) | instid1(VALU_DEP_1)
	v_lshlrev_b64 v[10:11], 3, v[16:17]
	v_add_co_u32 v10, vcc_lo, v12, v10
	s_delay_alu instid0(VALU_DEP_2)
	v_add_co_ci_u32_e32 v11, vcc_lo, v13, v11, vcc_lo
	global_load_b64 v[16:17], v[10:11], off
	s_waitcnt vmcnt(0)
	v_fma_f64 v[16:17], v[6:7], v[16:17], v[18:19]
	global_store_b64 v[10:11], v[16:17], off
                                        ; implicit-def: $vgpr10_vgpr11
.LBB23_44:
	s_and_not1_saveexec_b32 s5, s5
	s_cbranch_execz .LBB23_49
; %bb.45:
	v_mul_f64 v[0:1], v[4:5], v[0:1]
	s_and_b32 vcc_lo, exec_lo, s1
	s_mov_b32 s5, -1
	s_cbranch_vccz .LBB23_47
; %bb.46:
	v_lshlrev_b64 v[16:17], 3, v[10:11]
	s_mov_b32 s5, 0
	s_delay_alu instid0(VALU_DEP_1) | instskip(NEXT) | instid1(VALU_DEP_2)
	v_add_co_u32 v16, vcc_lo, v14, v16
	v_add_co_ci_u32_e32 v17, vcc_lo, v15, v17, vcc_lo
	global_store_b64 v[16:17], v[0:1], off
.LBB23_47:
	s_and_not1_b32 vcc_lo, exec_lo, s5
	s_cbranch_vccnz .LBB23_49
; %bb.48:
	v_mad_u64_u32 v[16:17], null, v10, s2, 0
	s_delay_alu instid0(VALU_DEP_1) | instskip(NEXT) | instid1(VALU_DEP_1)
	v_mov_b32_e32 v11, v17
	v_mad_u64_u32 v[17:18], null, v10, s3, v[11:12]
	s_delay_alu instid0(VALU_DEP_1) | instskip(NEXT) | instid1(VALU_DEP_1)
	v_lshlrev_b64 v[10:11], 3, v[16:17]
	v_add_co_u32 v10, vcc_lo, v12, v10
	s_delay_alu instid0(VALU_DEP_2)
	v_add_co_ci_u32_e32 v11, vcc_lo, v13, v11, vcc_lo
	global_store_b64 v[10:11], v[0:1], off
.LBB23_49:
	s_or_b32 exec_lo, exec_lo, s4
	v_cmp_gt_i64_e32 vcc_lo, s[6:7], v[8:9]
	s_and_b32 exec_lo, exec_lo, vcc_lo
	s_cbranch_execz .LBB23_60
; %bb.50:
	s_and_saveexec_b32 s4, s0
	s_delay_alu instid0(SALU_CYCLE_1)
	s_xor_b32 s0, exec_lo, s4
	s_cbranch_execz .LBB23_55
; %bb.51:
	s_and_not1_b32 vcc_lo, exec_lo, s1
	s_mov_b32 s4, -1
	s_cbranch_vccnz .LBB23_53
; %bb.52:
	v_lshlrev_b64 v[0:1], 3, v[8:9]
	s_mov_b32 s4, 0
	s_delay_alu instid0(VALU_DEP_1) | instskip(NEXT) | instid1(VALU_DEP_2)
	v_add_co_u32 v0, vcc_lo, v14, v0
	v_add_co_ci_u32_e32 v1, vcc_lo, v15, v1, vcc_lo
	v_mul_f64 v[14:15], v[4:5], v[2:3]
	global_load_b64 v[9:10], v[0:1], off
	s_waitcnt vmcnt(0)
	v_fma_f64 v[9:10], v[6:7], v[9:10], v[14:15]
	global_store_b64 v[0:1], v[9:10], off
.LBB23_53:
	s_and_not1_b32 vcc_lo, exec_lo, s4
                                        ; implicit-def: $vgpr14
                                        ; implicit-def: $vgpr15
	s_cbranch_vccnz .LBB23_55
; %bb.54:
	v_mad_u64_u32 v[0:1], null, v8, s2, 0
                                        ; implicit-def: $vgpr14
                                        ; implicit-def: $vgpr15
	s_delay_alu instid0(VALU_DEP_1) | instskip(SKIP_1) | instid1(VALU_DEP_2)
	v_mad_u64_u32 v[9:10], null, v8, s3, v[1:2]
	v_mul_f64 v[2:3], v[4:5], v[2:3]
                                        ; implicit-def: $vgpr4_vgpr5
	v_mov_b32_e32 v1, v9
	s_delay_alu instid0(VALU_DEP_1) | instskip(NEXT) | instid1(VALU_DEP_1)
	v_lshlrev_b64 v[0:1], 3, v[0:1]
	v_add_co_u32 v0, vcc_lo, v12, v0
	s_delay_alu instid0(VALU_DEP_2)
	v_add_co_ci_u32_e32 v1, vcc_lo, v13, v1, vcc_lo
                                        ; implicit-def: $vgpr12
                                        ; implicit-def: $vgpr13
	global_load_b64 v[8:9], v[0:1], off
	s_waitcnt vmcnt(0)
	v_fma_f64 v[2:3], v[6:7], v[8:9], v[2:3]
                                        ; implicit-def: $vgpr8_vgpr9
	global_store_b64 v[0:1], v[2:3], off
                                        ; implicit-def: $vgpr0_vgpr1_vgpr2_vgpr3
.LBB23_55:
	s_and_not1_saveexec_b32 s0, s0
	s_cbranch_execz .LBB23_60
; %bb.56:
	v_mul_f64 v[0:1], v[4:5], v[2:3]
	s_and_not1_b32 vcc_lo, exec_lo, s1
	s_mov_b32 s0, -1
	s_cbranch_vccnz .LBB23_58
; %bb.57:
	v_lshlrev_b64 v[2:3], 3, v[8:9]
	s_mov_b32 s0, 0
	s_delay_alu instid0(VALU_DEP_1) | instskip(NEXT) | instid1(VALU_DEP_2)
	v_add_co_u32 v2, vcc_lo, v14, v2
	v_add_co_ci_u32_e32 v3, vcc_lo, v15, v3, vcc_lo
	global_store_b64 v[2:3], v[0:1], off
.LBB23_58:
	s_and_not1_b32 vcc_lo, exec_lo, s0
	s_cbranch_vccnz .LBB23_60
; %bb.59:
	v_mad_u64_u32 v[2:3], null, v8, s2, 0
	s_delay_alu instid0(VALU_DEP_1) | instskip(NEXT) | instid1(VALU_DEP_1)
	v_mad_u64_u32 v[4:5], null, v8, s3, v[3:4]
	v_mov_b32_e32 v3, v4
	s_delay_alu instid0(VALU_DEP_1) | instskip(NEXT) | instid1(VALU_DEP_1)
	v_lshlrev_b64 v[2:3], 3, v[2:3]
	v_add_co_u32 v2, vcc_lo, v12, v2
	s_delay_alu instid0(VALU_DEP_2)
	v_add_co_ci_u32_e32 v3, vcc_lo, v13, v3, vcc_lo
	global_store_b64 v[2:3], v[0:1], off
.LBB23_60:
	s_nop 0
	s_sendmsg sendmsg(MSG_DEALLOC_VGPRS)
	s_endpgm
	.section	.rodata,"a",@progbits
	.p2align	6, 0x0
	.amdhsa_kernel _ZN9rocsparseL31bsrmm_large_blockdim_kernel_extILj32ELj32ELj2EllddddEEvb20rocsparse_direction_T3_S2_llNS_24const_host_device_scalarIT7_EEPKT2_PKS2_PKT4_S2_PKT5_llS5_PT6_ll16rocsparse_order_21rocsparse_index_base_b
		.amdhsa_group_segment_fixed_size 24576
		.amdhsa_private_segment_fixed_size 0
		.amdhsa_kernarg_size 148
		.amdhsa_user_sgpr_count 14
		.amdhsa_user_sgpr_dispatch_ptr 0
		.amdhsa_user_sgpr_queue_ptr 0
		.amdhsa_user_sgpr_kernarg_segment_ptr 1
		.amdhsa_user_sgpr_dispatch_id 0
		.amdhsa_user_sgpr_private_segment_size 0
		.amdhsa_wavefront_size32 1
		.amdhsa_uses_dynamic_stack 0
		.amdhsa_enable_private_segment 0
		.amdhsa_system_sgpr_workgroup_id_x 1
		.amdhsa_system_sgpr_workgroup_id_y 1
		.amdhsa_system_sgpr_workgroup_id_z 0
		.amdhsa_system_sgpr_workgroup_info 0
		.amdhsa_system_vgpr_workitem_id 1
		.amdhsa_next_free_vgpr 49
		.amdhsa_next_free_sgpr 44
		.amdhsa_reserve_vcc 1
		.amdhsa_float_round_mode_32 0
		.amdhsa_float_round_mode_16_64 0
		.amdhsa_float_denorm_mode_32 3
		.amdhsa_float_denorm_mode_16_64 3
		.amdhsa_dx10_clamp 1
		.amdhsa_ieee_mode 1
		.amdhsa_fp16_overflow 0
		.amdhsa_workgroup_processor_mode 1
		.amdhsa_memory_ordered 1
		.amdhsa_forward_progress 0
		.amdhsa_shared_vgpr_count 0
		.amdhsa_exception_fp_ieee_invalid_op 0
		.amdhsa_exception_fp_denorm_src 0
		.amdhsa_exception_fp_ieee_div_zero 0
		.amdhsa_exception_fp_ieee_overflow 0
		.amdhsa_exception_fp_ieee_underflow 0
		.amdhsa_exception_fp_ieee_inexact 0
		.amdhsa_exception_int_div_zero 0
	.end_amdhsa_kernel
	.section	.text._ZN9rocsparseL31bsrmm_large_blockdim_kernel_extILj32ELj32ELj2EllddddEEvb20rocsparse_direction_T3_S2_llNS_24const_host_device_scalarIT7_EEPKT2_PKS2_PKT4_S2_PKT5_llS5_PT6_ll16rocsparse_order_21rocsparse_index_base_b,"axG",@progbits,_ZN9rocsparseL31bsrmm_large_blockdim_kernel_extILj32ELj32ELj2EllddddEEvb20rocsparse_direction_T3_S2_llNS_24const_host_device_scalarIT7_EEPKT2_PKS2_PKT4_S2_PKT5_llS5_PT6_ll16rocsparse_order_21rocsparse_index_base_b,comdat
.Lfunc_end23:
	.size	_ZN9rocsparseL31bsrmm_large_blockdim_kernel_extILj32ELj32ELj2EllddddEEvb20rocsparse_direction_T3_S2_llNS_24const_host_device_scalarIT7_EEPKT2_PKS2_PKT4_S2_PKT5_llS5_PT6_ll16rocsparse_order_21rocsparse_index_base_b, .Lfunc_end23-_ZN9rocsparseL31bsrmm_large_blockdim_kernel_extILj32ELj32ELj2EllddddEEvb20rocsparse_direction_T3_S2_llNS_24const_host_device_scalarIT7_EEPKT2_PKS2_PKT4_S2_PKT5_llS5_PT6_ll16rocsparse_order_21rocsparse_index_base_b
                                        ; -- End function
	.section	.AMDGPU.csdata,"",@progbits
; Kernel info:
; codeLenInByte = 2872
; NumSgprs: 46
; NumVgprs: 49
; ScratchSize: 0
; MemoryBound: 0
; FloatMode: 240
; IeeeMode: 1
; LDSByteSize: 24576 bytes/workgroup (compile time only)
; SGPRBlocks: 5
; VGPRBlocks: 6
; NumSGPRsForWavesPerEU: 46
; NumVGPRsForWavesPerEU: 49
; Occupancy: 16
; WaveLimiterHint : 1
; COMPUTE_PGM_RSRC2:SCRATCH_EN: 0
; COMPUTE_PGM_RSRC2:USER_SGPR: 14
; COMPUTE_PGM_RSRC2:TRAP_HANDLER: 0
; COMPUTE_PGM_RSRC2:TGID_X_EN: 1
; COMPUTE_PGM_RSRC2:TGID_Y_EN: 1
; COMPUTE_PGM_RSRC2:TGID_Z_EN: 0
; COMPUTE_PGM_RSRC2:TIDIG_COMP_CNT: 1
	.section	.text._ZN9rocsparseL31bsrmm_large_blockdim_kernel_extILj8ELj8ELj2Eii21rocsparse_complex_numIfES2_S2_S2_EEvb20rocsparse_direction_T3_S4_llNS_24const_host_device_scalarIT7_EEPKT2_PKS4_PKT4_S4_PKT5_llS7_PT6_ll16rocsparse_order_21rocsparse_index_base_b,"axG",@progbits,_ZN9rocsparseL31bsrmm_large_blockdim_kernel_extILj8ELj8ELj2Eii21rocsparse_complex_numIfES2_S2_S2_EEvb20rocsparse_direction_T3_S4_llNS_24const_host_device_scalarIT7_EEPKT2_PKS4_PKT4_S4_PKT5_llS7_PT6_ll16rocsparse_order_21rocsparse_index_base_b,comdat
	.globl	_ZN9rocsparseL31bsrmm_large_blockdim_kernel_extILj8ELj8ELj2Eii21rocsparse_complex_numIfES2_S2_S2_EEvb20rocsparse_direction_T3_S4_llNS_24const_host_device_scalarIT7_EEPKT2_PKS4_PKT4_S4_PKT5_llS7_PT6_ll16rocsparse_order_21rocsparse_index_base_b ; -- Begin function _ZN9rocsparseL31bsrmm_large_blockdim_kernel_extILj8ELj8ELj2Eii21rocsparse_complex_numIfES2_S2_S2_EEvb20rocsparse_direction_T3_S4_llNS_24const_host_device_scalarIT7_EEPKT2_PKS4_PKT4_S4_PKT5_llS7_PT6_ll16rocsparse_order_21rocsparse_index_base_b
	.p2align	8
	.type	_ZN9rocsparseL31bsrmm_large_blockdim_kernel_extILj8ELj8ELj2Eii21rocsparse_complex_numIfES2_S2_S2_EEvb20rocsparse_direction_T3_S4_llNS_24const_host_device_scalarIT7_EEPKT2_PKS4_PKT4_S4_PKT5_llS7_PT6_ll16rocsparse_order_21rocsparse_index_base_b,@function
_ZN9rocsparseL31bsrmm_large_blockdim_kernel_extILj8ELj8ELj2Eii21rocsparse_complex_numIfES2_S2_S2_EEvb20rocsparse_direction_T3_S4_llNS_24const_host_device_scalarIT7_EEPKT2_PKS4_PKT4_S4_PKT5_llS7_PT6_ll16rocsparse_order_21rocsparse_index_base_b: ; @_ZN9rocsparseL31bsrmm_large_blockdim_kernel_extILj8ELj8ELj2Eii21rocsparse_complex_numIfES2_S2_S2_EEvb20rocsparse_direction_T3_S4_llNS_24const_host_device_scalarIT7_EEPKT2_PKS4_PKT4_S4_PKT5_llS7_PT6_ll16rocsparse_order_21rocsparse_index_base_b
; %bb.0:
	s_clause 0x2
	s_load_b128 s[16:19], s[0:1], 0x80
	s_load_b64 s[6:7], s[0:1], 0x20
	s_load_b64 s[4:5], s[0:1], 0x60
	s_mov_b32 s2, s15
	s_waitcnt lgkmcnt(0)
	s_bitcmp1_b32 s18, 0
	v_mov_b32_e32 v14, s6
	s_cselect_b32 s3, -1, 0
	s_delay_alu instid0(SALU_CYCLE_1)
	s_and_b32 vcc_lo, exec_lo, s3
	s_xor_b32 s3, s3, -1
	s_cbranch_vccz .LBB24_40
; %bb.1:
	v_cndmask_b32_e64 v1, 0, 1, s3
	v_mov_b32_e32 v15, s7
	s_and_not1_b32 vcc_lo, exec_lo, s3
	s_cbranch_vccz .LBB24_41
.LBB24_2:
	s_delay_alu instid0(VALU_DEP_2)
	v_cmp_ne_u32_e32 vcc_lo, 1, v1
	v_mov_b32_e32 v16, s4
	s_cbranch_vccz .LBB24_42
.LBB24_3:
	v_cmp_ne_u32_e32 vcc_lo, 1, v1
	v_mov_b32_e32 v17, s5
	s_cbranch_vccnz .LBB24_5
.LBB24_4:
	v_dual_mov_b32 v1, s4 :: v_dual_mov_b32 v2, s5
	flat_load_b32 v17, v[1:2] offset:4
.LBB24_5:
	s_waitcnt vmcnt(0) lgkmcnt(0)
	v_cmp_eq_f32_e32 vcc_lo, 0, v14
	v_cmp_eq_f32_e64 s3, 0, v15
	s_delay_alu instid0(VALU_DEP_1)
	s_and_b32 s5, vcc_lo, s3
	s_mov_b32 s3, -1
	s_and_saveexec_b32 s4, s5
; %bb.6:
	v_cmp_neq_f32_e32 vcc_lo, 1.0, v16
	v_cmp_neq_f32_e64 s3, 0, v17
	s_delay_alu instid0(VALU_DEP_1) | instskip(NEXT) | instid1(SALU_CYCLE_1)
	s_or_b32 s3, vcc_lo, s3
	s_or_not1_b32 s3, s3, exec_lo
; %bb.7:
	s_or_b32 exec_lo, exec_lo, s4
	s_and_saveexec_b32 s4, s3
	s_cbranch_execz .LBB24_66
; %bb.8:
	s_clause 0x1
	s_load_b128 s[8:11], s[0:1], 0x0
	s_load_b64 s[4:5], s[0:1], 0x28
	s_mov_b32 s19, 0
	s_mov_b32 s12, 0
	s_waitcnt lgkmcnt(0)
	s_cmp_lt_i32 s14, s10
	s_cselect_b32 s18, -1, 0
	s_cmp_ge_i32 s14, s10
	s_cbranch_scc1 .LBB24_10
; %bb.9:
	s_ashr_i32 s15, s14, 31
	s_delay_alu instid0(SALU_CYCLE_1) | instskip(NEXT) | instid1(SALU_CYCLE_1)
	s_lshl_b64 s[6:7], s[14:15], 2
	s_add_u32 s6, s4, s6
	s_addc_u32 s7, s5, s7
	s_load_b32 s3, s[6:7], 0x0
	s_waitcnt lgkmcnt(0)
	s_sub_i32 s12, s3, s17
.LBB24_10:
	s_and_not1_b32 vcc_lo, exec_lo, s18
	s_cbranch_vccnz .LBB24_12
; %bb.11:
	s_ashr_i32 s15, s14, 31
	s_delay_alu instid0(SALU_CYCLE_1) | instskip(NEXT) | instid1(SALU_CYCLE_1)
	s_lshl_b64 s[6:7], s[14:15], 2
	s_add_u32 s4, s4, s6
	s_addc_u32 s5, s5, s7
	s_load_b32 s3, s[4:5], 0x4
	s_waitcnt lgkmcnt(0)
	s_sub_i32 s19, s3, s17
.LBB24_12:
	s_clause 0x1
	s_load_b32 s10, s[0:1], 0x40
	s_load_b64 s[6:7], s[0:1], 0x68
	v_bfe_u32 v5, v0, 10, 10
	v_dual_mov_b32 v1, 0 :: v_dual_and_b32 v4, 0x3ff, v0
	v_mov_b32_e32 v20, 0
	v_mov_b32_e32 v18, 0
	s_delay_alu instid0(VALU_DEP_4) | instskip(SKIP_1) | instid1(VALU_DEP_1)
	v_lshl_add_u32 v2, s2, 4, v5
	s_cmp_ge_i32 s12, s19
	v_dual_mov_b32 v19, 0 :: v_dual_add_nc_u32 v0, 8, v2
	v_cmp_gt_i32_e64 s3, s11, v2
	s_delay_alu instid0(VALU_DEP_2)
	v_cmp_gt_i32_e64 s4, s11, v0
	s_waitcnt lgkmcnt(0)
	v_cmp_gt_i32_e64 s2, s10, v4
	s_cbranch_scc1 .LBB24_43
; %bb.13:
	s_clause 0x1
	s_load_b128 s[20:23], s[0:1], 0x48
	s_load_b128 s[24:27], s[0:1], 0x30
	v_mad_u64_u32 v[6:7], null, v5, s10, v[4:5]
	v_ashrrev_i32_e32 v3, 31, v2
	v_ashrrev_i32_e32 v1, 31, v0
	v_cmp_gt_i32_e32 vcc_lo, s10, v5
	v_lshl_add_u32 v13, v4, 3, v5
	v_lshl_add_u32 v24, v4, 6, 0x400
	s_mul_i32 s29, s10, s10
	v_mad_u64_u32 v[7:8], null, v4, s10, v[5:6]
	s_and_b32 s15, s2, vcc_lo
	s_bitcmp1_b32 s8, 0
	v_lshl_add_u32 v21, v13, 3, 0x400
	s_cselect_b32 s5, -1, 0
	s_cmp_eq_u32 s9, 0
	s_cselect_b32 vcc_lo, -1, 0
	v_lshlrev_b32_e32 v12, 3, v5
	s_waitcnt lgkmcnt(0)
	v_mul_lo_u32 v18, v2, s23
	v_mul_lo_u32 v19, v3, s22
	v_mad_u64_u32 v[8:9], null, v2, s22, 0
	v_mul_lo_u32 v20, v0, s23
	v_mul_lo_u32 v23, v1, s22
	v_mad_u64_u32 v[10:11], null, v0, s22, 0
	s_add_i32 s9, s10, -1
	s_and_b32 s8, s10, 7
	s_delay_alu instid0(VALU_DEP_4) | instskip(SKIP_3) | instid1(VALU_DEP_3)
	v_add3_u32 v9, v9, v18, v19
	s_cmp_gt_u32 s9, 6
	v_mov_b32_e32 v18, 0
	s_cselect_b32 s9, -1, 0
	v_add3_u32 v11, v11, v20, v23
	v_lshlrev_b32_e32 v23, 6, v5
	v_cndmask_b32_e32 v5, v6, v7, vcc_lo
	v_add_lshl_u32 v22, v12, v4, 3
	v_lshlrev_b64 v[6:7], 3, v[8:9]
	v_lshlrev_b64 v[8:9], 3, v[2:3]
	;; [unrolled: 1-line block ×4, first 2 shown]
	s_and_b32 s28, s10, -8
	v_dual_mov_b32 v20, 0 :: v_dual_add_nc_u32 v25, 0x200, v23
	v_mov_b32_e32 v19, 0
	v_mov_b32_e32 v1, 0
	s_cmp_lg_u32 s8, 0
	s_cselect_b32 s30, -1, 0
	s_branch .LBB24_16
.LBB24_14:                              ;   in Loop: Header=BB24_16 Depth=1
	s_or_b32 exec_lo, exec_lo, s31
.LBB24_15:                              ;   in Loop: Header=BB24_16 Depth=1
	s_delay_alu instid0(SALU_CYCLE_1) | instskip(SKIP_1) | instid1(SALU_CYCLE_1)
	s_or_b32 exec_lo, exec_lo, s13
	s_add_i32 s12, s12, 1
	s_cmp_ge_i32 s12, s19
	s_barrier
	buffer_gl0_inv
	s_cbranch_scc1 .LBB24_43
.LBB24_16:                              ; =>This Loop Header: Depth=1
                                        ;     Child Loop BB24_27 Depth 2
                                        ;     Child Loop BB24_31 Depth 2
	;; [unrolled: 1-line block ×4, first 2 shown]
	s_and_saveexec_b32 s31, s2
	s_cbranch_execz .LBB24_21
; %bb.17:                               ;   in Loop: Header=BB24_16 Depth=1
	s_ashr_i32 s13, s12, 31
	s_delay_alu instid0(SALU_CYCLE_1) | instskip(NEXT) | instid1(SALU_CYCLE_1)
	s_lshl_b64 s[34:35], s[12:13], 2
	s_add_u32 s34, s24, s34
	s_addc_u32 s35, s25, s35
	s_load_b32 s13, s[34:35], 0x0
	s_waitcnt lgkmcnt(0)
	s_sub_i32 s13, s13, s17
	s_delay_alu instid0(SALU_CYCLE_1) | instskip(NEXT) | instid1(VALU_DEP_1)
	v_mad_u64_u32 v[26:27], null, s13, s10, v[4:5]
	v_ashrrev_i32_e32 v27, 31, v26
	v_mul_lo_u32 v3, v26, s23
	v_mad_u64_u32 v[28:29], null, v26, s22, 0
	s_delay_alu instid0(VALU_DEP_3) | instskip(NEXT) | instid1(VALU_DEP_1)
	v_mul_lo_u32 v30, v27, s22
	v_add3_u32 v29, v29, v3, v30
	v_lshlrev_b64 v[30:31], 3, v[26:27]
	s_delay_alu instid0(VALU_DEP_2) | instskip(NEXT) | instid1(VALU_DEP_1)
	v_lshlrev_b64 v[28:29], 3, v[28:29]
	v_add_co_u32 v3, vcc_lo, s20, v28
	s_delay_alu instid0(VALU_DEP_2) | instskip(NEXT) | instid1(VALU_DEP_4)
	v_add_co_ci_u32_e32 v26, vcc_lo, s21, v29, vcc_lo
	v_add_co_u32 v27, vcc_lo, s20, v30
	v_add_co_ci_u32_e32 v28, vcc_lo, s21, v31, vcc_lo
	s_and_saveexec_b32 s13, s3
	s_cbranch_execz .LBB24_19
; %bb.18:                               ;   in Loop: Header=BB24_16 Depth=1
	s_delay_alu instid0(VALU_DEP_2) | instskip(NEXT) | instid1(VALU_DEP_2)
	v_add_co_u32 v29, vcc_lo, v27, v6
	v_add_co_ci_u32_e32 v30, vcc_lo, v28, v7, vcc_lo
	v_add_co_u32 v31, vcc_lo, v3, v8
	v_add_co_ci_u32_e32 v32, vcc_lo, v26, v9, vcc_lo
	s_delay_alu instid0(VALU_DEP_2) | instskip(NEXT) | instid1(VALU_DEP_2)
	v_cndmask_b32_e64 v29, v31, v29, s5
	v_cndmask_b32_e64 v30, v32, v30, s5
	global_load_b64 v[29:30], v[29:30], off
	s_waitcnt vmcnt(0)
	ds_store_b64 v22, v[29:30]
.LBB24_19:                              ;   in Loop: Header=BB24_16 Depth=1
	s_or_b32 exec_lo, exec_lo, s13
	s_delay_alu instid0(SALU_CYCLE_1)
	s_and_b32 exec_lo, exec_lo, s4
	s_cbranch_execz .LBB24_21
; %bb.20:                               ;   in Loop: Header=BB24_16 Depth=1
	v_add_co_u32 v29, vcc_lo, v27, v10
	v_add_co_ci_u32_e32 v27, vcc_lo, v28, v11, vcc_lo
	v_add_co_u32 v3, vcc_lo, v3, v12
	v_add_co_ci_u32_e32 v26, vcc_lo, v26, v13, vcc_lo
	s_delay_alu instid0(VALU_DEP_1) | instskip(NEXT) | instid1(VALU_DEP_3)
	v_cndmask_b32_e64 v27, v26, v27, s5
	v_cndmask_b32_e64 v26, v3, v29, s5
	global_load_b64 v[26:27], v[26:27], off
	s_waitcnt vmcnt(0)
	ds_store_b64 v22, v[26:27] offset:512
.LBB24_21:                              ;   in Loop: Header=BB24_16 Depth=1
	s_or_b32 exec_lo, exec_lo, s31
	s_and_saveexec_b32 s13, s15
	s_cbranch_execz .LBB24_23
; %bb.22:                               ;   in Loop: Header=BB24_16 Depth=1
	v_mad_u64_u32 v[26:27], null, s29, s12, v[5:6]
	s_delay_alu instid0(VALU_DEP_1) | instskip(NEXT) | instid1(VALU_DEP_1)
	v_ashrrev_i32_e32 v27, 31, v26
	v_lshlrev_b64 v[26:27], 3, v[26:27]
	s_delay_alu instid0(VALU_DEP_1) | instskip(NEXT) | instid1(VALU_DEP_2)
	v_add_co_u32 v26, vcc_lo, s26, v26
	v_add_co_ci_u32_e32 v27, vcc_lo, s27, v27, vcc_lo
	global_load_b64 v[26:27], v[26:27], off
	s_waitcnt vmcnt(0)
	ds_store_b64 v21, v[26:27]
.LBB24_23:                              ;   in Loop: Header=BB24_16 Depth=1
	s_or_b32 exec_lo, exec_lo, s13
	s_waitcnt lgkmcnt(0)
	s_barrier
	buffer_gl0_inv
	s_and_saveexec_b32 s13, s2
	s_cbranch_execz .LBB24_15
; %bb.24:                               ;   in Loop: Header=BB24_16 Depth=1
	s_and_saveexec_b32 s31, s3
	s_cbranch_execz .LBB24_32
; %bb.25:                               ;   in Loop: Header=BB24_16 Depth=1
	s_and_not1_b32 vcc_lo, exec_lo, s9
	s_cbranch_vccnz .LBB24_29
; %bb.26:                               ;   in Loop: Header=BB24_16 Depth=1
	v_dual_mov_b32 v3, v24 :: v_dual_mov_b32 v26, v23
	s_mov_b32 s33, 0
.LBB24_27:                              ;   Parent Loop BB24_16 Depth=1
                                        ; =>  This Inner Loop Header: Depth=2
	ds_load_b128 v[27:30], v26
	ds_load_b128 v[31:34], v3
	ds_load_b128 v[35:38], v3 offset:16
	ds_load_b128 v[39:42], v26 offset:16
	s_add_i32 s33, s33, 8
	s_delay_alu instid0(SALU_CYCLE_1) | instskip(SKIP_2) | instid1(VALU_DEP_1)
	s_cmp_lg_u32 s28, s33
	s_waitcnt lgkmcnt(2)
	v_fmac_f32_e32 v1, v32, v27
	v_fmac_f32_e32 v1, v31, v28
	s_delay_alu instid0(VALU_DEP_1) | instskip(NEXT) | instid1(VALU_DEP_1)
	v_dual_fmac_f32 v20, v31, v27 :: v_dual_fmac_f32 v1, v34, v29
	v_fma_f32 v20, -v32, v28, v20
	s_delay_alu instid0(VALU_DEP_1) | instskip(NEXT) | instid1(VALU_DEP_1)
	v_fmac_f32_e32 v20, v33, v29
	v_fma_f32 v20, -v34, v30, v20
	s_delay_alu instid0(VALU_DEP_4) | instskip(SKIP_4) | instid1(VALU_DEP_1)
	v_fmac_f32_e32 v1, v33, v30
	ds_load_b128 v[27:30], v26 offset:32
	ds_load_b128 v[31:34], v3 offset:32
	s_waitcnt lgkmcnt(2)
	v_fmac_f32_e32 v20, v35, v39
	v_fma_f32 v20, -v36, v40, v20
	s_delay_alu instid0(VALU_DEP_1) | instskip(NEXT) | instid1(VALU_DEP_1)
	v_fmac_f32_e32 v20, v37, v41
	v_fma_f32 v20, -v38, v42, v20
	s_waitcnt lgkmcnt(0)
	s_delay_alu instid0(VALU_DEP_1) | instskip(NEXT) | instid1(VALU_DEP_1)
	v_fmac_f32_e32 v20, v31, v27
	v_fma_f32 v20, -v32, v28, v20
	s_delay_alu instid0(VALU_DEP_1) | instskip(NEXT) | instid1(VALU_DEP_1)
	v_dual_fmac_f32 v1, v36, v39 :: v_dual_fmac_f32 v20, v33, v29
	v_fmac_f32_e32 v1, v35, v40
	s_delay_alu instid0(VALU_DEP_2) | instskip(NEXT) | instid1(VALU_DEP_2)
	v_fma_f32 v20, -v34, v30, v20
	v_fmac_f32_e32 v1, v38, v41
	s_delay_alu instid0(VALU_DEP_1) | instskip(SKIP_4) | instid1(VALU_DEP_1)
	v_fmac_f32_e32 v1, v37, v42
	ds_load_b128 v[35:38], v3 offset:48
	ds_load_b128 v[39:42], v26 offset:48
	v_add_nc_u32_e32 v3, 64, v3
	v_dual_fmac_f32 v1, v32, v27 :: v_dual_add_nc_u32 v26, 64, v26
	v_fmac_f32_e32 v1, v31, v28
	s_delay_alu instid0(VALU_DEP_1) | instskip(SKIP_1) | instid1(VALU_DEP_1)
	v_fmac_f32_e32 v1, v34, v29
	s_waitcnt lgkmcnt(0)
	v_dual_fmac_f32 v1, v33, v30 :: v_dual_fmac_f32 v20, v35, v39
	s_delay_alu instid0(VALU_DEP_1) | instskip(NEXT) | instid1(VALU_DEP_2)
	v_fmac_f32_e32 v1, v36, v39
	v_fma_f32 v20, -v36, v40, v20
	s_delay_alu instid0(VALU_DEP_1) | instskip(NEXT) | instid1(VALU_DEP_1)
	v_dual_fmac_f32 v1, v35, v40 :: v_dual_fmac_f32 v20, v37, v41
	v_fmac_f32_e32 v1, v38, v41
	s_delay_alu instid0(VALU_DEP_2) | instskip(NEXT) | instid1(VALU_DEP_2)
	v_fma_f32 v20, -v38, v42, v20
	v_fmac_f32_e32 v1, v37, v42
	s_cbranch_scc1 .LBB24_27
; %bb.28:                               ;   in Loop: Header=BB24_16 Depth=1
	s_mov_b32 s33, s28
	s_and_not1_b32 vcc_lo, exec_lo, s30
	s_cbranch_vccz .LBB24_30
	s_branch .LBB24_32
.LBB24_29:                              ;   in Loop: Header=BB24_16 Depth=1
	s_mov_b32 s33, 0
	s_and_not1_b32 vcc_lo, exec_lo, s30
	s_cbranch_vccnz .LBB24_32
.LBB24_30:                              ;   in Loop: Header=BB24_16 Depth=1
	s_lshl_b32 s33, s33, 3
	s_delay_alu instid0(SALU_CYCLE_1)
	v_add_nc_u32_e32 v3, s33, v23
	v_add_nc_u32_e32 v26, s33, v24
	s_mov_b32 s33, s8
.LBB24_31:                              ;   Parent Loop BB24_16 Depth=1
                                        ; =>  This Inner Loop Header: Depth=2
	ds_load_b64 v[27:28], v26
	ds_load_b64 v[29:30], v3
	s_add_i32 s33, s33, -1
	v_add_nc_u32_e32 v3, 8, v3
	v_add_nc_u32_e32 v26, 8, v26
	s_cmp_lg_u32 s33, 0
	s_waitcnt lgkmcnt(0)
	v_fmac_f32_e32 v20, v27, v29
	v_fmac_f32_e32 v1, v28, v29
	s_delay_alu instid0(VALU_DEP_2) | instskip(NEXT) | instid1(VALU_DEP_2)
	v_fma_f32 v20, -v28, v30, v20
	v_fmac_f32_e32 v1, v27, v30
	s_cbranch_scc1 .LBB24_31
.LBB24_32:                              ;   in Loop: Header=BB24_16 Depth=1
	s_or_b32 exec_lo, exec_lo, s31
	s_and_saveexec_b32 s31, s4
	s_cbranch_execz .LBB24_14
; %bb.33:                               ;   in Loop: Header=BB24_16 Depth=1
	s_and_not1_b32 vcc_lo, exec_lo, s9
	s_cbranch_vccnz .LBB24_37
; %bb.34:                               ;   in Loop: Header=BB24_16 Depth=1
	v_dual_mov_b32 v3, v24 :: v_dual_mov_b32 v26, v25
	s_mov_b32 s33, 0
.LBB24_35:                              ;   Parent Loop BB24_16 Depth=1
                                        ; =>  This Inner Loop Header: Depth=2
	ds_load_b128 v[27:30], v26
	ds_load_b128 v[31:34], v3
	ds_load_b128 v[35:38], v3 offset:16
	ds_load_b128 v[39:42], v26 offset:16
	s_add_i32 s33, s33, 8
	s_delay_alu instid0(SALU_CYCLE_1) | instskip(SKIP_2) | instid1(VALU_DEP_1)
	s_cmp_lg_u32 s28, s33
	s_waitcnt lgkmcnt(2)
	v_fmac_f32_e32 v18, v32, v27
	v_fmac_f32_e32 v18, v31, v28
	s_delay_alu instid0(VALU_DEP_1) | instskip(NEXT) | instid1(VALU_DEP_1)
	v_dual_fmac_f32 v19, v31, v27 :: v_dual_fmac_f32 v18, v34, v29
	v_fma_f32 v19, -v32, v28, v19
	s_delay_alu instid0(VALU_DEP_1) | instskip(NEXT) | instid1(VALU_DEP_1)
	v_fmac_f32_e32 v19, v33, v29
	v_fma_f32 v19, -v34, v30, v19
	s_delay_alu instid0(VALU_DEP_4) | instskip(SKIP_4) | instid1(VALU_DEP_1)
	v_fmac_f32_e32 v18, v33, v30
	ds_load_b128 v[27:30], v26 offset:32
	ds_load_b128 v[31:34], v3 offset:32
	s_waitcnt lgkmcnt(2)
	v_fmac_f32_e32 v19, v35, v39
	v_fma_f32 v19, -v36, v40, v19
	s_delay_alu instid0(VALU_DEP_1) | instskip(NEXT) | instid1(VALU_DEP_1)
	v_fmac_f32_e32 v19, v37, v41
	v_fma_f32 v19, -v38, v42, v19
	s_waitcnt lgkmcnt(0)
	s_delay_alu instid0(VALU_DEP_1) | instskip(NEXT) | instid1(VALU_DEP_1)
	v_fmac_f32_e32 v19, v31, v27
	v_fma_f32 v19, -v32, v28, v19
	s_delay_alu instid0(VALU_DEP_1) | instskip(NEXT) | instid1(VALU_DEP_1)
	v_dual_fmac_f32 v18, v36, v39 :: v_dual_fmac_f32 v19, v33, v29
	v_fmac_f32_e32 v18, v35, v40
	s_delay_alu instid0(VALU_DEP_2) | instskip(NEXT) | instid1(VALU_DEP_2)
	v_fma_f32 v19, -v34, v30, v19
	v_fmac_f32_e32 v18, v38, v41
	s_delay_alu instid0(VALU_DEP_1)
	v_fmac_f32_e32 v18, v37, v42
	ds_load_b128 v[35:38], v3 offset:48
	ds_load_b128 v[39:42], v26 offset:48
	v_add_nc_u32_e32 v3, 64, v3
	v_add_nc_u32_e32 v26, 64, v26
	v_fmac_f32_e32 v18, v32, v27
	s_delay_alu instid0(VALU_DEP_1) | instskip(NEXT) | instid1(VALU_DEP_1)
	v_fmac_f32_e32 v18, v31, v28
	v_fmac_f32_e32 v18, v34, v29
	s_waitcnt lgkmcnt(0)
	s_delay_alu instid0(VALU_DEP_1) | instskip(NEXT) | instid1(VALU_DEP_1)
	v_dual_fmac_f32 v18, v33, v30 :: v_dual_fmac_f32 v19, v35, v39
	v_fmac_f32_e32 v18, v36, v39
	s_delay_alu instid0(VALU_DEP_2) | instskip(NEXT) | instid1(VALU_DEP_1)
	v_fma_f32 v19, -v36, v40, v19
	v_dual_fmac_f32 v18, v35, v40 :: v_dual_fmac_f32 v19, v37, v41
	s_delay_alu instid0(VALU_DEP_1) | instskip(NEXT) | instid1(VALU_DEP_2)
	v_fmac_f32_e32 v18, v38, v41
	v_fma_f32 v19, -v38, v42, v19
	s_delay_alu instid0(VALU_DEP_2)
	v_fmac_f32_e32 v18, v37, v42
	s_cbranch_scc1 .LBB24_35
; %bb.36:                               ;   in Loop: Header=BB24_16 Depth=1
	s_mov_b32 s33, s28
	s_and_not1_b32 vcc_lo, exec_lo, s30
	s_cbranch_vccz .LBB24_38
	s_branch .LBB24_14
.LBB24_37:                              ;   in Loop: Header=BB24_16 Depth=1
	s_mov_b32 s33, 0
	s_and_not1_b32 vcc_lo, exec_lo, s30
	s_cbranch_vccnz .LBB24_14
.LBB24_38:                              ;   in Loop: Header=BB24_16 Depth=1
	s_lshl_b32 s33, s33, 3
	s_delay_alu instid0(SALU_CYCLE_1)
	v_add_nc_u32_e32 v3, s33, v25
	v_add_nc_u32_e32 v26, s33, v24
	s_mov_b32 s33, s8
.LBB24_39:                              ;   Parent Loop BB24_16 Depth=1
                                        ; =>  This Inner Loop Header: Depth=2
	ds_load_b64 v[27:28], v26
	ds_load_b64 v[29:30], v3
	s_add_i32 s33, s33, -1
	v_add_nc_u32_e32 v3, 8, v3
	v_add_nc_u32_e32 v26, 8, v26
	s_cmp_lg_u32 s33, 0
	s_waitcnt lgkmcnt(0)
	v_fmac_f32_e32 v19, v27, v29
	v_fmac_f32_e32 v18, v28, v29
	s_delay_alu instid0(VALU_DEP_2) | instskip(NEXT) | instid1(VALU_DEP_2)
	v_fma_f32 v19, -v28, v30, v19
	v_fmac_f32_e32 v18, v27, v30
	s_cbranch_scc1 .LBB24_39
	s_branch .LBB24_14
.LBB24_40:
	v_dual_mov_b32 v1, s6 :: v_dual_mov_b32 v2, s7
	flat_load_b32 v14, v[1:2]
	v_cndmask_b32_e64 v1, 0, 1, s3
	v_mov_b32_e32 v15, s7
	s_and_not1_b32 vcc_lo, exec_lo, s3
	s_cbranch_vccnz .LBB24_2
.LBB24_41:
	v_dual_mov_b32 v2, s6 :: v_dual_mov_b32 v3, s7
	flat_load_b32 v15, v[2:3] offset:4
	v_cmp_ne_u32_e32 vcc_lo, 1, v1
	v_mov_b32_e32 v16, s4
	s_cbranch_vccnz .LBB24_3
.LBB24_42:
	v_dual_mov_b32 v2, s4 :: v_dual_mov_b32 v3, s5
	flat_load_b32 v16, v[2:3]
	v_cmp_ne_u32_e32 vcc_lo, 1, v1
	v_mov_b32_e32 v17, s5
	s_cbranch_vccz .LBB24_4
	s_branch .LBB24_5
.LBB24_43:
	s_delay_alu instid0(VALU_DEP_1) | instskip(NEXT) | instid1(SALU_CYCLE_1)
	s_and_b32 s2, s18, s2
	s_and_b32 exec_lo, exec_lo, s2
	s_cbranch_execz .LBB24_66
; %bb.44:
	s_load_b64 s[2:3], s[0:1], 0x70
	v_mad_u64_u32 v[5:6], null, s14, s10, v[4:5]
	v_cmp_neq_f32_e32 vcc_lo, 0, v16
	v_cmp_neq_f32_e64 s0, 0, v17
	s_mov_b32 s4, exec_lo
	s_delay_alu instid0(VALU_DEP_1) | instskip(NEXT) | instid1(VALU_DEP_3)
	s_or_b32 s1, vcc_lo, s0
	v_ashrrev_i32_e32 v6, 31, v5
	s_cmp_lg_u32 s16, 1
	s_cselect_b32 s0, -1, 0
	s_waitcnt lgkmcnt(0)
	s_delay_alu instid0(VALU_DEP_1) | instskip(SKIP_2) | instid1(VALU_DEP_1)
	v_mul_lo_u32 v7, v6, s2
	v_mul_lo_u32 v8, v5, s3
	v_mad_u64_u32 v[3:4], null, v5, s2, 0
	v_add3_u32 v4, v4, v8, v7
	v_lshlrev_b64 v[6:7], 3, v[5:6]
	s_delay_alu instid0(VALU_DEP_2) | instskip(NEXT) | instid1(VALU_DEP_2)
	v_lshlrev_b64 v[3:4], 3, v[3:4]
	v_add_co_u32 v6, vcc_lo, s6, v6
	s_delay_alu instid0(VALU_DEP_3) | instskip(NEXT) | instid1(VALU_DEP_3)
	v_add_co_ci_u32_e32 v7, vcc_lo, s7, v7, vcc_lo
	v_add_co_u32 v8, vcc_lo, s6, v3
	s_delay_alu instid0(VALU_DEP_4)
	v_add_co_ci_u32_e32 v9, vcc_lo, s7, v4, vcc_lo
	v_cmpx_gt_i32_e64 s11, v2
	s_cbranch_execz .LBB24_55
; %bb.45:
	s_and_saveexec_b32 s5, s1
	s_delay_alu instid0(SALU_CYCLE_1)
	s_xor_b32 s5, exec_lo, s5
	s_cbranch_execz .LBB24_50
; %bb.46:
	v_ashrrev_i32_e32 v3, 31, v2
	s_and_b32 vcc_lo, exec_lo, s0
	s_mov_b32 s6, -1
	s_cbranch_vccz .LBB24_48
; %bb.47:
	s_delay_alu instid0(VALU_DEP_1) | instskip(SKIP_3) | instid1(VALU_DEP_2)
	v_lshlrev_b64 v[4:5], 3, v[2:3]
	v_mul_f32_e64 v12, v1, -v15
	v_mul_f32_e32 v13, v1, v14
	s_mov_b32 s6, 0
	v_fmac_f32_e32 v12, v14, v20
	s_delay_alu instid0(VALU_DEP_4) | instskip(SKIP_4) | instid1(VALU_DEP_1)
	v_add_co_u32 v4, vcc_lo, v8, v4
	v_add_co_ci_u32_e32 v5, vcc_lo, v9, v5, vcc_lo
	global_load_b64 v[10:11], v[4:5], off
	s_waitcnt vmcnt(0)
	v_dual_fmac_f32 v13, v15, v20 :: v_dual_fmac_f32 v12, v16, v10
	v_fmac_f32_e32 v13, v17, v10
	s_delay_alu instid0(VALU_DEP_2) | instskip(NEXT) | instid1(VALU_DEP_2)
	v_fma_f32 v12, -v17, v11, v12
	v_fmac_f32_e32 v13, v16, v11
	global_store_b64 v[4:5], v[12:13], off
.LBB24_48:
	s_and_not1_b32 vcc_lo, exec_lo, s6
	s_cbranch_vccnz .LBB24_50
; %bb.49:
	v_mul_lo_u32 v5, v3, s2
	v_mul_lo_u32 v10, v2, s3
	v_mad_u64_u32 v[3:4], null, v2, s2, 0
	s_delay_alu instid0(VALU_DEP_1) | instskip(SKIP_2) | instid1(VALU_DEP_3)
	v_add3_u32 v4, v4, v10, v5
	v_mul_f32_e64 v10, v1, -v15
	v_mul_f32_e32 v11, v1, v14
                                        ; implicit-def: $vgpr1
	v_lshlrev_b64 v[2:3], 3, v[3:4]
	s_delay_alu instid0(VALU_DEP_3) | instskip(NEXT) | instid1(VALU_DEP_3)
	v_fmac_f32_e32 v10, v14, v20
	v_fmac_f32_e32 v11, v15, v20
                                        ; implicit-def: $vgpr20
	s_delay_alu instid0(VALU_DEP_3) | instskip(NEXT) | instid1(VALU_DEP_4)
	v_add_co_u32 v2, vcc_lo, v6, v2
	v_add_co_ci_u32_e32 v3, vcc_lo, v7, v3, vcc_lo
	global_load_b64 v[4:5], v[2:3], off
	s_waitcnt vmcnt(0)
	v_fmac_f32_e32 v10, v16, v4
	v_fmac_f32_e32 v11, v17, v4
	s_delay_alu instid0(VALU_DEP_2) | instskip(NEXT) | instid1(VALU_DEP_2)
	v_fma_f32 v10, -v17, v5, v10
	v_fmac_f32_e32 v11, v16, v5
	global_store_b64 v[2:3], v[10:11], off
                                        ; implicit-def: $vgpr2
.LBB24_50:
	s_and_not1_saveexec_b32 s5, s5
	s_cbranch_execz .LBB24_55
; %bb.51:
	v_mul_f32_e64 v4, v1, -v15
	v_mul_f32_e32 v5, v1, v14
	v_ashrrev_i32_e32 v3, 31, v2
	s_and_b32 vcc_lo, exec_lo, s0
	s_mov_b32 s5, -1
	v_fmac_f32_e32 v4, v14, v20
	v_fmac_f32_e32 v5, v15, v20
	s_cbranch_vccz .LBB24_53
; %bb.52:
	v_lshlrev_b64 v[10:11], 3, v[2:3]
	s_mov_b32 s5, 0
	s_delay_alu instid0(VALU_DEP_1) | instskip(NEXT) | instid1(VALU_DEP_2)
	v_add_co_u32 v10, vcc_lo, v8, v10
	v_add_co_ci_u32_e32 v11, vcc_lo, v9, v11, vcc_lo
	global_store_b64 v[10:11], v[4:5], off
.LBB24_53:
	s_and_not1_b32 vcc_lo, exec_lo, s5
	s_cbranch_vccnz .LBB24_55
; %bb.54:
	v_mul_lo_u32 v1, v3, s2
	v_mul_lo_u32 v3, v2, s3
	v_mad_u64_u32 v[10:11], null, v2, s2, 0
	s_delay_alu instid0(VALU_DEP_1) | instskip(NEXT) | instid1(VALU_DEP_1)
	v_add3_u32 v11, v11, v3, v1
	v_lshlrev_b64 v[1:2], 3, v[10:11]
	s_delay_alu instid0(VALU_DEP_1) | instskip(NEXT) | instid1(VALU_DEP_2)
	v_add_co_u32 v1, vcc_lo, v6, v1
	v_add_co_ci_u32_e32 v2, vcc_lo, v7, v2, vcc_lo
	global_store_b64 v[1:2], v[4:5], off
.LBB24_55:
	s_or_b32 exec_lo, exec_lo, s4
	v_cmp_gt_i32_e32 vcc_lo, s11, v0
	s_and_b32 exec_lo, exec_lo, vcc_lo
	s_cbranch_execz .LBB24_66
; %bb.56:
	s_and_saveexec_b32 s4, s1
	s_delay_alu instid0(SALU_CYCLE_1)
	s_xor_b32 s1, exec_lo, s4
	s_cbranch_execz .LBB24_61
; %bb.57:
	v_ashrrev_i32_e32 v1, 31, v0
	s_and_not1_b32 vcc_lo, exec_lo, s0
	s_mov_b32 s4, -1
	s_cbranch_vccnz .LBB24_59
; %bb.58:
	s_delay_alu instid0(VALU_DEP_1) | instskip(SKIP_1) | instid1(VALU_DEP_1)
	v_lshlrev_b64 v[2:3], 3, v[0:1]
	s_mov_b32 s4, 0
	v_add_co_u32 v2, vcc_lo, v8, v2
	s_delay_alu instid0(VALU_DEP_2) | instskip(SKIP_4) | instid1(VALU_DEP_1)
	v_add_co_ci_u32_e32 v3, vcc_lo, v9, v3, vcc_lo
	v_mul_f32_e64 v8, v18, -v15
	global_load_b64 v[4:5], v[2:3], off
	v_fmac_f32_e32 v8, v14, v19
	s_waitcnt vmcnt(0)
	v_dual_mul_f32 v9, v18, v14 :: v_dual_fmac_f32 v8, v16, v4
	s_delay_alu instid0(VALU_DEP_1) | instskip(NEXT) | instid1(VALU_DEP_2)
	v_fmac_f32_e32 v9, v15, v19
	v_fma_f32 v8, -v17, v5, v8
	s_delay_alu instid0(VALU_DEP_2) | instskip(NEXT) | instid1(VALU_DEP_1)
	v_fmac_f32_e32 v9, v17, v4
	v_fmac_f32_e32 v9, v16, v5
	global_store_b64 v[2:3], v[8:9], off
.LBB24_59:
	s_and_not1_b32 vcc_lo, exec_lo, s4
                                        ; implicit-def: $vgpr8
                                        ; implicit-def: $vgpr9
	s_cbranch_vccnz .LBB24_61
; %bb.60:
	v_mul_lo_u32 v3, v1, s2
	v_mul_lo_u32 v4, v0, s3
	v_mad_u64_u32 v[1:2], null, v0, s2, 0
	v_mul_f32_e32 v5, v18, v14
                                        ; implicit-def: $vgpr8
                                        ; implicit-def: $vgpr9
	s_delay_alu instid0(VALU_DEP_2) | instskip(SKIP_1) | instid1(VALU_DEP_2)
	v_add3_u32 v2, v2, v4, v3
	v_mul_f32_e64 v4, v18, -v15
                                        ; implicit-def: $vgpr18
	v_lshlrev_b64 v[0:1], 3, v[1:2]
	s_delay_alu instid0(VALU_DEP_1) | instskip(NEXT) | instid1(VALU_DEP_2)
	v_add_co_u32 v0, vcc_lo, v6, v0
	v_add_co_ci_u32_e32 v1, vcc_lo, v7, v1, vcc_lo
                                        ; implicit-def: $vgpr6
                                        ; implicit-def: $vgpr7
	global_load_b64 v[2:3], v[0:1], off
	v_fmac_f32_e32 v5, v15, v19
	v_fmac_f32_e32 v4, v14, v19
                                        ; implicit-def: $vgpr14
                                        ; implicit-def: $vgpr15
                                        ; implicit-def: $vgpr19
	s_waitcnt vmcnt(0)
	s_delay_alu instid0(VALU_DEP_2) | instskip(NEXT) | instid1(VALU_DEP_2)
	v_fmac_f32_e32 v5, v17, v2
	v_fmac_f32_e32 v4, v16, v2
	s_delay_alu instid0(VALU_DEP_2) | instskip(NEXT) | instid1(VALU_DEP_2)
	v_fmac_f32_e32 v5, v16, v3
	v_fma_f32 v4, -v17, v3, v4
	global_store_b64 v[0:1], v[4:5], off
                                        ; implicit-def: $vgpr0
.LBB24_61:
	s_and_not1_saveexec_b32 s1, s1
	s_cbranch_execz .LBB24_66
; %bb.62:
	v_mul_f32_e64 v2, v18, -v15
	v_mul_f32_e32 v3, v18, v14
	v_ashrrev_i32_e32 v1, 31, v0
	s_and_not1_b32 vcc_lo, exec_lo, s0
	s_mov_b32 s0, -1
	v_fmac_f32_e32 v2, v14, v19
	v_fmac_f32_e32 v3, v15, v19
	s_cbranch_vccnz .LBB24_64
; %bb.63:
	v_lshlrev_b64 v[4:5], 3, v[0:1]
	s_mov_b32 s0, 0
	s_delay_alu instid0(VALU_DEP_1) | instskip(NEXT) | instid1(VALU_DEP_2)
	v_add_co_u32 v4, vcc_lo, v8, v4
	v_add_co_ci_u32_e32 v5, vcc_lo, v9, v5, vcc_lo
	global_store_b64 v[4:5], v[2:3], off
.LBB24_64:
	s_and_not1_b32 vcc_lo, exec_lo, s0
	s_cbranch_vccnz .LBB24_66
; %bb.65:
	v_mul_lo_u32 v1, v1, s2
	v_mul_lo_u32 v8, v0, s3
	v_mad_u64_u32 v[4:5], null, v0, s2, 0
	s_delay_alu instid0(VALU_DEP_1) | instskip(NEXT) | instid1(VALU_DEP_1)
	v_add3_u32 v5, v5, v8, v1
	v_lshlrev_b64 v[0:1], 3, v[4:5]
	s_delay_alu instid0(VALU_DEP_1) | instskip(NEXT) | instid1(VALU_DEP_2)
	v_add_co_u32 v0, vcc_lo, v6, v0
	v_add_co_ci_u32_e32 v1, vcc_lo, v7, v1, vcc_lo
	global_store_b64 v[0:1], v[2:3], off
.LBB24_66:
	s_nop 0
	s_sendmsg sendmsg(MSG_DEALLOC_VGPRS)
	s_endpgm
	.section	.rodata,"a",@progbits
	.p2align	6, 0x0
	.amdhsa_kernel _ZN9rocsparseL31bsrmm_large_blockdim_kernel_extILj8ELj8ELj2Eii21rocsparse_complex_numIfES2_S2_S2_EEvb20rocsparse_direction_T3_S4_llNS_24const_host_device_scalarIT7_EEPKT2_PKS4_PKT4_S4_PKT5_llS7_PT6_ll16rocsparse_order_21rocsparse_index_base_b
		.amdhsa_group_segment_fixed_size 1536
		.amdhsa_private_segment_fixed_size 0
		.amdhsa_kernarg_size 140
		.amdhsa_user_sgpr_count 14
		.amdhsa_user_sgpr_dispatch_ptr 0
		.amdhsa_user_sgpr_queue_ptr 0
		.amdhsa_user_sgpr_kernarg_segment_ptr 1
		.amdhsa_user_sgpr_dispatch_id 0
		.amdhsa_user_sgpr_private_segment_size 0
		.amdhsa_wavefront_size32 1
		.amdhsa_uses_dynamic_stack 0
		.amdhsa_enable_private_segment 0
		.amdhsa_system_sgpr_workgroup_id_x 1
		.amdhsa_system_sgpr_workgroup_id_y 1
		.amdhsa_system_sgpr_workgroup_id_z 0
		.amdhsa_system_sgpr_workgroup_info 0
		.amdhsa_system_vgpr_workitem_id 1
		.amdhsa_next_free_vgpr 43
		.amdhsa_next_free_sgpr 36
		.amdhsa_reserve_vcc 1
		.amdhsa_float_round_mode_32 0
		.amdhsa_float_round_mode_16_64 0
		.amdhsa_float_denorm_mode_32 3
		.amdhsa_float_denorm_mode_16_64 3
		.amdhsa_dx10_clamp 1
		.amdhsa_ieee_mode 1
		.amdhsa_fp16_overflow 0
		.amdhsa_workgroup_processor_mode 1
		.amdhsa_memory_ordered 1
		.amdhsa_forward_progress 0
		.amdhsa_shared_vgpr_count 0
		.amdhsa_exception_fp_ieee_invalid_op 0
		.amdhsa_exception_fp_denorm_src 0
		.amdhsa_exception_fp_ieee_div_zero 0
		.amdhsa_exception_fp_ieee_overflow 0
		.amdhsa_exception_fp_ieee_underflow 0
		.amdhsa_exception_fp_ieee_inexact 0
		.amdhsa_exception_int_div_zero 0
	.end_amdhsa_kernel
	.section	.text._ZN9rocsparseL31bsrmm_large_blockdim_kernel_extILj8ELj8ELj2Eii21rocsparse_complex_numIfES2_S2_S2_EEvb20rocsparse_direction_T3_S4_llNS_24const_host_device_scalarIT7_EEPKT2_PKS4_PKT4_S4_PKT5_llS7_PT6_ll16rocsparse_order_21rocsparse_index_base_b,"axG",@progbits,_ZN9rocsparseL31bsrmm_large_blockdim_kernel_extILj8ELj8ELj2Eii21rocsparse_complex_numIfES2_S2_S2_EEvb20rocsparse_direction_T3_S4_llNS_24const_host_device_scalarIT7_EEPKT2_PKS4_PKT4_S4_PKT5_llS7_PT6_ll16rocsparse_order_21rocsparse_index_base_b,comdat
.Lfunc_end24:
	.size	_ZN9rocsparseL31bsrmm_large_blockdim_kernel_extILj8ELj8ELj2Eii21rocsparse_complex_numIfES2_S2_S2_EEvb20rocsparse_direction_T3_S4_llNS_24const_host_device_scalarIT7_EEPKT2_PKS4_PKT4_S4_PKT5_llS7_PT6_ll16rocsparse_order_21rocsparse_index_base_b, .Lfunc_end24-_ZN9rocsparseL31bsrmm_large_blockdim_kernel_extILj8ELj8ELj2Eii21rocsparse_complex_numIfES2_S2_S2_EEvb20rocsparse_direction_T3_S4_llNS_24const_host_device_scalarIT7_EEPKT2_PKS4_PKT4_S4_PKT5_llS7_PT6_ll16rocsparse_order_21rocsparse_index_base_b
                                        ; -- End function
	.section	.AMDGPU.csdata,"",@progbits
; Kernel info:
; codeLenInByte = 3208
; NumSgprs: 38
; NumVgprs: 43
; ScratchSize: 0
; MemoryBound: 0
; FloatMode: 240
; IeeeMode: 1
; LDSByteSize: 1536 bytes/workgroup (compile time only)
; SGPRBlocks: 4
; VGPRBlocks: 5
; NumSGPRsForWavesPerEU: 38
; NumVGPRsForWavesPerEU: 43
; Occupancy: 16
; WaveLimiterHint : 1
; COMPUTE_PGM_RSRC2:SCRATCH_EN: 0
; COMPUTE_PGM_RSRC2:USER_SGPR: 14
; COMPUTE_PGM_RSRC2:TRAP_HANDLER: 0
; COMPUTE_PGM_RSRC2:TGID_X_EN: 1
; COMPUTE_PGM_RSRC2:TGID_Y_EN: 1
; COMPUTE_PGM_RSRC2:TGID_Z_EN: 0
; COMPUTE_PGM_RSRC2:TIDIG_COMP_CNT: 1
	.section	.text._ZN9rocsparseL31bsrmm_large_blockdim_kernel_extILj4ELj16ELj2Eii21rocsparse_complex_numIfES2_S2_S2_EEvb20rocsparse_direction_T3_S4_llNS_24const_host_device_scalarIT7_EEPKT2_PKS4_PKT4_S4_PKT5_llS7_PT6_ll16rocsparse_order_21rocsparse_index_base_b,"axG",@progbits,_ZN9rocsparseL31bsrmm_large_blockdim_kernel_extILj4ELj16ELj2Eii21rocsparse_complex_numIfES2_S2_S2_EEvb20rocsparse_direction_T3_S4_llNS_24const_host_device_scalarIT7_EEPKT2_PKS4_PKT4_S4_PKT5_llS7_PT6_ll16rocsparse_order_21rocsparse_index_base_b,comdat
	.globl	_ZN9rocsparseL31bsrmm_large_blockdim_kernel_extILj4ELj16ELj2Eii21rocsparse_complex_numIfES2_S2_S2_EEvb20rocsparse_direction_T3_S4_llNS_24const_host_device_scalarIT7_EEPKT2_PKS4_PKT4_S4_PKT5_llS7_PT6_ll16rocsparse_order_21rocsparse_index_base_b ; -- Begin function _ZN9rocsparseL31bsrmm_large_blockdim_kernel_extILj4ELj16ELj2Eii21rocsparse_complex_numIfES2_S2_S2_EEvb20rocsparse_direction_T3_S4_llNS_24const_host_device_scalarIT7_EEPKT2_PKS4_PKT4_S4_PKT5_llS7_PT6_ll16rocsparse_order_21rocsparse_index_base_b
	.p2align	8
	.type	_ZN9rocsparseL31bsrmm_large_blockdim_kernel_extILj4ELj16ELj2Eii21rocsparse_complex_numIfES2_S2_S2_EEvb20rocsparse_direction_T3_S4_llNS_24const_host_device_scalarIT7_EEPKT2_PKS4_PKT4_S4_PKT5_llS7_PT6_ll16rocsparse_order_21rocsparse_index_base_b,@function
_ZN9rocsparseL31bsrmm_large_blockdim_kernel_extILj4ELj16ELj2Eii21rocsparse_complex_numIfES2_S2_S2_EEvb20rocsparse_direction_T3_S4_llNS_24const_host_device_scalarIT7_EEPKT2_PKS4_PKT4_S4_PKT5_llS7_PT6_ll16rocsparse_order_21rocsparse_index_base_b: ; @_ZN9rocsparseL31bsrmm_large_blockdim_kernel_extILj4ELj16ELj2Eii21rocsparse_complex_numIfES2_S2_S2_EEvb20rocsparse_direction_T3_S4_llNS_24const_host_device_scalarIT7_EEPKT2_PKS4_PKT4_S4_PKT5_llS7_PT6_ll16rocsparse_order_21rocsparse_index_base_b
; %bb.0:
	s_clause 0x2
	s_load_b128 s[16:19], s[0:1], 0x80
	s_load_b64 s[6:7], s[0:1], 0x20
	s_load_b64 s[4:5], s[0:1], 0x60
	s_mov_b32 s2, s15
	s_waitcnt lgkmcnt(0)
	s_bitcmp1_b32 s18, 0
	v_mov_b32_e32 v14, s6
	s_cselect_b32 s3, -1, 0
	s_delay_alu instid0(SALU_CYCLE_1)
	s_and_b32 vcc_lo, exec_lo, s3
	s_xor_b32 s3, s3, -1
	s_cbranch_vccz .LBB25_40
; %bb.1:
	v_cndmask_b32_e64 v1, 0, 1, s3
	v_mov_b32_e32 v15, s7
	s_and_not1_b32 vcc_lo, exec_lo, s3
	s_cbranch_vccz .LBB25_41
.LBB25_2:
	s_delay_alu instid0(VALU_DEP_2)
	v_cmp_ne_u32_e32 vcc_lo, 1, v1
	v_mov_b32_e32 v16, s4
	s_cbranch_vccz .LBB25_42
.LBB25_3:
	v_cmp_ne_u32_e32 vcc_lo, 1, v1
	v_mov_b32_e32 v17, s5
	s_cbranch_vccnz .LBB25_5
.LBB25_4:
	v_dual_mov_b32 v1, s4 :: v_dual_mov_b32 v2, s5
	flat_load_b32 v17, v[1:2] offset:4
.LBB25_5:
	s_waitcnt vmcnt(0) lgkmcnt(0)
	v_cmp_eq_f32_e32 vcc_lo, 0, v14
	v_cmp_eq_f32_e64 s3, 0, v15
	s_delay_alu instid0(VALU_DEP_1)
	s_and_b32 s5, vcc_lo, s3
	s_mov_b32 s3, -1
	s_and_saveexec_b32 s4, s5
; %bb.6:
	v_cmp_neq_f32_e32 vcc_lo, 1.0, v16
	v_cmp_neq_f32_e64 s3, 0, v17
	s_delay_alu instid0(VALU_DEP_1) | instskip(NEXT) | instid1(SALU_CYCLE_1)
	s_or_b32 s3, vcc_lo, s3
	s_or_not1_b32 s3, s3, exec_lo
; %bb.7:
	s_or_b32 exec_lo, exec_lo, s4
	s_and_saveexec_b32 s4, s3
	s_cbranch_execz .LBB25_66
; %bb.8:
	s_clause 0x1
	s_load_b128 s[8:11], s[0:1], 0x0
	s_load_b64 s[4:5], s[0:1], 0x28
	s_mov_b32 s19, 0
	s_mov_b32 s12, 0
	s_waitcnt lgkmcnt(0)
	s_cmp_lt_i32 s14, s10
	s_cselect_b32 s18, -1, 0
	s_cmp_ge_i32 s14, s10
	s_cbranch_scc1 .LBB25_10
; %bb.9:
	s_ashr_i32 s15, s14, 31
	s_delay_alu instid0(SALU_CYCLE_1) | instskip(NEXT) | instid1(SALU_CYCLE_1)
	s_lshl_b64 s[6:7], s[14:15], 2
	s_add_u32 s6, s4, s6
	s_addc_u32 s7, s5, s7
	s_load_b32 s3, s[6:7], 0x0
	s_waitcnt lgkmcnt(0)
	s_sub_i32 s12, s3, s17
.LBB25_10:
	s_and_not1_b32 vcc_lo, exec_lo, s18
	s_cbranch_vccnz .LBB25_12
; %bb.11:
	s_ashr_i32 s15, s14, 31
	s_delay_alu instid0(SALU_CYCLE_1) | instskip(NEXT) | instid1(SALU_CYCLE_1)
	s_lshl_b64 s[6:7], s[14:15], 2
	s_add_u32 s4, s4, s6
	s_addc_u32 s5, s5, s7
	s_load_b32 s3, s[4:5], 0x4
	s_waitcnt lgkmcnt(0)
	s_sub_i32 s19, s3, s17
.LBB25_12:
	s_clause 0x1
	s_load_b32 s10, s[0:1], 0x40
	s_load_b64 s[6:7], s[0:1], 0x68
	v_bfe_u32 v5, v0, 10, 10
	v_dual_mov_b32 v1, 0 :: v_dual_and_b32 v4, 0x3ff, v0
	v_mov_b32_e32 v20, 0
	v_mov_b32_e32 v18, 0
	s_delay_alu instid0(VALU_DEP_4) | instskip(SKIP_1) | instid1(VALU_DEP_1)
	v_lshl_add_u32 v2, s2, 5, v5
	s_cmp_ge_i32 s12, s19
	v_dual_mov_b32 v19, 0 :: v_dual_add_nc_u32 v0, 16, v2
	v_cmp_gt_i32_e64 s3, s11, v2
	s_delay_alu instid0(VALU_DEP_2)
	v_cmp_gt_i32_e64 s4, s11, v0
	s_waitcnt lgkmcnt(0)
	v_cmp_gt_i32_e64 s2, s10, v4
	s_cbranch_scc1 .LBB25_43
; %bb.13:
	s_clause 0x1
	s_load_b128 s[20:23], s[0:1], 0x48
	s_load_b128 s[24:27], s[0:1], 0x30
	v_mad_u64_u32 v[6:7], null, v5, s10, v[4:5]
	v_ashrrev_i32_e32 v3, 31, v2
	v_ashrrev_i32_e32 v1, 31, v0
	v_cmp_gt_i32_e32 vcc_lo, s10, v5
	v_lshl_add_u32 v13, v4, 2, v5
	v_lshl_add_u32 v24, v4, 5, 0x400
	s_mul_i32 s29, s10, s10
	v_mad_u64_u32 v[7:8], null, v4, s10, v[5:6]
	s_and_b32 s15, s2, vcc_lo
	s_bitcmp1_b32 s8, 0
	v_lshl_add_u32 v21, v13, 3, 0x400
	s_cselect_b32 s5, -1, 0
	s_cmp_eq_u32 s9, 0
	s_cselect_b32 vcc_lo, -1, 0
	v_lshlrev_b32_e32 v12, 2, v5
	s_waitcnt lgkmcnt(0)
	v_mul_lo_u32 v18, v2, s23
	v_mul_lo_u32 v19, v3, s22
	v_mad_u64_u32 v[8:9], null, v2, s22, 0
	v_mul_lo_u32 v20, v0, s23
	v_mul_lo_u32 v23, v1, s22
	v_mad_u64_u32 v[10:11], null, v0, s22, 0
	s_add_i32 s9, s10, -1
	s_and_b32 s8, s10, 7
	s_delay_alu instid0(VALU_DEP_4) | instskip(SKIP_3) | instid1(VALU_DEP_3)
	v_add3_u32 v9, v9, v18, v19
	s_cmp_gt_u32 s9, 6
	v_mov_b32_e32 v18, 0
	s_cselect_b32 s9, -1, 0
	v_add3_u32 v11, v11, v20, v23
	v_lshlrev_b32_e32 v23, 5, v5
	v_cndmask_b32_e32 v5, v6, v7, vcc_lo
	v_add_lshl_u32 v22, v12, v4, 3
	v_lshlrev_b64 v[6:7], 3, v[8:9]
	v_lshlrev_b64 v[8:9], 3, v[2:3]
	;; [unrolled: 1-line block ×4, first 2 shown]
	s_and_b32 s28, s10, -8
	v_dual_mov_b32 v20, 0 :: v_dual_add_nc_u32 v25, 0x200, v23
	v_mov_b32_e32 v19, 0
	v_mov_b32_e32 v1, 0
	s_cmp_lg_u32 s8, 0
	s_cselect_b32 s30, -1, 0
	s_branch .LBB25_16
.LBB25_14:                              ;   in Loop: Header=BB25_16 Depth=1
	s_or_b32 exec_lo, exec_lo, s31
.LBB25_15:                              ;   in Loop: Header=BB25_16 Depth=1
	s_delay_alu instid0(SALU_CYCLE_1) | instskip(SKIP_1) | instid1(SALU_CYCLE_1)
	s_or_b32 exec_lo, exec_lo, s13
	s_add_i32 s12, s12, 1
	s_cmp_ge_i32 s12, s19
	s_barrier
	buffer_gl0_inv
	s_cbranch_scc1 .LBB25_43
.LBB25_16:                              ; =>This Loop Header: Depth=1
                                        ;     Child Loop BB25_27 Depth 2
                                        ;     Child Loop BB25_31 Depth 2
                                        ;     Child Loop BB25_35 Depth 2
                                        ;     Child Loop BB25_39 Depth 2
	s_and_saveexec_b32 s31, s2
	s_cbranch_execz .LBB25_21
; %bb.17:                               ;   in Loop: Header=BB25_16 Depth=1
	s_ashr_i32 s13, s12, 31
	s_delay_alu instid0(SALU_CYCLE_1) | instskip(NEXT) | instid1(SALU_CYCLE_1)
	s_lshl_b64 s[34:35], s[12:13], 2
	s_add_u32 s34, s24, s34
	s_addc_u32 s35, s25, s35
	s_load_b32 s13, s[34:35], 0x0
	s_waitcnt lgkmcnt(0)
	s_sub_i32 s13, s13, s17
	s_delay_alu instid0(SALU_CYCLE_1) | instskip(NEXT) | instid1(VALU_DEP_1)
	v_mad_u64_u32 v[26:27], null, s13, s10, v[4:5]
	v_ashrrev_i32_e32 v27, 31, v26
	v_mul_lo_u32 v3, v26, s23
	v_mad_u64_u32 v[28:29], null, v26, s22, 0
	s_delay_alu instid0(VALU_DEP_3) | instskip(NEXT) | instid1(VALU_DEP_1)
	v_mul_lo_u32 v30, v27, s22
	v_add3_u32 v29, v29, v3, v30
	v_lshlrev_b64 v[30:31], 3, v[26:27]
	s_delay_alu instid0(VALU_DEP_2) | instskip(NEXT) | instid1(VALU_DEP_1)
	v_lshlrev_b64 v[28:29], 3, v[28:29]
	v_add_co_u32 v3, vcc_lo, s20, v28
	s_delay_alu instid0(VALU_DEP_2) | instskip(NEXT) | instid1(VALU_DEP_4)
	v_add_co_ci_u32_e32 v26, vcc_lo, s21, v29, vcc_lo
	v_add_co_u32 v27, vcc_lo, s20, v30
	v_add_co_ci_u32_e32 v28, vcc_lo, s21, v31, vcc_lo
	s_and_saveexec_b32 s13, s3
	s_cbranch_execz .LBB25_19
; %bb.18:                               ;   in Loop: Header=BB25_16 Depth=1
	s_delay_alu instid0(VALU_DEP_2) | instskip(NEXT) | instid1(VALU_DEP_2)
	v_add_co_u32 v29, vcc_lo, v27, v6
	v_add_co_ci_u32_e32 v30, vcc_lo, v28, v7, vcc_lo
	v_add_co_u32 v31, vcc_lo, v3, v8
	v_add_co_ci_u32_e32 v32, vcc_lo, v26, v9, vcc_lo
	s_delay_alu instid0(VALU_DEP_2) | instskip(NEXT) | instid1(VALU_DEP_2)
	v_cndmask_b32_e64 v29, v31, v29, s5
	v_cndmask_b32_e64 v30, v32, v30, s5
	global_load_b64 v[29:30], v[29:30], off
	s_waitcnt vmcnt(0)
	ds_store_b64 v22, v[29:30]
.LBB25_19:                              ;   in Loop: Header=BB25_16 Depth=1
	s_or_b32 exec_lo, exec_lo, s13
	s_delay_alu instid0(SALU_CYCLE_1)
	s_and_b32 exec_lo, exec_lo, s4
	s_cbranch_execz .LBB25_21
; %bb.20:                               ;   in Loop: Header=BB25_16 Depth=1
	v_add_co_u32 v29, vcc_lo, v27, v10
	v_add_co_ci_u32_e32 v27, vcc_lo, v28, v11, vcc_lo
	v_add_co_u32 v3, vcc_lo, v3, v12
	v_add_co_ci_u32_e32 v26, vcc_lo, v26, v13, vcc_lo
	s_delay_alu instid0(VALU_DEP_1) | instskip(NEXT) | instid1(VALU_DEP_3)
	v_cndmask_b32_e64 v27, v26, v27, s5
	v_cndmask_b32_e64 v26, v3, v29, s5
	global_load_b64 v[26:27], v[26:27], off
	s_waitcnt vmcnt(0)
	ds_store_b64 v22, v[26:27] offset:512
.LBB25_21:                              ;   in Loop: Header=BB25_16 Depth=1
	s_or_b32 exec_lo, exec_lo, s31
	s_and_saveexec_b32 s13, s15
	s_cbranch_execz .LBB25_23
; %bb.22:                               ;   in Loop: Header=BB25_16 Depth=1
	v_mad_u64_u32 v[26:27], null, s29, s12, v[5:6]
	s_delay_alu instid0(VALU_DEP_1) | instskip(NEXT) | instid1(VALU_DEP_1)
	v_ashrrev_i32_e32 v27, 31, v26
	v_lshlrev_b64 v[26:27], 3, v[26:27]
	s_delay_alu instid0(VALU_DEP_1) | instskip(NEXT) | instid1(VALU_DEP_2)
	v_add_co_u32 v26, vcc_lo, s26, v26
	v_add_co_ci_u32_e32 v27, vcc_lo, s27, v27, vcc_lo
	global_load_b64 v[26:27], v[26:27], off
	s_waitcnt vmcnt(0)
	ds_store_b64 v21, v[26:27]
.LBB25_23:                              ;   in Loop: Header=BB25_16 Depth=1
	s_or_b32 exec_lo, exec_lo, s13
	s_waitcnt lgkmcnt(0)
	s_barrier
	buffer_gl0_inv
	s_and_saveexec_b32 s13, s2
	s_cbranch_execz .LBB25_15
; %bb.24:                               ;   in Loop: Header=BB25_16 Depth=1
	s_and_saveexec_b32 s31, s3
	s_cbranch_execz .LBB25_32
; %bb.25:                               ;   in Loop: Header=BB25_16 Depth=1
	s_and_not1_b32 vcc_lo, exec_lo, s9
	s_cbranch_vccnz .LBB25_29
; %bb.26:                               ;   in Loop: Header=BB25_16 Depth=1
	v_dual_mov_b32 v3, v24 :: v_dual_mov_b32 v26, v23
	s_mov_b32 s33, 0
.LBB25_27:                              ;   Parent Loop BB25_16 Depth=1
                                        ; =>  This Inner Loop Header: Depth=2
	ds_load_b128 v[27:30], v26
	ds_load_b128 v[31:34], v3
	ds_load_b128 v[35:38], v3 offset:16
	ds_load_b128 v[39:42], v26 offset:16
	s_add_i32 s33, s33, 8
	s_delay_alu instid0(SALU_CYCLE_1) | instskip(SKIP_2) | instid1(VALU_DEP_1)
	s_cmp_lg_u32 s28, s33
	s_waitcnt lgkmcnt(2)
	v_fmac_f32_e32 v1, v32, v27
	v_fmac_f32_e32 v1, v31, v28
	s_delay_alu instid0(VALU_DEP_1) | instskip(NEXT) | instid1(VALU_DEP_1)
	v_dual_fmac_f32 v20, v31, v27 :: v_dual_fmac_f32 v1, v34, v29
	v_fma_f32 v20, -v32, v28, v20
	s_delay_alu instid0(VALU_DEP_1) | instskip(NEXT) | instid1(VALU_DEP_1)
	v_fmac_f32_e32 v20, v33, v29
	v_fma_f32 v20, -v34, v30, v20
	s_delay_alu instid0(VALU_DEP_4) | instskip(SKIP_4) | instid1(VALU_DEP_1)
	v_fmac_f32_e32 v1, v33, v30
	ds_load_b128 v[27:30], v26 offset:32
	ds_load_b128 v[31:34], v3 offset:32
	s_waitcnt lgkmcnt(2)
	v_fmac_f32_e32 v20, v35, v39
	v_fma_f32 v20, -v36, v40, v20
	s_delay_alu instid0(VALU_DEP_1) | instskip(NEXT) | instid1(VALU_DEP_1)
	v_fmac_f32_e32 v20, v37, v41
	v_fma_f32 v20, -v38, v42, v20
	s_waitcnt lgkmcnt(0)
	s_delay_alu instid0(VALU_DEP_1) | instskip(NEXT) | instid1(VALU_DEP_1)
	v_fmac_f32_e32 v20, v31, v27
	v_fma_f32 v20, -v32, v28, v20
	s_delay_alu instid0(VALU_DEP_1) | instskip(NEXT) | instid1(VALU_DEP_1)
	v_dual_fmac_f32 v1, v36, v39 :: v_dual_fmac_f32 v20, v33, v29
	v_fmac_f32_e32 v1, v35, v40
	s_delay_alu instid0(VALU_DEP_2) | instskip(NEXT) | instid1(VALU_DEP_2)
	v_fma_f32 v20, -v34, v30, v20
	v_fmac_f32_e32 v1, v38, v41
	s_delay_alu instid0(VALU_DEP_1) | instskip(SKIP_4) | instid1(VALU_DEP_1)
	v_fmac_f32_e32 v1, v37, v42
	ds_load_b128 v[35:38], v3 offset:48
	ds_load_b128 v[39:42], v26 offset:48
	v_add_nc_u32_e32 v3, 64, v3
	v_dual_fmac_f32 v1, v32, v27 :: v_dual_add_nc_u32 v26, 64, v26
	v_fmac_f32_e32 v1, v31, v28
	s_delay_alu instid0(VALU_DEP_1) | instskip(SKIP_1) | instid1(VALU_DEP_1)
	v_fmac_f32_e32 v1, v34, v29
	s_waitcnt lgkmcnt(0)
	v_dual_fmac_f32 v1, v33, v30 :: v_dual_fmac_f32 v20, v35, v39
	s_delay_alu instid0(VALU_DEP_1) | instskip(NEXT) | instid1(VALU_DEP_2)
	v_fmac_f32_e32 v1, v36, v39
	v_fma_f32 v20, -v36, v40, v20
	s_delay_alu instid0(VALU_DEP_1) | instskip(NEXT) | instid1(VALU_DEP_1)
	v_dual_fmac_f32 v1, v35, v40 :: v_dual_fmac_f32 v20, v37, v41
	v_fmac_f32_e32 v1, v38, v41
	s_delay_alu instid0(VALU_DEP_2) | instskip(NEXT) | instid1(VALU_DEP_2)
	v_fma_f32 v20, -v38, v42, v20
	v_fmac_f32_e32 v1, v37, v42
	s_cbranch_scc1 .LBB25_27
; %bb.28:                               ;   in Loop: Header=BB25_16 Depth=1
	s_mov_b32 s33, s28
	s_and_not1_b32 vcc_lo, exec_lo, s30
	s_cbranch_vccz .LBB25_30
	s_branch .LBB25_32
.LBB25_29:                              ;   in Loop: Header=BB25_16 Depth=1
	s_mov_b32 s33, 0
	s_and_not1_b32 vcc_lo, exec_lo, s30
	s_cbranch_vccnz .LBB25_32
.LBB25_30:                              ;   in Loop: Header=BB25_16 Depth=1
	s_lshl_b32 s33, s33, 3
	s_delay_alu instid0(SALU_CYCLE_1)
	v_add_nc_u32_e32 v3, s33, v23
	v_add_nc_u32_e32 v26, s33, v24
	s_mov_b32 s33, s8
.LBB25_31:                              ;   Parent Loop BB25_16 Depth=1
                                        ; =>  This Inner Loop Header: Depth=2
	ds_load_b64 v[27:28], v26
	ds_load_b64 v[29:30], v3
	s_add_i32 s33, s33, -1
	v_add_nc_u32_e32 v3, 8, v3
	v_add_nc_u32_e32 v26, 8, v26
	s_cmp_lg_u32 s33, 0
	s_waitcnt lgkmcnt(0)
	v_fmac_f32_e32 v20, v27, v29
	v_fmac_f32_e32 v1, v28, v29
	s_delay_alu instid0(VALU_DEP_2) | instskip(NEXT) | instid1(VALU_DEP_2)
	v_fma_f32 v20, -v28, v30, v20
	v_fmac_f32_e32 v1, v27, v30
	s_cbranch_scc1 .LBB25_31
.LBB25_32:                              ;   in Loop: Header=BB25_16 Depth=1
	s_or_b32 exec_lo, exec_lo, s31
	s_and_saveexec_b32 s31, s4
	s_cbranch_execz .LBB25_14
; %bb.33:                               ;   in Loop: Header=BB25_16 Depth=1
	s_and_not1_b32 vcc_lo, exec_lo, s9
	s_cbranch_vccnz .LBB25_37
; %bb.34:                               ;   in Loop: Header=BB25_16 Depth=1
	v_dual_mov_b32 v3, v24 :: v_dual_mov_b32 v26, v25
	s_mov_b32 s33, 0
.LBB25_35:                              ;   Parent Loop BB25_16 Depth=1
                                        ; =>  This Inner Loop Header: Depth=2
	ds_load_b128 v[27:30], v26
	ds_load_b128 v[31:34], v3
	ds_load_b128 v[35:38], v3 offset:16
	ds_load_b128 v[39:42], v26 offset:16
	s_add_i32 s33, s33, 8
	s_delay_alu instid0(SALU_CYCLE_1) | instskip(SKIP_2) | instid1(VALU_DEP_1)
	s_cmp_lg_u32 s28, s33
	s_waitcnt lgkmcnt(2)
	v_fmac_f32_e32 v18, v32, v27
	v_fmac_f32_e32 v18, v31, v28
	s_delay_alu instid0(VALU_DEP_1) | instskip(NEXT) | instid1(VALU_DEP_1)
	v_dual_fmac_f32 v19, v31, v27 :: v_dual_fmac_f32 v18, v34, v29
	v_fma_f32 v19, -v32, v28, v19
	s_delay_alu instid0(VALU_DEP_1) | instskip(NEXT) | instid1(VALU_DEP_1)
	v_fmac_f32_e32 v19, v33, v29
	v_fma_f32 v19, -v34, v30, v19
	s_delay_alu instid0(VALU_DEP_4) | instskip(SKIP_4) | instid1(VALU_DEP_1)
	v_fmac_f32_e32 v18, v33, v30
	ds_load_b128 v[27:30], v26 offset:32
	ds_load_b128 v[31:34], v3 offset:32
	s_waitcnt lgkmcnt(2)
	v_fmac_f32_e32 v19, v35, v39
	v_fma_f32 v19, -v36, v40, v19
	s_delay_alu instid0(VALU_DEP_1) | instskip(NEXT) | instid1(VALU_DEP_1)
	v_fmac_f32_e32 v19, v37, v41
	v_fma_f32 v19, -v38, v42, v19
	s_waitcnt lgkmcnt(0)
	s_delay_alu instid0(VALU_DEP_1) | instskip(NEXT) | instid1(VALU_DEP_1)
	v_fmac_f32_e32 v19, v31, v27
	v_fma_f32 v19, -v32, v28, v19
	s_delay_alu instid0(VALU_DEP_1) | instskip(NEXT) | instid1(VALU_DEP_1)
	v_dual_fmac_f32 v18, v36, v39 :: v_dual_fmac_f32 v19, v33, v29
	v_fmac_f32_e32 v18, v35, v40
	s_delay_alu instid0(VALU_DEP_2) | instskip(NEXT) | instid1(VALU_DEP_2)
	v_fma_f32 v19, -v34, v30, v19
	v_fmac_f32_e32 v18, v38, v41
	s_delay_alu instid0(VALU_DEP_1)
	v_fmac_f32_e32 v18, v37, v42
	ds_load_b128 v[35:38], v3 offset:48
	ds_load_b128 v[39:42], v26 offset:48
	v_add_nc_u32_e32 v3, 64, v3
	v_add_nc_u32_e32 v26, 64, v26
	v_fmac_f32_e32 v18, v32, v27
	s_delay_alu instid0(VALU_DEP_1) | instskip(NEXT) | instid1(VALU_DEP_1)
	v_fmac_f32_e32 v18, v31, v28
	v_fmac_f32_e32 v18, v34, v29
	s_waitcnt lgkmcnt(0)
	s_delay_alu instid0(VALU_DEP_1) | instskip(NEXT) | instid1(VALU_DEP_1)
	v_dual_fmac_f32 v18, v33, v30 :: v_dual_fmac_f32 v19, v35, v39
	v_fmac_f32_e32 v18, v36, v39
	s_delay_alu instid0(VALU_DEP_2) | instskip(NEXT) | instid1(VALU_DEP_1)
	v_fma_f32 v19, -v36, v40, v19
	v_dual_fmac_f32 v18, v35, v40 :: v_dual_fmac_f32 v19, v37, v41
	s_delay_alu instid0(VALU_DEP_1) | instskip(NEXT) | instid1(VALU_DEP_2)
	v_fmac_f32_e32 v18, v38, v41
	v_fma_f32 v19, -v38, v42, v19
	s_delay_alu instid0(VALU_DEP_2)
	v_fmac_f32_e32 v18, v37, v42
	s_cbranch_scc1 .LBB25_35
; %bb.36:                               ;   in Loop: Header=BB25_16 Depth=1
	s_mov_b32 s33, s28
	s_and_not1_b32 vcc_lo, exec_lo, s30
	s_cbranch_vccz .LBB25_38
	s_branch .LBB25_14
.LBB25_37:                              ;   in Loop: Header=BB25_16 Depth=1
	s_mov_b32 s33, 0
	s_and_not1_b32 vcc_lo, exec_lo, s30
	s_cbranch_vccnz .LBB25_14
.LBB25_38:                              ;   in Loop: Header=BB25_16 Depth=1
	s_lshl_b32 s33, s33, 3
	s_delay_alu instid0(SALU_CYCLE_1)
	v_add_nc_u32_e32 v3, s33, v25
	v_add_nc_u32_e32 v26, s33, v24
	s_mov_b32 s33, s8
.LBB25_39:                              ;   Parent Loop BB25_16 Depth=1
                                        ; =>  This Inner Loop Header: Depth=2
	ds_load_b64 v[27:28], v26
	ds_load_b64 v[29:30], v3
	s_add_i32 s33, s33, -1
	v_add_nc_u32_e32 v3, 8, v3
	v_add_nc_u32_e32 v26, 8, v26
	s_cmp_lg_u32 s33, 0
	s_waitcnt lgkmcnt(0)
	v_fmac_f32_e32 v19, v27, v29
	v_fmac_f32_e32 v18, v28, v29
	s_delay_alu instid0(VALU_DEP_2) | instskip(NEXT) | instid1(VALU_DEP_2)
	v_fma_f32 v19, -v28, v30, v19
	v_fmac_f32_e32 v18, v27, v30
	s_cbranch_scc1 .LBB25_39
	s_branch .LBB25_14
.LBB25_40:
	v_dual_mov_b32 v1, s6 :: v_dual_mov_b32 v2, s7
	flat_load_b32 v14, v[1:2]
	v_cndmask_b32_e64 v1, 0, 1, s3
	v_mov_b32_e32 v15, s7
	s_and_not1_b32 vcc_lo, exec_lo, s3
	s_cbranch_vccnz .LBB25_2
.LBB25_41:
	v_dual_mov_b32 v2, s6 :: v_dual_mov_b32 v3, s7
	flat_load_b32 v15, v[2:3] offset:4
	v_cmp_ne_u32_e32 vcc_lo, 1, v1
	v_mov_b32_e32 v16, s4
	s_cbranch_vccnz .LBB25_3
.LBB25_42:
	v_dual_mov_b32 v2, s4 :: v_dual_mov_b32 v3, s5
	flat_load_b32 v16, v[2:3]
	v_cmp_ne_u32_e32 vcc_lo, 1, v1
	v_mov_b32_e32 v17, s5
	s_cbranch_vccz .LBB25_4
	s_branch .LBB25_5
.LBB25_43:
	s_delay_alu instid0(VALU_DEP_1) | instskip(NEXT) | instid1(SALU_CYCLE_1)
	s_and_b32 s2, s18, s2
	s_and_b32 exec_lo, exec_lo, s2
	s_cbranch_execz .LBB25_66
; %bb.44:
	s_load_b64 s[2:3], s[0:1], 0x70
	v_mad_u64_u32 v[5:6], null, s14, s10, v[4:5]
	v_cmp_neq_f32_e32 vcc_lo, 0, v16
	v_cmp_neq_f32_e64 s0, 0, v17
	s_mov_b32 s4, exec_lo
	s_delay_alu instid0(VALU_DEP_1) | instskip(NEXT) | instid1(VALU_DEP_3)
	s_or_b32 s1, vcc_lo, s0
	v_ashrrev_i32_e32 v6, 31, v5
	s_cmp_lg_u32 s16, 1
	s_cselect_b32 s0, -1, 0
	s_waitcnt lgkmcnt(0)
	s_delay_alu instid0(VALU_DEP_1) | instskip(SKIP_2) | instid1(VALU_DEP_1)
	v_mul_lo_u32 v7, v6, s2
	v_mul_lo_u32 v8, v5, s3
	v_mad_u64_u32 v[3:4], null, v5, s2, 0
	v_add3_u32 v4, v4, v8, v7
	v_lshlrev_b64 v[6:7], 3, v[5:6]
	s_delay_alu instid0(VALU_DEP_2) | instskip(NEXT) | instid1(VALU_DEP_2)
	v_lshlrev_b64 v[3:4], 3, v[3:4]
	v_add_co_u32 v6, vcc_lo, s6, v6
	s_delay_alu instid0(VALU_DEP_3) | instskip(NEXT) | instid1(VALU_DEP_3)
	v_add_co_ci_u32_e32 v7, vcc_lo, s7, v7, vcc_lo
	v_add_co_u32 v8, vcc_lo, s6, v3
	s_delay_alu instid0(VALU_DEP_4)
	v_add_co_ci_u32_e32 v9, vcc_lo, s7, v4, vcc_lo
	v_cmpx_gt_i32_e64 s11, v2
	s_cbranch_execz .LBB25_55
; %bb.45:
	s_and_saveexec_b32 s5, s1
	s_delay_alu instid0(SALU_CYCLE_1)
	s_xor_b32 s5, exec_lo, s5
	s_cbranch_execz .LBB25_50
; %bb.46:
	v_ashrrev_i32_e32 v3, 31, v2
	s_and_b32 vcc_lo, exec_lo, s0
	s_mov_b32 s6, -1
	s_cbranch_vccz .LBB25_48
; %bb.47:
	s_delay_alu instid0(VALU_DEP_1) | instskip(SKIP_3) | instid1(VALU_DEP_2)
	v_lshlrev_b64 v[4:5], 3, v[2:3]
	v_mul_f32_e64 v12, v1, -v15
	v_mul_f32_e32 v13, v1, v14
	s_mov_b32 s6, 0
	v_fmac_f32_e32 v12, v14, v20
	s_delay_alu instid0(VALU_DEP_4) | instskip(SKIP_4) | instid1(VALU_DEP_1)
	v_add_co_u32 v4, vcc_lo, v8, v4
	v_add_co_ci_u32_e32 v5, vcc_lo, v9, v5, vcc_lo
	global_load_b64 v[10:11], v[4:5], off
	s_waitcnt vmcnt(0)
	v_dual_fmac_f32 v13, v15, v20 :: v_dual_fmac_f32 v12, v16, v10
	v_fmac_f32_e32 v13, v17, v10
	s_delay_alu instid0(VALU_DEP_2) | instskip(NEXT) | instid1(VALU_DEP_2)
	v_fma_f32 v12, -v17, v11, v12
	v_fmac_f32_e32 v13, v16, v11
	global_store_b64 v[4:5], v[12:13], off
.LBB25_48:
	s_and_not1_b32 vcc_lo, exec_lo, s6
	s_cbranch_vccnz .LBB25_50
; %bb.49:
	v_mul_lo_u32 v5, v3, s2
	v_mul_lo_u32 v10, v2, s3
	v_mad_u64_u32 v[3:4], null, v2, s2, 0
	s_delay_alu instid0(VALU_DEP_1) | instskip(SKIP_2) | instid1(VALU_DEP_3)
	v_add3_u32 v4, v4, v10, v5
	v_mul_f32_e64 v10, v1, -v15
	v_mul_f32_e32 v11, v1, v14
                                        ; implicit-def: $vgpr1
	v_lshlrev_b64 v[2:3], 3, v[3:4]
	s_delay_alu instid0(VALU_DEP_3) | instskip(NEXT) | instid1(VALU_DEP_3)
	v_fmac_f32_e32 v10, v14, v20
	v_fmac_f32_e32 v11, v15, v20
                                        ; implicit-def: $vgpr20
	s_delay_alu instid0(VALU_DEP_3) | instskip(NEXT) | instid1(VALU_DEP_4)
	v_add_co_u32 v2, vcc_lo, v6, v2
	v_add_co_ci_u32_e32 v3, vcc_lo, v7, v3, vcc_lo
	global_load_b64 v[4:5], v[2:3], off
	s_waitcnt vmcnt(0)
	v_fmac_f32_e32 v10, v16, v4
	v_fmac_f32_e32 v11, v17, v4
	s_delay_alu instid0(VALU_DEP_2) | instskip(NEXT) | instid1(VALU_DEP_2)
	v_fma_f32 v10, -v17, v5, v10
	v_fmac_f32_e32 v11, v16, v5
	global_store_b64 v[2:3], v[10:11], off
                                        ; implicit-def: $vgpr2
.LBB25_50:
	s_and_not1_saveexec_b32 s5, s5
	s_cbranch_execz .LBB25_55
; %bb.51:
	v_mul_f32_e64 v4, v1, -v15
	v_mul_f32_e32 v5, v1, v14
	v_ashrrev_i32_e32 v3, 31, v2
	s_and_b32 vcc_lo, exec_lo, s0
	s_mov_b32 s5, -1
	v_fmac_f32_e32 v4, v14, v20
	v_fmac_f32_e32 v5, v15, v20
	s_cbranch_vccz .LBB25_53
; %bb.52:
	v_lshlrev_b64 v[10:11], 3, v[2:3]
	s_mov_b32 s5, 0
	s_delay_alu instid0(VALU_DEP_1) | instskip(NEXT) | instid1(VALU_DEP_2)
	v_add_co_u32 v10, vcc_lo, v8, v10
	v_add_co_ci_u32_e32 v11, vcc_lo, v9, v11, vcc_lo
	global_store_b64 v[10:11], v[4:5], off
.LBB25_53:
	s_and_not1_b32 vcc_lo, exec_lo, s5
	s_cbranch_vccnz .LBB25_55
; %bb.54:
	v_mul_lo_u32 v1, v3, s2
	v_mul_lo_u32 v3, v2, s3
	v_mad_u64_u32 v[10:11], null, v2, s2, 0
	s_delay_alu instid0(VALU_DEP_1) | instskip(NEXT) | instid1(VALU_DEP_1)
	v_add3_u32 v11, v11, v3, v1
	v_lshlrev_b64 v[1:2], 3, v[10:11]
	s_delay_alu instid0(VALU_DEP_1) | instskip(NEXT) | instid1(VALU_DEP_2)
	v_add_co_u32 v1, vcc_lo, v6, v1
	v_add_co_ci_u32_e32 v2, vcc_lo, v7, v2, vcc_lo
	global_store_b64 v[1:2], v[4:5], off
.LBB25_55:
	s_or_b32 exec_lo, exec_lo, s4
	v_cmp_gt_i32_e32 vcc_lo, s11, v0
	s_and_b32 exec_lo, exec_lo, vcc_lo
	s_cbranch_execz .LBB25_66
; %bb.56:
	s_and_saveexec_b32 s4, s1
	s_delay_alu instid0(SALU_CYCLE_1)
	s_xor_b32 s1, exec_lo, s4
	s_cbranch_execz .LBB25_61
; %bb.57:
	v_ashrrev_i32_e32 v1, 31, v0
	s_and_not1_b32 vcc_lo, exec_lo, s0
	s_mov_b32 s4, -1
	s_cbranch_vccnz .LBB25_59
; %bb.58:
	s_delay_alu instid0(VALU_DEP_1) | instskip(SKIP_1) | instid1(VALU_DEP_1)
	v_lshlrev_b64 v[2:3], 3, v[0:1]
	s_mov_b32 s4, 0
	v_add_co_u32 v2, vcc_lo, v8, v2
	s_delay_alu instid0(VALU_DEP_2) | instskip(SKIP_4) | instid1(VALU_DEP_1)
	v_add_co_ci_u32_e32 v3, vcc_lo, v9, v3, vcc_lo
	v_mul_f32_e64 v8, v18, -v15
	global_load_b64 v[4:5], v[2:3], off
	v_fmac_f32_e32 v8, v14, v19
	s_waitcnt vmcnt(0)
	v_dual_mul_f32 v9, v18, v14 :: v_dual_fmac_f32 v8, v16, v4
	s_delay_alu instid0(VALU_DEP_1) | instskip(NEXT) | instid1(VALU_DEP_2)
	v_fmac_f32_e32 v9, v15, v19
	v_fma_f32 v8, -v17, v5, v8
	s_delay_alu instid0(VALU_DEP_2) | instskip(NEXT) | instid1(VALU_DEP_1)
	v_fmac_f32_e32 v9, v17, v4
	v_fmac_f32_e32 v9, v16, v5
	global_store_b64 v[2:3], v[8:9], off
.LBB25_59:
	s_and_not1_b32 vcc_lo, exec_lo, s4
                                        ; implicit-def: $vgpr8
                                        ; implicit-def: $vgpr9
	s_cbranch_vccnz .LBB25_61
; %bb.60:
	v_mul_lo_u32 v3, v1, s2
	v_mul_lo_u32 v4, v0, s3
	v_mad_u64_u32 v[1:2], null, v0, s2, 0
	v_mul_f32_e32 v5, v18, v14
                                        ; implicit-def: $vgpr8
                                        ; implicit-def: $vgpr9
	s_delay_alu instid0(VALU_DEP_2) | instskip(SKIP_1) | instid1(VALU_DEP_2)
	v_add3_u32 v2, v2, v4, v3
	v_mul_f32_e64 v4, v18, -v15
                                        ; implicit-def: $vgpr18
	v_lshlrev_b64 v[0:1], 3, v[1:2]
	s_delay_alu instid0(VALU_DEP_1) | instskip(NEXT) | instid1(VALU_DEP_2)
	v_add_co_u32 v0, vcc_lo, v6, v0
	v_add_co_ci_u32_e32 v1, vcc_lo, v7, v1, vcc_lo
                                        ; implicit-def: $vgpr6
                                        ; implicit-def: $vgpr7
	global_load_b64 v[2:3], v[0:1], off
	v_fmac_f32_e32 v5, v15, v19
	v_fmac_f32_e32 v4, v14, v19
                                        ; implicit-def: $vgpr14
                                        ; implicit-def: $vgpr15
                                        ; implicit-def: $vgpr19
	s_waitcnt vmcnt(0)
	s_delay_alu instid0(VALU_DEP_2) | instskip(NEXT) | instid1(VALU_DEP_2)
	v_fmac_f32_e32 v5, v17, v2
	v_fmac_f32_e32 v4, v16, v2
	s_delay_alu instid0(VALU_DEP_2) | instskip(NEXT) | instid1(VALU_DEP_2)
	v_fmac_f32_e32 v5, v16, v3
	v_fma_f32 v4, -v17, v3, v4
	global_store_b64 v[0:1], v[4:5], off
                                        ; implicit-def: $vgpr0
.LBB25_61:
	s_and_not1_saveexec_b32 s1, s1
	s_cbranch_execz .LBB25_66
; %bb.62:
	v_mul_f32_e64 v2, v18, -v15
	v_mul_f32_e32 v3, v18, v14
	v_ashrrev_i32_e32 v1, 31, v0
	s_and_not1_b32 vcc_lo, exec_lo, s0
	s_mov_b32 s0, -1
	v_fmac_f32_e32 v2, v14, v19
	v_fmac_f32_e32 v3, v15, v19
	s_cbranch_vccnz .LBB25_64
; %bb.63:
	v_lshlrev_b64 v[4:5], 3, v[0:1]
	s_mov_b32 s0, 0
	s_delay_alu instid0(VALU_DEP_1) | instskip(NEXT) | instid1(VALU_DEP_2)
	v_add_co_u32 v4, vcc_lo, v8, v4
	v_add_co_ci_u32_e32 v5, vcc_lo, v9, v5, vcc_lo
	global_store_b64 v[4:5], v[2:3], off
.LBB25_64:
	s_and_not1_b32 vcc_lo, exec_lo, s0
	s_cbranch_vccnz .LBB25_66
; %bb.65:
	v_mul_lo_u32 v1, v1, s2
	v_mul_lo_u32 v8, v0, s3
	v_mad_u64_u32 v[4:5], null, v0, s2, 0
	s_delay_alu instid0(VALU_DEP_1) | instskip(NEXT) | instid1(VALU_DEP_1)
	v_add3_u32 v5, v5, v8, v1
	v_lshlrev_b64 v[0:1], 3, v[4:5]
	s_delay_alu instid0(VALU_DEP_1) | instskip(NEXT) | instid1(VALU_DEP_2)
	v_add_co_u32 v0, vcc_lo, v6, v0
	v_add_co_ci_u32_e32 v1, vcc_lo, v7, v1, vcc_lo
	global_store_b64 v[0:1], v[2:3], off
.LBB25_66:
	s_nop 0
	s_sendmsg sendmsg(MSG_DEALLOC_VGPRS)
	s_endpgm
	.section	.rodata,"a",@progbits
	.p2align	6, 0x0
	.amdhsa_kernel _ZN9rocsparseL31bsrmm_large_blockdim_kernel_extILj4ELj16ELj2Eii21rocsparse_complex_numIfES2_S2_S2_EEvb20rocsparse_direction_T3_S4_llNS_24const_host_device_scalarIT7_EEPKT2_PKS4_PKT4_S4_PKT5_llS7_PT6_ll16rocsparse_order_21rocsparse_index_base_b
		.amdhsa_group_segment_fixed_size 1152
		.amdhsa_private_segment_fixed_size 0
		.amdhsa_kernarg_size 140
		.amdhsa_user_sgpr_count 14
		.amdhsa_user_sgpr_dispatch_ptr 0
		.amdhsa_user_sgpr_queue_ptr 0
		.amdhsa_user_sgpr_kernarg_segment_ptr 1
		.amdhsa_user_sgpr_dispatch_id 0
		.amdhsa_user_sgpr_private_segment_size 0
		.amdhsa_wavefront_size32 1
		.amdhsa_uses_dynamic_stack 0
		.amdhsa_enable_private_segment 0
		.amdhsa_system_sgpr_workgroup_id_x 1
		.amdhsa_system_sgpr_workgroup_id_y 1
		.amdhsa_system_sgpr_workgroup_id_z 0
		.amdhsa_system_sgpr_workgroup_info 0
		.amdhsa_system_vgpr_workitem_id 1
		.amdhsa_next_free_vgpr 43
		.amdhsa_next_free_sgpr 36
		.amdhsa_reserve_vcc 1
		.amdhsa_float_round_mode_32 0
		.amdhsa_float_round_mode_16_64 0
		.amdhsa_float_denorm_mode_32 3
		.amdhsa_float_denorm_mode_16_64 3
		.amdhsa_dx10_clamp 1
		.amdhsa_ieee_mode 1
		.amdhsa_fp16_overflow 0
		.amdhsa_workgroup_processor_mode 1
		.amdhsa_memory_ordered 1
		.amdhsa_forward_progress 0
		.amdhsa_shared_vgpr_count 0
		.amdhsa_exception_fp_ieee_invalid_op 0
		.amdhsa_exception_fp_denorm_src 0
		.amdhsa_exception_fp_ieee_div_zero 0
		.amdhsa_exception_fp_ieee_overflow 0
		.amdhsa_exception_fp_ieee_underflow 0
		.amdhsa_exception_fp_ieee_inexact 0
		.amdhsa_exception_int_div_zero 0
	.end_amdhsa_kernel
	.section	.text._ZN9rocsparseL31bsrmm_large_blockdim_kernel_extILj4ELj16ELj2Eii21rocsparse_complex_numIfES2_S2_S2_EEvb20rocsparse_direction_T3_S4_llNS_24const_host_device_scalarIT7_EEPKT2_PKS4_PKT4_S4_PKT5_llS7_PT6_ll16rocsparse_order_21rocsparse_index_base_b,"axG",@progbits,_ZN9rocsparseL31bsrmm_large_blockdim_kernel_extILj4ELj16ELj2Eii21rocsparse_complex_numIfES2_S2_S2_EEvb20rocsparse_direction_T3_S4_llNS_24const_host_device_scalarIT7_EEPKT2_PKS4_PKT4_S4_PKT5_llS7_PT6_ll16rocsparse_order_21rocsparse_index_base_b,comdat
.Lfunc_end25:
	.size	_ZN9rocsparseL31bsrmm_large_blockdim_kernel_extILj4ELj16ELj2Eii21rocsparse_complex_numIfES2_S2_S2_EEvb20rocsparse_direction_T3_S4_llNS_24const_host_device_scalarIT7_EEPKT2_PKS4_PKT4_S4_PKT5_llS7_PT6_ll16rocsparse_order_21rocsparse_index_base_b, .Lfunc_end25-_ZN9rocsparseL31bsrmm_large_blockdim_kernel_extILj4ELj16ELj2Eii21rocsparse_complex_numIfES2_S2_S2_EEvb20rocsparse_direction_T3_S4_llNS_24const_host_device_scalarIT7_EEPKT2_PKS4_PKT4_S4_PKT5_llS7_PT6_ll16rocsparse_order_21rocsparse_index_base_b
                                        ; -- End function
	.section	.AMDGPU.csdata,"",@progbits
; Kernel info:
; codeLenInByte = 3208
; NumSgprs: 38
; NumVgprs: 43
; ScratchSize: 0
; MemoryBound: 0
; FloatMode: 240
; IeeeMode: 1
; LDSByteSize: 1152 bytes/workgroup (compile time only)
; SGPRBlocks: 4
; VGPRBlocks: 5
; NumSGPRsForWavesPerEU: 38
; NumVGPRsForWavesPerEU: 43
; Occupancy: 16
; WaveLimiterHint : 1
; COMPUTE_PGM_RSRC2:SCRATCH_EN: 0
; COMPUTE_PGM_RSRC2:USER_SGPR: 14
; COMPUTE_PGM_RSRC2:TRAP_HANDLER: 0
; COMPUTE_PGM_RSRC2:TGID_X_EN: 1
; COMPUTE_PGM_RSRC2:TGID_Y_EN: 1
; COMPUTE_PGM_RSRC2:TGID_Z_EN: 0
; COMPUTE_PGM_RSRC2:TIDIG_COMP_CNT: 1
	.section	.text._ZN9rocsparseL31bsrmm_large_blockdim_kernel_extILj16ELj16ELj2Eii21rocsparse_complex_numIfES2_S2_S2_EEvb20rocsparse_direction_T3_S4_llNS_24const_host_device_scalarIT7_EEPKT2_PKS4_PKT4_S4_PKT5_llS7_PT6_ll16rocsparse_order_21rocsparse_index_base_b,"axG",@progbits,_ZN9rocsparseL31bsrmm_large_blockdim_kernel_extILj16ELj16ELj2Eii21rocsparse_complex_numIfES2_S2_S2_EEvb20rocsparse_direction_T3_S4_llNS_24const_host_device_scalarIT7_EEPKT2_PKS4_PKT4_S4_PKT5_llS7_PT6_ll16rocsparse_order_21rocsparse_index_base_b,comdat
	.globl	_ZN9rocsparseL31bsrmm_large_blockdim_kernel_extILj16ELj16ELj2Eii21rocsparse_complex_numIfES2_S2_S2_EEvb20rocsparse_direction_T3_S4_llNS_24const_host_device_scalarIT7_EEPKT2_PKS4_PKT4_S4_PKT5_llS7_PT6_ll16rocsparse_order_21rocsparse_index_base_b ; -- Begin function _ZN9rocsparseL31bsrmm_large_blockdim_kernel_extILj16ELj16ELj2Eii21rocsparse_complex_numIfES2_S2_S2_EEvb20rocsparse_direction_T3_S4_llNS_24const_host_device_scalarIT7_EEPKT2_PKS4_PKT4_S4_PKT5_llS7_PT6_ll16rocsparse_order_21rocsparse_index_base_b
	.p2align	8
	.type	_ZN9rocsparseL31bsrmm_large_blockdim_kernel_extILj16ELj16ELj2Eii21rocsparse_complex_numIfES2_S2_S2_EEvb20rocsparse_direction_T3_S4_llNS_24const_host_device_scalarIT7_EEPKT2_PKS4_PKT4_S4_PKT5_llS7_PT6_ll16rocsparse_order_21rocsparse_index_base_b,@function
_ZN9rocsparseL31bsrmm_large_blockdim_kernel_extILj16ELj16ELj2Eii21rocsparse_complex_numIfES2_S2_S2_EEvb20rocsparse_direction_T3_S4_llNS_24const_host_device_scalarIT7_EEPKT2_PKS4_PKT4_S4_PKT5_llS7_PT6_ll16rocsparse_order_21rocsparse_index_base_b: ; @_ZN9rocsparseL31bsrmm_large_blockdim_kernel_extILj16ELj16ELj2Eii21rocsparse_complex_numIfES2_S2_S2_EEvb20rocsparse_direction_T3_S4_llNS_24const_host_device_scalarIT7_EEPKT2_PKS4_PKT4_S4_PKT5_llS7_PT6_ll16rocsparse_order_21rocsparse_index_base_b
; %bb.0:
	s_clause 0x2
	s_load_b128 s[16:19], s[0:1], 0x80
	s_load_b64 s[6:7], s[0:1], 0x20
	s_load_b64 s[4:5], s[0:1], 0x60
	s_mov_b32 s2, s15
	s_waitcnt lgkmcnt(0)
	s_bitcmp1_b32 s18, 0
	v_mov_b32_e32 v14, s6
	s_cselect_b32 s3, -1, 0
	s_delay_alu instid0(SALU_CYCLE_1)
	s_and_b32 vcc_lo, exec_lo, s3
	s_xor_b32 s3, s3, -1
	s_cbranch_vccz .LBB26_40
; %bb.1:
	v_cndmask_b32_e64 v1, 0, 1, s3
	v_mov_b32_e32 v15, s7
	s_and_not1_b32 vcc_lo, exec_lo, s3
	s_cbranch_vccz .LBB26_41
.LBB26_2:
	s_delay_alu instid0(VALU_DEP_2)
	v_cmp_ne_u32_e32 vcc_lo, 1, v1
	v_mov_b32_e32 v16, s4
	s_cbranch_vccz .LBB26_42
.LBB26_3:
	v_cmp_ne_u32_e32 vcc_lo, 1, v1
	v_mov_b32_e32 v17, s5
	s_cbranch_vccnz .LBB26_5
.LBB26_4:
	v_dual_mov_b32 v1, s4 :: v_dual_mov_b32 v2, s5
	flat_load_b32 v17, v[1:2] offset:4
.LBB26_5:
	s_waitcnt vmcnt(0) lgkmcnt(0)
	v_cmp_eq_f32_e32 vcc_lo, 0, v14
	v_cmp_eq_f32_e64 s3, 0, v15
	s_delay_alu instid0(VALU_DEP_1)
	s_and_b32 s5, vcc_lo, s3
	s_mov_b32 s3, -1
	s_and_saveexec_b32 s4, s5
; %bb.6:
	v_cmp_neq_f32_e32 vcc_lo, 1.0, v16
	v_cmp_neq_f32_e64 s3, 0, v17
	s_delay_alu instid0(VALU_DEP_1) | instskip(NEXT) | instid1(SALU_CYCLE_1)
	s_or_b32 s3, vcc_lo, s3
	s_or_not1_b32 s3, s3, exec_lo
; %bb.7:
	s_or_b32 exec_lo, exec_lo, s4
	s_and_saveexec_b32 s4, s3
	s_cbranch_execz .LBB26_66
; %bb.8:
	s_clause 0x1
	s_load_b128 s[8:11], s[0:1], 0x0
	s_load_b64 s[4:5], s[0:1], 0x28
	s_mov_b32 s19, 0
	s_mov_b32 s12, 0
	s_waitcnt lgkmcnt(0)
	s_cmp_lt_i32 s14, s10
	s_cselect_b32 s18, -1, 0
	s_cmp_ge_i32 s14, s10
	s_cbranch_scc1 .LBB26_10
; %bb.9:
	s_ashr_i32 s15, s14, 31
	s_delay_alu instid0(SALU_CYCLE_1) | instskip(NEXT) | instid1(SALU_CYCLE_1)
	s_lshl_b64 s[6:7], s[14:15], 2
	s_add_u32 s6, s4, s6
	s_addc_u32 s7, s5, s7
	s_load_b32 s3, s[6:7], 0x0
	s_waitcnt lgkmcnt(0)
	s_sub_i32 s12, s3, s17
.LBB26_10:
	s_and_not1_b32 vcc_lo, exec_lo, s18
	s_cbranch_vccnz .LBB26_12
; %bb.11:
	s_ashr_i32 s15, s14, 31
	s_delay_alu instid0(SALU_CYCLE_1) | instskip(NEXT) | instid1(SALU_CYCLE_1)
	s_lshl_b64 s[6:7], s[14:15], 2
	s_add_u32 s4, s4, s6
	s_addc_u32 s5, s5, s7
	s_load_b32 s3, s[4:5], 0x4
	s_waitcnt lgkmcnt(0)
	s_sub_i32 s19, s3, s17
.LBB26_12:
	s_clause 0x1
	s_load_b32 s10, s[0:1], 0x40
	s_load_b64 s[6:7], s[0:1], 0x68
	v_bfe_u32 v5, v0, 10, 10
	v_dual_mov_b32 v1, 0 :: v_dual_and_b32 v4, 0x3ff, v0
	v_mov_b32_e32 v20, 0
	v_mov_b32_e32 v18, 0
	s_delay_alu instid0(VALU_DEP_4) | instskip(SKIP_1) | instid1(VALU_DEP_1)
	v_lshl_add_u32 v2, s2, 5, v5
	s_cmp_ge_i32 s12, s19
	v_dual_mov_b32 v19, 0 :: v_dual_add_nc_u32 v0, 16, v2
	v_cmp_gt_i32_e64 s3, s11, v2
	s_delay_alu instid0(VALU_DEP_2)
	v_cmp_gt_i32_e64 s4, s11, v0
	s_waitcnt lgkmcnt(0)
	v_cmp_gt_i32_e64 s2, s10, v4
	s_cbranch_scc1 .LBB26_43
; %bb.13:
	s_clause 0x1
	s_load_b128 s[20:23], s[0:1], 0x48
	s_load_b128 s[24:27], s[0:1], 0x30
	v_mad_u64_u32 v[6:7], null, v5, s10, v[4:5]
	v_ashrrev_i32_e32 v3, 31, v2
	v_ashrrev_i32_e32 v1, 31, v0
	v_cmp_gt_i32_e32 vcc_lo, s10, v5
	v_lshl_add_u32 v13, v4, 4, v5
	v_lshl_add_u32 v24, v4, 7, 0x1000
	s_mul_i32 s29, s10, s10
	v_mad_u64_u32 v[7:8], null, v4, s10, v[5:6]
	s_and_b32 s15, s2, vcc_lo
	s_bitcmp1_b32 s8, 0
	v_lshl_add_u32 v21, v13, 3, 0x1000
	s_cselect_b32 s5, -1, 0
	s_cmp_eq_u32 s9, 0
	s_cselect_b32 vcc_lo, -1, 0
	v_lshlrev_b32_e32 v12, 4, v5
	s_waitcnt lgkmcnt(0)
	v_mul_lo_u32 v18, v2, s23
	v_mul_lo_u32 v19, v3, s22
	v_mad_u64_u32 v[8:9], null, v2, s22, 0
	v_mul_lo_u32 v20, v0, s23
	v_mul_lo_u32 v23, v1, s22
	v_mad_u64_u32 v[10:11], null, v0, s22, 0
	s_add_i32 s9, s10, -1
	s_and_b32 s8, s10, 7
	s_delay_alu instid0(VALU_DEP_4) | instskip(SKIP_3) | instid1(VALU_DEP_3)
	v_add3_u32 v9, v9, v18, v19
	s_cmp_gt_u32 s9, 6
	v_mov_b32_e32 v18, 0
	s_cselect_b32 s9, -1, 0
	v_add3_u32 v11, v11, v20, v23
	v_lshlrev_b32_e32 v23, 7, v5
	v_cndmask_b32_e32 v5, v6, v7, vcc_lo
	v_add_lshl_u32 v22, v12, v4, 3
	v_lshlrev_b64 v[6:7], 3, v[8:9]
	v_lshlrev_b64 v[8:9], 3, v[2:3]
	;; [unrolled: 1-line block ×4, first 2 shown]
	s_and_b32 s28, s10, -8
	v_dual_mov_b32 v20, 0 :: v_dual_add_nc_u32 v25, 0x800, v23
	v_mov_b32_e32 v19, 0
	v_mov_b32_e32 v1, 0
	s_cmp_lg_u32 s8, 0
	s_cselect_b32 s30, -1, 0
	s_branch .LBB26_16
.LBB26_14:                              ;   in Loop: Header=BB26_16 Depth=1
	s_or_b32 exec_lo, exec_lo, s31
.LBB26_15:                              ;   in Loop: Header=BB26_16 Depth=1
	s_delay_alu instid0(SALU_CYCLE_1) | instskip(SKIP_1) | instid1(SALU_CYCLE_1)
	s_or_b32 exec_lo, exec_lo, s13
	s_add_i32 s12, s12, 1
	s_cmp_ge_i32 s12, s19
	s_barrier
	buffer_gl0_inv
	s_cbranch_scc1 .LBB26_43
.LBB26_16:                              ; =>This Loop Header: Depth=1
                                        ;     Child Loop BB26_27 Depth 2
                                        ;     Child Loop BB26_31 Depth 2
                                        ;     Child Loop BB26_35 Depth 2
                                        ;     Child Loop BB26_39 Depth 2
	s_and_saveexec_b32 s31, s2
	s_cbranch_execz .LBB26_21
; %bb.17:                               ;   in Loop: Header=BB26_16 Depth=1
	s_ashr_i32 s13, s12, 31
	s_delay_alu instid0(SALU_CYCLE_1) | instskip(NEXT) | instid1(SALU_CYCLE_1)
	s_lshl_b64 s[34:35], s[12:13], 2
	s_add_u32 s34, s24, s34
	s_addc_u32 s35, s25, s35
	s_load_b32 s13, s[34:35], 0x0
	s_waitcnt lgkmcnt(0)
	s_sub_i32 s13, s13, s17
	s_delay_alu instid0(SALU_CYCLE_1) | instskip(NEXT) | instid1(VALU_DEP_1)
	v_mad_u64_u32 v[26:27], null, s13, s10, v[4:5]
	v_ashrrev_i32_e32 v27, 31, v26
	v_mul_lo_u32 v3, v26, s23
	v_mad_u64_u32 v[28:29], null, v26, s22, 0
	s_delay_alu instid0(VALU_DEP_3) | instskip(NEXT) | instid1(VALU_DEP_1)
	v_mul_lo_u32 v30, v27, s22
	v_add3_u32 v29, v29, v3, v30
	v_lshlrev_b64 v[30:31], 3, v[26:27]
	s_delay_alu instid0(VALU_DEP_2) | instskip(NEXT) | instid1(VALU_DEP_1)
	v_lshlrev_b64 v[28:29], 3, v[28:29]
	v_add_co_u32 v3, vcc_lo, s20, v28
	s_delay_alu instid0(VALU_DEP_2) | instskip(NEXT) | instid1(VALU_DEP_4)
	v_add_co_ci_u32_e32 v26, vcc_lo, s21, v29, vcc_lo
	v_add_co_u32 v27, vcc_lo, s20, v30
	v_add_co_ci_u32_e32 v28, vcc_lo, s21, v31, vcc_lo
	s_and_saveexec_b32 s13, s3
	s_cbranch_execz .LBB26_19
; %bb.18:                               ;   in Loop: Header=BB26_16 Depth=1
	s_delay_alu instid0(VALU_DEP_2) | instskip(NEXT) | instid1(VALU_DEP_2)
	v_add_co_u32 v29, vcc_lo, v27, v6
	v_add_co_ci_u32_e32 v30, vcc_lo, v28, v7, vcc_lo
	v_add_co_u32 v31, vcc_lo, v3, v8
	v_add_co_ci_u32_e32 v32, vcc_lo, v26, v9, vcc_lo
	s_delay_alu instid0(VALU_DEP_2) | instskip(NEXT) | instid1(VALU_DEP_2)
	v_cndmask_b32_e64 v29, v31, v29, s5
	v_cndmask_b32_e64 v30, v32, v30, s5
	global_load_b64 v[29:30], v[29:30], off
	s_waitcnt vmcnt(0)
	ds_store_b64 v22, v[29:30]
.LBB26_19:                              ;   in Loop: Header=BB26_16 Depth=1
	s_or_b32 exec_lo, exec_lo, s13
	s_delay_alu instid0(SALU_CYCLE_1)
	s_and_b32 exec_lo, exec_lo, s4
	s_cbranch_execz .LBB26_21
; %bb.20:                               ;   in Loop: Header=BB26_16 Depth=1
	v_add_co_u32 v29, vcc_lo, v27, v10
	v_add_co_ci_u32_e32 v27, vcc_lo, v28, v11, vcc_lo
	v_add_co_u32 v3, vcc_lo, v3, v12
	v_add_co_ci_u32_e32 v26, vcc_lo, v26, v13, vcc_lo
	s_delay_alu instid0(VALU_DEP_1) | instskip(NEXT) | instid1(VALU_DEP_3)
	v_cndmask_b32_e64 v27, v26, v27, s5
	v_cndmask_b32_e64 v26, v3, v29, s5
	global_load_b64 v[26:27], v[26:27], off
	s_waitcnt vmcnt(0)
	ds_store_b64 v22, v[26:27] offset:2048
.LBB26_21:                              ;   in Loop: Header=BB26_16 Depth=1
	s_or_b32 exec_lo, exec_lo, s31
	s_and_saveexec_b32 s13, s15
	s_cbranch_execz .LBB26_23
; %bb.22:                               ;   in Loop: Header=BB26_16 Depth=1
	v_mad_u64_u32 v[26:27], null, s29, s12, v[5:6]
	s_delay_alu instid0(VALU_DEP_1) | instskip(NEXT) | instid1(VALU_DEP_1)
	v_ashrrev_i32_e32 v27, 31, v26
	v_lshlrev_b64 v[26:27], 3, v[26:27]
	s_delay_alu instid0(VALU_DEP_1) | instskip(NEXT) | instid1(VALU_DEP_2)
	v_add_co_u32 v26, vcc_lo, s26, v26
	v_add_co_ci_u32_e32 v27, vcc_lo, s27, v27, vcc_lo
	global_load_b64 v[26:27], v[26:27], off
	s_waitcnt vmcnt(0)
	ds_store_b64 v21, v[26:27]
.LBB26_23:                              ;   in Loop: Header=BB26_16 Depth=1
	s_or_b32 exec_lo, exec_lo, s13
	s_waitcnt lgkmcnt(0)
	s_barrier
	buffer_gl0_inv
	s_and_saveexec_b32 s13, s2
	s_cbranch_execz .LBB26_15
; %bb.24:                               ;   in Loop: Header=BB26_16 Depth=1
	s_and_saveexec_b32 s31, s3
	s_cbranch_execz .LBB26_32
; %bb.25:                               ;   in Loop: Header=BB26_16 Depth=1
	s_and_not1_b32 vcc_lo, exec_lo, s9
	s_cbranch_vccnz .LBB26_29
; %bb.26:                               ;   in Loop: Header=BB26_16 Depth=1
	v_dual_mov_b32 v3, v24 :: v_dual_mov_b32 v26, v23
	s_mov_b32 s33, 0
.LBB26_27:                              ;   Parent Loop BB26_16 Depth=1
                                        ; =>  This Inner Loop Header: Depth=2
	ds_load_b128 v[27:30], v26
	ds_load_b128 v[31:34], v3
	ds_load_b128 v[35:38], v3 offset:16
	ds_load_b128 v[39:42], v26 offset:16
	s_add_i32 s33, s33, 8
	s_delay_alu instid0(SALU_CYCLE_1) | instskip(SKIP_2) | instid1(VALU_DEP_1)
	s_cmp_lg_u32 s28, s33
	s_waitcnt lgkmcnt(2)
	v_fmac_f32_e32 v1, v32, v27
	v_fmac_f32_e32 v1, v31, v28
	s_delay_alu instid0(VALU_DEP_1) | instskip(NEXT) | instid1(VALU_DEP_1)
	v_dual_fmac_f32 v20, v31, v27 :: v_dual_fmac_f32 v1, v34, v29
	v_fma_f32 v20, -v32, v28, v20
	s_delay_alu instid0(VALU_DEP_1) | instskip(NEXT) | instid1(VALU_DEP_1)
	v_fmac_f32_e32 v20, v33, v29
	v_fma_f32 v20, -v34, v30, v20
	s_delay_alu instid0(VALU_DEP_4) | instskip(SKIP_4) | instid1(VALU_DEP_1)
	v_fmac_f32_e32 v1, v33, v30
	ds_load_b128 v[27:30], v26 offset:32
	ds_load_b128 v[31:34], v3 offset:32
	s_waitcnt lgkmcnt(2)
	v_fmac_f32_e32 v20, v35, v39
	v_fma_f32 v20, -v36, v40, v20
	s_delay_alu instid0(VALU_DEP_1) | instskip(NEXT) | instid1(VALU_DEP_1)
	v_fmac_f32_e32 v20, v37, v41
	v_fma_f32 v20, -v38, v42, v20
	s_waitcnt lgkmcnt(0)
	s_delay_alu instid0(VALU_DEP_1) | instskip(NEXT) | instid1(VALU_DEP_1)
	v_fmac_f32_e32 v20, v31, v27
	v_fma_f32 v20, -v32, v28, v20
	s_delay_alu instid0(VALU_DEP_1) | instskip(NEXT) | instid1(VALU_DEP_1)
	v_dual_fmac_f32 v1, v36, v39 :: v_dual_fmac_f32 v20, v33, v29
	v_fmac_f32_e32 v1, v35, v40
	s_delay_alu instid0(VALU_DEP_2) | instskip(NEXT) | instid1(VALU_DEP_2)
	v_fma_f32 v20, -v34, v30, v20
	v_fmac_f32_e32 v1, v38, v41
	s_delay_alu instid0(VALU_DEP_1) | instskip(SKIP_4) | instid1(VALU_DEP_1)
	v_fmac_f32_e32 v1, v37, v42
	ds_load_b128 v[35:38], v3 offset:48
	ds_load_b128 v[39:42], v26 offset:48
	v_add_nc_u32_e32 v3, 64, v3
	v_dual_fmac_f32 v1, v32, v27 :: v_dual_add_nc_u32 v26, 64, v26
	v_fmac_f32_e32 v1, v31, v28
	s_delay_alu instid0(VALU_DEP_1) | instskip(SKIP_1) | instid1(VALU_DEP_1)
	v_fmac_f32_e32 v1, v34, v29
	s_waitcnt lgkmcnt(0)
	v_dual_fmac_f32 v1, v33, v30 :: v_dual_fmac_f32 v20, v35, v39
	s_delay_alu instid0(VALU_DEP_1) | instskip(NEXT) | instid1(VALU_DEP_2)
	v_fmac_f32_e32 v1, v36, v39
	v_fma_f32 v20, -v36, v40, v20
	s_delay_alu instid0(VALU_DEP_1) | instskip(NEXT) | instid1(VALU_DEP_1)
	v_dual_fmac_f32 v1, v35, v40 :: v_dual_fmac_f32 v20, v37, v41
	v_fmac_f32_e32 v1, v38, v41
	s_delay_alu instid0(VALU_DEP_2) | instskip(NEXT) | instid1(VALU_DEP_2)
	v_fma_f32 v20, -v38, v42, v20
	v_fmac_f32_e32 v1, v37, v42
	s_cbranch_scc1 .LBB26_27
; %bb.28:                               ;   in Loop: Header=BB26_16 Depth=1
	s_mov_b32 s33, s28
	s_and_not1_b32 vcc_lo, exec_lo, s30
	s_cbranch_vccz .LBB26_30
	s_branch .LBB26_32
.LBB26_29:                              ;   in Loop: Header=BB26_16 Depth=1
	s_mov_b32 s33, 0
	s_and_not1_b32 vcc_lo, exec_lo, s30
	s_cbranch_vccnz .LBB26_32
.LBB26_30:                              ;   in Loop: Header=BB26_16 Depth=1
	s_lshl_b32 s33, s33, 3
	s_delay_alu instid0(SALU_CYCLE_1)
	v_add_nc_u32_e32 v3, s33, v23
	v_add_nc_u32_e32 v26, s33, v24
	s_mov_b32 s33, s8
.LBB26_31:                              ;   Parent Loop BB26_16 Depth=1
                                        ; =>  This Inner Loop Header: Depth=2
	ds_load_b64 v[27:28], v26
	ds_load_b64 v[29:30], v3
	s_add_i32 s33, s33, -1
	v_add_nc_u32_e32 v3, 8, v3
	v_add_nc_u32_e32 v26, 8, v26
	s_cmp_lg_u32 s33, 0
	s_waitcnt lgkmcnt(0)
	v_fmac_f32_e32 v20, v27, v29
	v_fmac_f32_e32 v1, v28, v29
	s_delay_alu instid0(VALU_DEP_2) | instskip(NEXT) | instid1(VALU_DEP_2)
	v_fma_f32 v20, -v28, v30, v20
	v_fmac_f32_e32 v1, v27, v30
	s_cbranch_scc1 .LBB26_31
.LBB26_32:                              ;   in Loop: Header=BB26_16 Depth=1
	s_or_b32 exec_lo, exec_lo, s31
	s_and_saveexec_b32 s31, s4
	s_cbranch_execz .LBB26_14
; %bb.33:                               ;   in Loop: Header=BB26_16 Depth=1
	s_and_not1_b32 vcc_lo, exec_lo, s9
	s_cbranch_vccnz .LBB26_37
; %bb.34:                               ;   in Loop: Header=BB26_16 Depth=1
	v_dual_mov_b32 v3, v24 :: v_dual_mov_b32 v26, v25
	s_mov_b32 s33, 0
.LBB26_35:                              ;   Parent Loop BB26_16 Depth=1
                                        ; =>  This Inner Loop Header: Depth=2
	ds_load_b128 v[27:30], v26
	ds_load_b128 v[31:34], v3
	ds_load_b128 v[35:38], v3 offset:16
	ds_load_b128 v[39:42], v26 offset:16
	s_add_i32 s33, s33, 8
	s_delay_alu instid0(SALU_CYCLE_1) | instskip(SKIP_2) | instid1(VALU_DEP_1)
	s_cmp_lg_u32 s28, s33
	s_waitcnt lgkmcnt(2)
	v_fmac_f32_e32 v18, v32, v27
	v_fmac_f32_e32 v18, v31, v28
	s_delay_alu instid0(VALU_DEP_1) | instskip(NEXT) | instid1(VALU_DEP_1)
	v_dual_fmac_f32 v19, v31, v27 :: v_dual_fmac_f32 v18, v34, v29
	v_fma_f32 v19, -v32, v28, v19
	s_delay_alu instid0(VALU_DEP_1) | instskip(NEXT) | instid1(VALU_DEP_1)
	v_fmac_f32_e32 v19, v33, v29
	v_fma_f32 v19, -v34, v30, v19
	s_delay_alu instid0(VALU_DEP_4) | instskip(SKIP_4) | instid1(VALU_DEP_1)
	v_fmac_f32_e32 v18, v33, v30
	ds_load_b128 v[27:30], v26 offset:32
	ds_load_b128 v[31:34], v3 offset:32
	s_waitcnt lgkmcnt(2)
	v_fmac_f32_e32 v19, v35, v39
	v_fma_f32 v19, -v36, v40, v19
	s_delay_alu instid0(VALU_DEP_1) | instskip(NEXT) | instid1(VALU_DEP_1)
	v_fmac_f32_e32 v19, v37, v41
	v_fma_f32 v19, -v38, v42, v19
	s_waitcnt lgkmcnt(0)
	s_delay_alu instid0(VALU_DEP_1) | instskip(NEXT) | instid1(VALU_DEP_1)
	v_fmac_f32_e32 v19, v31, v27
	v_fma_f32 v19, -v32, v28, v19
	s_delay_alu instid0(VALU_DEP_1) | instskip(NEXT) | instid1(VALU_DEP_1)
	v_dual_fmac_f32 v18, v36, v39 :: v_dual_fmac_f32 v19, v33, v29
	v_fmac_f32_e32 v18, v35, v40
	s_delay_alu instid0(VALU_DEP_2) | instskip(NEXT) | instid1(VALU_DEP_2)
	v_fma_f32 v19, -v34, v30, v19
	v_fmac_f32_e32 v18, v38, v41
	s_delay_alu instid0(VALU_DEP_1)
	v_fmac_f32_e32 v18, v37, v42
	ds_load_b128 v[35:38], v3 offset:48
	ds_load_b128 v[39:42], v26 offset:48
	v_add_nc_u32_e32 v3, 64, v3
	v_add_nc_u32_e32 v26, 64, v26
	v_fmac_f32_e32 v18, v32, v27
	s_delay_alu instid0(VALU_DEP_1) | instskip(NEXT) | instid1(VALU_DEP_1)
	v_fmac_f32_e32 v18, v31, v28
	v_fmac_f32_e32 v18, v34, v29
	s_waitcnt lgkmcnt(0)
	s_delay_alu instid0(VALU_DEP_1) | instskip(NEXT) | instid1(VALU_DEP_1)
	v_dual_fmac_f32 v18, v33, v30 :: v_dual_fmac_f32 v19, v35, v39
	v_fmac_f32_e32 v18, v36, v39
	s_delay_alu instid0(VALU_DEP_2) | instskip(NEXT) | instid1(VALU_DEP_1)
	v_fma_f32 v19, -v36, v40, v19
	v_dual_fmac_f32 v18, v35, v40 :: v_dual_fmac_f32 v19, v37, v41
	s_delay_alu instid0(VALU_DEP_1) | instskip(NEXT) | instid1(VALU_DEP_2)
	v_fmac_f32_e32 v18, v38, v41
	v_fma_f32 v19, -v38, v42, v19
	s_delay_alu instid0(VALU_DEP_2)
	v_fmac_f32_e32 v18, v37, v42
	s_cbranch_scc1 .LBB26_35
; %bb.36:                               ;   in Loop: Header=BB26_16 Depth=1
	s_mov_b32 s33, s28
	s_and_not1_b32 vcc_lo, exec_lo, s30
	s_cbranch_vccz .LBB26_38
	s_branch .LBB26_14
.LBB26_37:                              ;   in Loop: Header=BB26_16 Depth=1
	s_mov_b32 s33, 0
	s_and_not1_b32 vcc_lo, exec_lo, s30
	s_cbranch_vccnz .LBB26_14
.LBB26_38:                              ;   in Loop: Header=BB26_16 Depth=1
	s_lshl_b32 s33, s33, 3
	s_delay_alu instid0(SALU_CYCLE_1)
	v_add_nc_u32_e32 v3, s33, v25
	v_add_nc_u32_e32 v26, s33, v24
	s_mov_b32 s33, s8
.LBB26_39:                              ;   Parent Loop BB26_16 Depth=1
                                        ; =>  This Inner Loop Header: Depth=2
	ds_load_b64 v[27:28], v26
	ds_load_b64 v[29:30], v3
	s_add_i32 s33, s33, -1
	v_add_nc_u32_e32 v3, 8, v3
	v_add_nc_u32_e32 v26, 8, v26
	s_cmp_lg_u32 s33, 0
	s_waitcnt lgkmcnt(0)
	v_fmac_f32_e32 v19, v27, v29
	v_fmac_f32_e32 v18, v28, v29
	s_delay_alu instid0(VALU_DEP_2) | instskip(NEXT) | instid1(VALU_DEP_2)
	v_fma_f32 v19, -v28, v30, v19
	v_fmac_f32_e32 v18, v27, v30
	s_cbranch_scc1 .LBB26_39
	s_branch .LBB26_14
.LBB26_40:
	v_dual_mov_b32 v1, s6 :: v_dual_mov_b32 v2, s7
	flat_load_b32 v14, v[1:2]
	v_cndmask_b32_e64 v1, 0, 1, s3
	v_mov_b32_e32 v15, s7
	s_and_not1_b32 vcc_lo, exec_lo, s3
	s_cbranch_vccnz .LBB26_2
.LBB26_41:
	v_dual_mov_b32 v2, s6 :: v_dual_mov_b32 v3, s7
	flat_load_b32 v15, v[2:3] offset:4
	v_cmp_ne_u32_e32 vcc_lo, 1, v1
	v_mov_b32_e32 v16, s4
	s_cbranch_vccnz .LBB26_3
.LBB26_42:
	v_dual_mov_b32 v2, s4 :: v_dual_mov_b32 v3, s5
	flat_load_b32 v16, v[2:3]
	v_cmp_ne_u32_e32 vcc_lo, 1, v1
	v_mov_b32_e32 v17, s5
	s_cbranch_vccz .LBB26_4
	s_branch .LBB26_5
.LBB26_43:
	s_delay_alu instid0(VALU_DEP_1) | instskip(NEXT) | instid1(SALU_CYCLE_1)
	s_and_b32 s2, s18, s2
	s_and_b32 exec_lo, exec_lo, s2
	s_cbranch_execz .LBB26_66
; %bb.44:
	s_load_b64 s[2:3], s[0:1], 0x70
	v_mad_u64_u32 v[5:6], null, s14, s10, v[4:5]
	v_cmp_neq_f32_e32 vcc_lo, 0, v16
	v_cmp_neq_f32_e64 s0, 0, v17
	s_mov_b32 s4, exec_lo
	s_delay_alu instid0(VALU_DEP_1) | instskip(NEXT) | instid1(VALU_DEP_3)
	s_or_b32 s1, vcc_lo, s0
	v_ashrrev_i32_e32 v6, 31, v5
	s_cmp_lg_u32 s16, 1
	s_cselect_b32 s0, -1, 0
	s_waitcnt lgkmcnt(0)
	s_delay_alu instid0(VALU_DEP_1) | instskip(SKIP_2) | instid1(VALU_DEP_1)
	v_mul_lo_u32 v7, v6, s2
	v_mul_lo_u32 v8, v5, s3
	v_mad_u64_u32 v[3:4], null, v5, s2, 0
	v_add3_u32 v4, v4, v8, v7
	v_lshlrev_b64 v[6:7], 3, v[5:6]
	s_delay_alu instid0(VALU_DEP_2) | instskip(NEXT) | instid1(VALU_DEP_2)
	v_lshlrev_b64 v[3:4], 3, v[3:4]
	v_add_co_u32 v6, vcc_lo, s6, v6
	s_delay_alu instid0(VALU_DEP_3) | instskip(NEXT) | instid1(VALU_DEP_3)
	v_add_co_ci_u32_e32 v7, vcc_lo, s7, v7, vcc_lo
	v_add_co_u32 v8, vcc_lo, s6, v3
	s_delay_alu instid0(VALU_DEP_4)
	v_add_co_ci_u32_e32 v9, vcc_lo, s7, v4, vcc_lo
	v_cmpx_gt_i32_e64 s11, v2
	s_cbranch_execz .LBB26_55
; %bb.45:
	s_and_saveexec_b32 s5, s1
	s_delay_alu instid0(SALU_CYCLE_1)
	s_xor_b32 s5, exec_lo, s5
	s_cbranch_execz .LBB26_50
; %bb.46:
	v_ashrrev_i32_e32 v3, 31, v2
	s_and_b32 vcc_lo, exec_lo, s0
	s_mov_b32 s6, -1
	s_cbranch_vccz .LBB26_48
; %bb.47:
	s_delay_alu instid0(VALU_DEP_1) | instskip(SKIP_3) | instid1(VALU_DEP_2)
	v_lshlrev_b64 v[4:5], 3, v[2:3]
	v_mul_f32_e64 v12, v1, -v15
	v_mul_f32_e32 v13, v1, v14
	s_mov_b32 s6, 0
	v_fmac_f32_e32 v12, v14, v20
	s_delay_alu instid0(VALU_DEP_4) | instskip(SKIP_4) | instid1(VALU_DEP_1)
	v_add_co_u32 v4, vcc_lo, v8, v4
	v_add_co_ci_u32_e32 v5, vcc_lo, v9, v5, vcc_lo
	global_load_b64 v[10:11], v[4:5], off
	s_waitcnt vmcnt(0)
	v_dual_fmac_f32 v13, v15, v20 :: v_dual_fmac_f32 v12, v16, v10
	v_fmac_f32_e32 v13, v17, v10
	s_delay_alu instid0(VALU_DEP_2) | instskip(NEXT) | instid1(VALU_DEP_2)
	v_fma_f32 v12, -v17, v11, v12
	v_fmac_f32_e32 v13, v16, v11
	global_store_b64 v[4:5], v[12:13], off
.LBB26_48:
	s_and_not1_b32 vcc_lo, exec_lo, s6
	s_cbranch_vccnz .LBB26_50
; %bb.49:
	v_mul_lo_u32 v5, v3, s2
	v_mul_lo_u32 v10, v2, s3
	v_mad_u64_u32 v[3:4], null, v2, s2, 0
	s_delay_alu instid0(VALU_DEP_1) | instskip(SKIP_2) | instid1(VALU_DEP_3)
	v_add3_u32 v4, v4, v10, v5
	v_mul_f32_e64 v10, v1, -v15
	v_mul_f32_e32 v11, v1, v14
                                        ; implicit-def: $vgpr1
	v_lshlrev_b64 v[2:3], 3, v[3:4]
	s_delay_alu instid0(VALU_DEP_3) | instskip(NEXT) | instid1(VALU_DEP_3)
	v_fmac_f32_e32 v10, v14, v20
	v_fmac_f32_e32 v11, v15, v20
                                        ; implicit-def: $vgpr20
	s_delay_alu instid0(VALU_DEP_3) | instskip(NEXT) | instid1(VALU_DEP_4)
	v_add_co_u32 v2, vcc_lo, v6, v2
	v_add_co_ci_u32_e32 v3, vcc_lo, v7, v3, vcc_lo
	global_load_b64 v[4:5], v[2:3], off
	s_waitcnt vmcnt(0)
	v_fmac_f32_e32 v10, v16, v4
	v_fmac_f32_e32 v11, v17, v4
	s_delay_alu instid0(VALU_DEP_2) | instskip(NEXT) | instid1(VALU_DEP_2)
	v_fma_f32 v10, -v17, v5, v10
	v_fmac_f32_e32 v11, v16, v5
	global_store_b64 v[2:3], v[10:11], off
                                        ; implicit-def: $vgpr2
.LBB26_50:
	s_and_not1_saveexec_b32 s5, s5
	s_cbranch_execz .LBB26_55
; %bb.51:
	v_mul_f32_e64 v4, v1, -v15
	v_mul_f32_e32 v5, v1, v14
	v_ashrrev_i32_e32 v3, 31, v2
	s_and_b32 vcc_lo, exec_lo, s0
	s_mov_b32 s5, -1
	v_fmac_f32_e32 v4, v14, v20
	v_fmac_f32_e32 v5, v15, v20
	s_cbranch_vccz .LBB26_53
; %bb.52:
	v_lshlrev_b64 v[10:11], 3, v[2:3]
	s_mov_b32 s5, 0
	s_delay_alu instid0(VALU_DEP_1) | instskip(NEXT) | instid1(VALU_DEP_2)
	v_add_co_u32 v10, vcc_lo, v8, v10
	v_add_co_ci_u32_e32 v11, vcc_lo, v9, v11, vcc_lo
	global_store_b64 v[10:11], v[4:5], off
.LBB26_53:
	s_and_not1_b32 vcc_lo, exec_lo, s5
	s_cbranch_vccnz .LBB26_55
; %bb.54:
	v_mul_lo_u32 v1, v3, s2
	v_mul_lo_u32 v3, v2, s3
	v_mad_u64_u32 v[10:11], null, v2, s2, 0
	s_delay_alu instid0(VALU_DEP_1) | instskip(NEXT) | instid1(VALU_DEP_1)
	v_add3_u32 v11, v11, v3, v1
	v_lshlrev_b64 v[1:2], 3, v[10:11]
	s_delay_alu instid0(VALU_DEP_1) | instskip(NEXT) | instid1(VALU_DEP_2)
	v_add_co_u32 v1, vcc_lo, v6, v1
	v_add_co_ci_u32_e32 v2, vcc_lo, v7, v2, vcc_lo
	global_store_b64 v[1:2], v[4:5], off
.LBB26_55:
	s_or_b32 exec_lo, exec_lo, s4
	v_cmp_gt_i32_e32 vcc_lo, s11, v0
	s_and_b32 exec_lo, exec_lo, vcc_lo
	s_cbranch_execz .LBB26_66
; %bb.56:
	s_and_saveexec_b32 s4, s1
	s_delay_alu instid0(SALU_CYCLE_1)
	s_xor_b32 s1, exec_lo, s4
	s_cbranch_execz .LBB26_61
; %bb.57:
	v_ashrrev_i32_e32 v1, 31, v0
	s_and_not1_b32 vcc_lo, exec_lo, s0
	s_mov_b32 s4, -1
	s_cbranch_vccnz .LBB26_59
; %bb.58:
	s_delay_alu instid0(VALU_DEP_1) | instskip(SKIP_1) | instid1(VALU_DEP_1)
	v_lshlrev_b64 v[2:3], 3, v[0:1]
	s_mov_b32 s4, 0
	v_add_co_u32 v2, vcc_lo, v8, v2
	s_delay_alu instid0(VALU_DEP_2) | instskip(SKIP_4) | instid1(VALU_DEP_1)
	v_add_co_ci_u32_e32 v3, vcc_lo, v9, v3, vcc_lo
	v_mul_f32_e64 v8, v18, -v15
	global_load_b64 v[4:5], v[2:3], off
	v_fmac_f32_e32 v8, v14, v19
	s_waitcnt vmcnt(0)
	v_dual_mul_f32 v9, v18, v14 :: v_dual_fmac_f32 v8, v16, v4
	s_delay_alu instid0(VALU_DEP_1) | instskip(NEXT) | instid1(VALU_DEP_2)
	v_fmac_f32_e32 v9, v15, v19
	v_fma_f32 v8, -v17, v5, v8
	s_delay_alu instid0(VALU_DEP_2) | instskip(NEXT) | instid1(VALU_DEP_1)
	v_fmac_f32_e32 v9, v17, v4
	v_fmac_f32_e32 v9, v16, v5
	global_store_b64 v[2:3], v[8:9], off
.LBB26_59:
	s_and_not1_b32 vcc_lo, exec_lo, s4
                                        ; implicit-def: $vgpr8
                                        ; implicit-def: $vgpr9
	s_cbranch_vccnz .LBB26_61
; %bb.60:
	v_mul_lo_u32 v3, v1, s2
	v_mul_lo_u32 v4, v0, s3
	v_mad_u64_u32 v[1:2], null, v0, s2, 0
	v_mul_f32_e32 v5, v18, v14
                                        ; implicit-def: $vgpr8
                                        ; implicit-def: $vgpr9
	s_delay_alu instid0(VALU_DEP_2) | instskip(SKIP_1) | instid1(VALU_DEP_2)
	v_add3_u32 v2, v2, v4, v3
	v_mul_f32_e64 v4, v18, -v15
                                        ; implicit-def: $vgpr18
	v_lshlrev_b64 v[0:1], 3, v[1:2]
	s_delay_alu instid0(VALU_DEP_1) | instskip(NEXT) | instid1(VALU_DEP_2)
	v_add_co_u32 v0, vcc_lo, v6, v0
	v_add_co_ci_u32_e32 v1, vcc_lo, v7, v1, vcc_lo
                                        ; implicit-def: $vgpr6
                                        ; implicit-def: $vgpr7
	global_load_b64 v[2:3], v[0:1], off
	v_fmac_f32_e32 v5, v15, v19
	v_fmac_f32_e32 v4, v14, v19
                                        ; implicit-def: $vgpr14
                                        ; implicit-def: $vgpr15
                                        ; implicit-def: $vgpr19
	s_waitcnt vmcnt(0)
	s_delay_alu instid0(VALU_DEP_2) | instskip(NEXT) | instid1(VALU_DEP_2)
	v_fmac_f32_e32 v5, v17, v2
	v_fmac_f32_e32 v4, v16, v2
	s_delay_alu instid0(VALU_DEP_2) | instskip(NEXT) | instid1(VALU_DEP_2)
	v_fmac_f32_e32 v5, v16, v3
	v_fma_f32 v4, -v17, v3, v4
	global_store_b64 v[0:1], v[4:5], off
                                        ; implicit-def: $vgpr0
.LBB26_61:
	s_and_not1_saveexec_b32 s1, s1
	s_cbranch_execz .LBB26_66
; %bb.62:
	v_mul_f32_e64 v2, v18, -v15
	v_mul_f32_e32 v3, v18, v14
	v_ashrrev_i32_e32 v1, 31, v0
	s_and_not1_b32 vcc_lo, exec_lo, s0
	s_mov_b32 s0, -1
	v_fmac_f32_e32 v2, v14, v19
	v_fmac_f32_e32 v3, v15, v19
	s_cbranch_vccnz .LBB26_64
; %bb.63:
	v_lshlrev_b64 v[4:5], 3, v[0:1]
	s_mov_b32 s0, 0
	s_delay_alu instid0(VALU_DEP_1) | instskip(NEXT) | instid1(VALU_DEP_2)
	v_add_co_u32 v4, vcc_lo, v8, v4
	v_add_co_ci_u32_e32 v5, vcc_lo, v9, v5, vcc_lo
	global_store_b64 v[4:5], v[2:3], off
.LBB26_64:
	s_and_not1_b32 vcc_lo, exec_lo, s0
	s_cbranch_vccnz .LBB26_66
; %bb.65:
	v_mul_lo_u32 v1, v1, s2
	v_mul_lo_u32 v8, v0, s3
	v_mad_u64_u32 v[4:5], null, v0, s2, 0
	s_delay_alu instid0(VALU_DEP_1) | instskip(NEXT) | instid1(VALU_DEP_1)
	v_add3_u32 v5, v5, v8, v1
	v_lshlrev_b64 v[0:1], 3, v[4:5]
	s_delay_alu instid0(VALU_DEP_1) | instskip(NEXT) | instid1(VALU_DEP_2)
	v_add_co_u32 v0, vcc_lo, v6, v0
	v_add_co_ci_u32_e32 v1, vcc_lo, v7, v1, vcc_lo
	global_store_b64 v[0:1], v[2:3], off
.LBB26_66:
	s_nop 0
	s_sendmsg sendmsg(MSG_DEALLOC_VGPRS)
	s_endpgm
	.section	.rodata,"a",@progbits
	.p2align	6, 0x0
	.amdhsa_kernel _ZN9rocsparseL31bsrmm_large_blockdim_kernel_extILj16ELj16ELj2Eii21rocsparse_complex_numIfES2_S2_S2_EEvb20rocsparse_direction_T3_S4_llNS_24const_host_device_scalarIT7_EEPKT2_PKS4_PKT4_S4_PKT5_llS7_PT6_ll16rocsparse_order_21rocsparse_index_base_b
		.amdhsa_group_segment_fixed_size 6144
		.amdhsa_private_segment_fixed_size 0
		.amdhsa_kernarg_size 140
		.amdhsa_user_sgpr_count 14
		.amdhsa_user_sgpr_dispatch_ptr 0
		.amdhsa_user_sgpr_queue_ptr 0
		.amdhsa_user_sgpr_kernarg_segment_ptr 1
		.amdhsa_user_sgpr_dispatch_id 0
		.amdhsa_user_sgpr_private_segment_size 0
		.amdhsa_wavefront_size32 1
		.amdhsa_uses_dynamic_stack 0
		.amdhsa_enable_private_segment 0
		.amdhsa_system_sgpr_workgroup_id_x 1
		.amdhsa_system_sgpr_workgroup_id_y 1
		.amdhsa_system_sgpr_workgroup_id_z 0
		.amdhsa_system_sgpr_workgroup_info 0
		.amdhsa_system_vgpr_workitem_id 1
		.amdhsa_next_free_vgpr 43
		.amdhsa_next_free_sgpr 36
		.amdhsa_reserve_vcc 1
		.amdhsa_float_round_mode_32 0
		.amdhsa_float_round_mode_16_64 0
		.amdhsa_float_denorm_mode_32 3
		.amdhsa_float_denorm_mode_16_64 3
		.amdhsa_dx10_clamp 1
		.amdhsa_ieee_mode 1
		.amdhsa_fp16_overflow 0
		.amdhsa_workgroup_processor_mode 1
		.amdhsa_memory_ordered 1
		.amdhsa_forward_progress 0
		.amdhsa_shared_vgpr_count 0
		.amdhsa_exception_fp_ieee_invalid_op 0
		.amdhsa_exception_fp_denorm_src 0
		.amdhsa_exception_fp_ieee_div_zero 0
		.amdhsa_exception_fp_ieee_overflow 0
		.amdhsa_exception_fp_ieee_underflow 0
		.amdhsa_exception_fp_ieee_inexact 0
		.amdhsa_exception_int_div_zero 0
	.end_amdhsa_kernel
	.section	.text._ZN9rocsparseL31bsrmm_large_blockdim_kernel_extILj16ELj16ELj2Eii21rocsparse_complex_numIfES2_S2_S2_EEvb20rocsparse_direction_T3_S4_llNS_24const_host_device_scalarIT7_EEPKT2_PKS4_PKT4_S4_PKT5_llS7_PT6_ll16rocsparse_order_21rocsparse_index_base_b,"axG",@progbits,_ZN9rocsparseL31bsrmm_large_blockdim_kernel_extILj16ELj16ELj2Eii21rocsparse_complex_numIfES2_S2_S2_EEvb20rocsparse_direction_T3_S4_llNS_24const_host_device_scalarIT7_EEPKT2_PKS4_PKT4_S4_PKT5_llS7_PT6_ll16rocsparse_order_21rocsparse_index_base_b,comdat
.Lfunc_end26:
	.size	_ZN9rocsparseL31bsrmm_large_blockdim_kernel_extILj16ELj16ELj2Eii21rocsparse_complex_numIfES2_S2_S2_EEvb20rocsparse_direction_T3_S4_llNS_24const_host_device_scalarIT7_EEPKT2_PKS4_PKT4_S4_PKT5_llS7_PT6_ll16rocsparse_order_21rocsparse_index_base_b, .Lfunc_end26-_ZN9rocsparseL31bsrmm_large_blockdim_kernel_extILj16ELj16ELj2Eii21rocsparse_complex_numIfES2_S2_S2_EEvb20rocsparse_direction_T3_S4_llNS_24const_host_device_scalarIT7_EEPKT2_PKS4_PKT4_S4_PKT5_llS7_PT6_ll16rocsparse_order_21rocsparse_index_base_b
                                        ; -- End function
	.section	.AMDGPU.csdata,"",@progbits
; Kernel info:
; codeLenInByte = 3208
; NumSgprs: 38
; NumVgprs: 43
; ScratchSize: 0
; MemoryBound: 0
; FloatMode: 240
; IeeeMode: 1
; LDSByteSize: 6144 bytes/workgroup (compile time only)
; SGPRBlocks: 4
; VGPRBlocks: 5
; NumSGPRsForWavesPerEU: 38
; NumVGPRsForWavesPerEU: 43
; Occupancy: 16
; WaveLimiterHint : 1
; COMPUTE_PGM_RSRC2:SCRATCH_EN: 0
; COMPUTE_PGM_RSRC2:USER_SGPR: 14
; COMPUTE_PGM_RSRC2:TRAP_HANDLER: 0
; COMPUTE_PGM_RSRC2:TGID_X_EN: 1
; COMPUTE_PGM_RSRC2:TGID_Y_EN: 1
; COMPUTE_PGM_RSRC2:TGID_Z_EN: 0
; COMPUTE_PGM_RSRC2:TIDIG_COMP_CNT: 1
	.section	.text._ZN9rocsparseL31bsrmm_large_blockdim_kernel_extILj32ELj32ELj2Eii21rocsparse_complex_numIfES2_S2_S2_EEvb20rocsparse_direction_T3_S4_llNS_24const_host_device_scalarIT7_EEPKT2_PKS4_PKT4_S4_PKT5_llS7_PT6_ll16rocsparse_order_21rocsparse_index_base_b,"axG",@progbits,_ZN9rocsparseL31bsrmm_large_blockdim_kernel_extILj32ELj32ELj2Eii21rocsparse_complex_numIfES2_S2_S2_EEvb20rocsparse_direction_T3_S4_llNS_24const_host_device_scalarIT7_EEPKT2_PKS4_PKT4_S4_PKT5_llS7_PT6_ll16rocsparse_order_21rocsparse_index_base_b,comdat
	.globl	_ZN9rocsparseL31bsrmm_large_blockdim_kernel_extILj32ELj32ELj2Eii21rocsparse_complex_numIfES2_S2_S2_EEvb20rocsparse_direction_T3_S4_llNS_24const_host_device_scalarIT7_EEPKT2_PKS4_PKT4_S4_PKT5_llS7_PT6_ll16rocsparse_order_21rocsparse_index_base_b ; -- Begin function _ZN9rocsparseL31bsrmm_large_blockdim_kernel_extILj32ELj32ELj2Eii21rocsparse_complex_numIfES2_S2_S2_EEvb20rocsparse_direction_T3_S4_llNS_24const_host_device_scalarIT7_EEPKT2_PKS4_PKT4_S4_PKT5_llS7_PT6_ll16rocsparse_order_21rocsparse_index_base_b
	.p2align	8
	.type	_ZN9rocsparseL31bsrmm_large_blockdim_kernel_extILj32ELj32ELj2Eii21rocsparse_complex_numIfES2_S2_S2_EEvb20rocsparse_direction_T3_S4_llNS_24const_host_device_scalarIT7_EEPKT2_PKS4_PKT4_S4_PKT5_llS7_PT6_ll16rocsparse_order_21rocsparse_index_base_b,@function
_ZN9rocsparseL31bsrmm_large_blockdim_kernel_extILj32ELj32ELj2Eii21rocsparse_complex_numIfES2_S2_S2_EEvb20rocsparse_direction_T3_S4_llNS_24const_host_device_scalarIT7_EEPKT2_PKS4_PKT4_S4_PKT5_llS7_PT6_ll16rocsparse_order_21rocsparse_index_base_b: ; @_ZN9rocsparseL31bsrmm_large_blockdim_kernel_extILj32ELj32ELj2Eii21rocsparse_complex_numIfES2_S2_S2_EEvb20rocsparse_direction_T3_S4_llNS_24const_host_device_scalarIT7_EEPKT2_PKS4_PKT4_S4_PKT5_llS7_PT6_ll16rocsparse_order_21rocsparse_index_base_b
; %bb.0:
	s_clause 0x2
	s_load_b128 s[16:19], s[0:1], 0x80
	s_load_b64 s[6:7], s[0:1], 0x20
	s_load_b64 s[4:5], s[0:1], 0x60
	s_mov_b32 s2, s15
	s_waitcnt lgkmcnt(0)
	s_bitcmp1_b32 s18, 0
	v_mov_b32_e32 v14, s6
	s_cselect_b32 s3, -1, 0
	s_delay_alu instid0(SALU_CYCLE_1)
	s_and_b32 vcc_lo, exec_lo, s3
	s_xor_b32 s3, s3, -1
	s_cbranch_vccz .LBB27_40
; %bb.1:
	v_cndmask_b32_e64 v1, 0, 1, s3
	v_mov_b32_e32 v15, s7
	s_and_not1_b32 vcc_lo, exec_lo, s3
	s_cbranch_vccz .LBB27_41
.LBB27_2:
	s_delay_alu instid0(VALU_DEP_2)
	v_cmp_ne_u32_e32 vcc_lo, 1, v1
	v_mov_b32_e32 v16, s4
	s_cbranch_vccz .LBB27_42
.LBB27_3:
	v_cmp_ne_u32_e32 vcc_lo, 1, v1
	v_mov_b32_e32 v17, s5
	s_cbranch_vccnz .LBB27_5
.LBB27_4:
	v_dual_mov_b32 v1, s4 :: v_dual_mov_b32 v2, s5
	flat_load_b32 v17, v[1:2] offset:4
.LBB27_5:
	s_waitcnt vmcnt(0) lgkmcnt(0)
	v_cmp_eq_f32_e32 vcc_lo, 0, v14
	v_cmp_eq_f32_e64 s3, 0, v15
	s_delay_alu instid0(VALU_DEP_1)
	s_and_b32 s5, vcc_lo, s3
	s_mov_b32 s3, -1
	s_and_saveexec_b32 s4, s5
; %bb.6:
	v_cmp_neq_f32_e32 vcc_lo, 1.0, v16
	v_cmp_neq_f32_e64 s3, 0, v17
	s_delay_alu instid0(VALU_DEP_1) | instskip(NEXT) | instid1(SALU_CYCLE_1)
	s_or_b32 s3, vcc_lo, s3
	s_or_not1_b32 s3, s3, exec_lo
; %bb.7:
	s_or_b32 exec_lo, exec_lo, s4
	s_and_saveexec_b32 s4, s3
	s_cbranch_execz .LBB27_66
; %bb.8:
	s_clause 0x1
	s_load_b128 s[8:11], s[0:1], 0x0
	s_load_b64 s[4:5], s[0:1], 0x28
	s_mov_b32 s19, 0
	s_mov_b32 s12, 0
	s_waitcnt lgkmcnt(0)
	s_cmp_lt_i32 s14, s10
	s_cselect_b32 s18, -1, 0
	s_cmp_ge_i32 s14, s10
	s_cbranch_scc1 .LBB27_10
; %bb.9:
	s_ashr_i32 s15, s14, 31
	s_delay_alu instid0(SALU_CYCLE_1) | instskip(NEXT) | instid1(SALU_CYCLE_1)
	s_lshl_b64 s[6:7], s[14:15], 2
	s_add_u32 s6, s4, s6
	s_addc_u32 s7, s5, s7
	s_load_b32 s3, s[6:7], 0x0
	s_waitcnt lgkmcnt(0)
	s_sub_i32 s12, s3, s17
.LBB27_10:
	s_and_not1_b32 vcc_lo, exec_lo, s18
	s_cbranch_vccnz .LBB27_12
; %bb.11:
	s_ashr_i32 s15, s14, 31
	s_delay_alu instid0(SALU_CYCLE_1) | instskip(NEXT) | instid1(SALU_CYCLE_1)
	s_lshl_b64 s[6:7], s[14:15], 2
	s_add_u32 s4, s4, s6
	s_addc_u32 s5, s5, s7
	s_load_b32 s3, s[4:5], 0x4
	s_waitcnt lgkmcnt(0)
	s_sub_i32 s19, s3, s17
.LBB27_12:
	s_clause 0x1
	s_load_b32 s10, s[0:1], 0x40
	s_load_b64 s[6:7], s[0:1], 0x68
	v_bfe_u32 v5, v0, 10, 10
	v_dual_mov_b32 v1, 0 :: v_dual_and_b32 v4, 0x3ff, v0
	v_mov_b32_e32 v20, 0
	v_mov_b32_e32 v18, 0
	s_delay_alu instid0(VALU_DEP_4) | instskip(SKIP_1) | instid1(VALU_DEP_1)
	v_lshl_add_u32 v2, s2, 6, v5
	s_cmp_ge_i32 s12, s19
	v_dual_mov_b32 v19, 0 :: v_dual_add_nc_u32 v0, 32, v2
	v_cmp_gt_i32_e64 s3, s11, v2
	s_delay_alu instid0(VALU_DEP_2)
	v_cmp_gt_i32_e64 s4, s11, v0
	s_waitcnt lgkmcnt(0)
	v_cmp_gt_i32_e64 s2, s10, v4
	s_cbranch_scc1 .LBB27_43
; %bb.13:
	s_clause 0x1
	s_load_b128 s[20:23], s[0:1], 0x48
	s_load_b128 s[24:27], s[0:1], 0x30
	v_mad_u64_u32 v[6:7], null, v5, s10, v[4:5]
	v_ashrrev_i32_e32 v3, 31, v2
	v_ashrrev_i32_e32 v1, 31, v0
	v_cmp_gt_i32_e32 vcc_lo, s10, v5
	v_lshl_add_u32 v13, v4, 5, v5
	v_lshl_add_u32 v24, v4, 8, 0x4000
	s_mul_i32 s29, s10, s10
	v_mad_u64_u32 v[7:8], null, v4, s10, v[5:6]
	s_and_b32 s15, s2, vcc_lo
	s_bitcmp1_b32 s8, 0
	v_lshl_add_u32 v21, v13, 3, 0x4000
	s_cselect_b32 s5, -1, 0
	s_cmp_eq_u32 s9, 0
	s_cselect_b32 vcc_lo, -1, 0
	v_lshlrev_b32_e32 v12, 5, v5
	s_waitcnt lgkmcnt(0)
	v_mul_lo_u32 v18, v2, s23
	v_mul_lo_u32 v19, v3, s22
	v_mad_u64_u32 v[8:9], null, v2, s22, 0
	v_mul_lo_u32 v20, v0, s23
	v_mul_lo_u32 v23, v1, s22
	v_mad_u64_u32 v[10:11], null, v0, s22, 0
	s_add_i32 s9, s10, -1
	s_and_b32 s8, s10, 7
	s_delay_alu instid0(VALU_DEP_4) | instskip(SKIP_3) | instid1(VALU_DEP_3)
	v_add3_u32 v9, v9, v18, v19
	s_cmp_gt_u32 s9, 6
	v_mov_b32_e32 v18, 0
	s_cselect_b32 s9, -1, 0
	v_add3_u32 v11, v11, v20, v23
	v_lshlrev_b32_e32 v23, 8, v5
	v_cndmask_b32_e32 v5, v6, v7, vcc_lo
	v_add_lshl_u32 v22, v12, v4, 3
	v_lshlrev_b64 v[6:7], 3, v[8:9]
	v_lshlrev_b64 v[8:9], 3, v[2:3]
	;; [unrolled: 1-line block ×4, first 2 shown]
	s_and_b32 s28, s10, -8
	v_dual_mov_b32 v20, 0 :: v_dual_add_nc_u32 v25, 0x2000, v23
	v_mov_b32_e32 v19, 0
	v_mov_b32_e32 v1, 0
	s_cmp_lg_u32 s8, 0
	s_cselect_b32 s30, -1, 0
	s_branch .LBB27_16
.LBB27_14:                              ;   in Loop: Header=BB27_16 Depth=1
	s_or_b32 exec_lo, exec_lo, s31
.LBB27_15:                              ;   in Loop: Header=BB27_16 Depth=1
	s_delay_alu instid0(SALU_CYCLE_1) | instskip(SKIP_1) | instid1(SALU_CYCLE_1)
	s_or_b32 exec_lo, exec_lo, s13
	s_add_i32 s12, s12, 1
	s_cmp_ge_i32 s12, s19
	s_barrier
	buffer_gl0_inv
	s_cbranch_scc1 .LBB27_43
.LBB27_16:                              ; =>This Loop Header: Depth=1
                                        ;     Child Loop BB27_27 Depth 2
                                        ;     Child Loop BB27_31 Depth 2
	;; [unrolled: 1-line block ×4, first 2 shown]
	s_and_saveexec_b32 s31, s2
	s_cbranch_execz .LBB27_21
; %bb.17:                               ;   in Loop: Header=BB27_16 Depth=1
	s_ashr_i32 s13, s12, 31
	s_delay_alu instid0(SALU_CYCLE_1) | instskip(NEXT) | instid1(SALU_CYCLE_1)
	s_lshl_b64 s[34:35], s[12:13], 2
	s_add_u32 s34, s24, s34
	s_addc_u32 s35, s25, s35
	s_load_b32 s13, s[34:35], 0x0
	s_waitcnt lgkmcnt(0)
	s_sub_i32 s13, s13, s17
	s_delay_alu instid0(SALU_CYCLE_1) | instskip(NEXT) | instid1(VALU_DEP_1)
	v_mad_u64_u32 v[26:27], null, s13, s10, v[4:5]
	v_ashrrev_i32_e32 v27, 31, v26
	v_mul_lo_u32 v3, v26, s23
	v_mad_u64_u32 v[28:29], null, v26, s22, 0
	s_delay_alu instid0(VALU_DEP_3) | instskip(NEXT) | instid1(VALU_DEP_1)
	v_mul_lo_u32 v30, v27, s22
	v_add3_u32 v29, v29, v3, v30
	v_lshlrev_b64 v[30:31], 3, v[26:27]
	s_delay_alu instid0(VALU_DEP_2) | instskip(NEXT) | instid1(VALU_DEP_1)
	v_lshlrev_b64 v[28:29], 3, v[28:29]
	v_add_co_u32 v3, vcc_lo, s20, v28
	s_delay_alu instid0(VALU_DEP_2) | instskip(NEXT) | instid1(VALU_DEP_4)
	v_add_co_ci_u32_e32 v26, vcc_lo, s21, v29, vcc_lo
	v_add_co_u32 v27, vcc_lo, s20, v30
	v_add_co_ci_u32_e32 v28, vcc_lo, s21, v31, vcc_lo
	s_and_saveexec_b32 s13, s3
	s_cbranch_execz .LBB27_19
; %bb.18:                               ;   in Loop: Header=BB27_16 Depth=1
	s_delay_alu instid0(VALU_DEP_2) | instskip(NEXT) | instid1(VALU_DEP_2)
	v_add_co_u32 v29, vcc_lo, v27, v6
	v_add_co_ci_u32_e32 v30, vcc_lo, v28, v7, vcc_lo
	v_add_co_u32 v31, vcc_lo, v3, v8
	v_add_co_ci_u32_e32 v32, vcc_lo, v26, v9, vcc_lo
	s_delay_alu instid0(VALU_DEP_2) | instskip(NEXT) | instid1(VALU_DEP_2)
	v_cndmask_b32_e64 v29, v31, v29, s5
	v_cndmask_b32_e64 v30, v32, v30, s5
	global_load_b64 v[29:30], v[29:30], off
	s_waitcnt vmcnt(0)
	ds_store_b64 v22, v[29:30]
.LBB27_19:                              ;   in Loop: Header=BB27_16 Depth=1
	s_or_b32 exec_lo, exec_lo, s13
	s_delay_alu instid0(SALU_CYCLE_1)
	s_and_b32 exec_lo, exec_lo, s4
	s_cbranch_execz .LBB27_21
; %bb.20:                               ;   in Loop: Header=BB27_16 Depth=1
	v_add_co_u32 v29, vcc_lo, v27, v10
	v_add_co_ci_u32_e32 v27, vcc_lo, v28, v11, vcc_lo
	v_add_co_u32 v3, vcc_lo, v3, v12
	v_add_co_ci_u32_e32 v26, vcc_lo, v26, v13, vcc_lo
	s_delay_alu instid0(VALU_DEP_1) | instskip(NEXT) | instid1(VALU_DEP_3)
	v_cndmask_b32_e64 v27, v26, v27, s5
	v_cndmask_b32_e64 v26, v3, v29, s5
	global_load_b64 v[26:27], v[26:27], off
	s_waitcnt vmcnt(0)
	ds_store_b64 v22, v[26:27] offset:8192
.LBB27_21:                              ;   in Loop: Header=BB27_16 Depth=1
	s_or_b32 exec_lo, exec_lo, s31
	s_and_saveexec_b32 s13, s15
	s_cbranch_execz .LBB27_23
; %bb.22:                               ;   in Loop: Header=BB27_16 Depth=1
	v_mad_u64_u32 v[26:27], null, s29, s12, v[5:6]
	s_delay_alu instid0(VALU_DEP_1) | instskip(NEXT) | instid1(VALU_DEP_1)
	v_ashrrev_i32_e32 v27, 31, v26
	v_lshlrev_b64 v[26:27], 3, v[26:27]
	s_delay_alu instid0(VALU_DEP_1) | instskip(NEXT) | instid1(VALU_DEP_2)
	v_add_co_u32 v26, vcc_lo, s26, v26
	v_add_co_ci_u32_e32 v27, vcc_lo, s27, v27, vcc_lo
	global_load_b64 v[26:27], v[26:27], off
	s_waitcnt vmcnt(0)
	ds_store_b64 v21, v[26:27]
.LBB27_23:                              ;   in Loop: Header=BB27_16 Depth=1
	s_or_b32 exec_lo, exec_lo, s13
	s_waitcnt lgkmcnt(0)
	s_barrier
	buffer_gl0_inv
	s_and_saveexec_b32 s13, s2
	s_cbranch_execz .LBB27_15
; %bb.24:                               ;   in Loop: Header=BB27_16 Depth=1
	s_and_saveexec_b32 s31, s3
	s_cbranch_execz .LBB27_32
; %bb.25:                               ;   in Loop: Header=BB27_16 Depth=1
	s_and_not1_b32 vcc_lo, exec_lo, s9
	s_cbranch_vccnz .LBB27_29
; %bb.26:                               ;   in Loop: Header=BB27_16 Depth=1
	v_dual_mov_b32 v3, v24 :: v_dual_mov_b32 v26, v23
	s_mov_b32 s33, 0
.LBB27_27:                              ;   Parent Loop BB27_16 Depth=1
                                        ; =>  This Inner Loop Header: Depth=2
	ds_load_b128 v[27:30], v26
	ds_load_b128 v[31:34], v3
	ds_load_b128 v[35:38], v3 offset:16
	ds_load_b128 v[39:42], v26 offset:16
	s_add_i32 s33, s33, 8
	s_delay_alu instid0(SALU_CYCLE_1) | instskip(SKIP_2) | instid1(VALU_DEP_1)
	s_cmp_lg_u32 s28, s33
	s_waitcnt lgkmcnt(2)
	v_fmac_f32_e32 v1, v32, v27
	v_fmac_f32_e32 v1, v31, v28
	s_delay_alu instid0(VALU_DEP_1) | instskip(NEXT) | instid1(VALU_DEP_1)
	v_dual_fmac_f32 v20, v31, v27 :: v_dual_fmac_f32 v1, v34, v29
	v_fma_f32 v20, -v32, v28, v20
	s_delay_alu instid0(VALU_DEP_1) | instskip(NEXT) | instid1(VALU_DEP_1)
	v_fmac_f32_e32 v20, v33, v29
	v_fma_f32 v20, -v34, v30, v20
	s_delay_alu instid0(VALU_DEP_4) | instskip(SKIP_4) | instid1(VALU_DEP_1)
	v_fmac_f32_e32 v1, v33, v30
	ds_load_b128 v[27:30], v26 offset:32
	ds_load_b128 v[31:34], v3 offset:32
	s_waitcnt lgkmcnt(2)
	v_fmac_f32_e32 v20, v35, v39
	v_fma_f32 v20, -v36, v40, v20
	s_delay_alu instid0(VALU_DEP_1) | instskip(NEXT) | instid1(VALU_DEP_1)
	v_fmac_f32_e32 v20, v37, v41
	v_fma_f32 v20, -v38, v42, v20
	s_waitcnt lgkmcnt(0)
	s_delay_alu instid0(VALU_DEP_1) | instskip(NEXT) | instid1(VALU_DEP_1)
	v_fmac_f32_e32 v20, v31, v27
	v_fma_f32 v20, -v32, v28, v20
	s_delay_alu instid0(VALU_DEP_1) | instskip(NEXT) | instid1(VALU_DEP_1)
	v_dual_fmac_f32 v1, v36, v39 :: v_dual_fmac_f32 v20, v33, v29
	v_fmac_f32_e32 v1, v35, v40
	s_delay_alu instid0(VALU_DEP_2) | instskip(NEXT) | instid1(VALU_DEP_2)
	v_fma_f32 v20, -v34, v30, v20
	v_fmac_f32_e32 v1, v38, v41
	s_delay_alu instid0(VALU_DEP_1) | instskip(SKIP_4) | instid1(VALU_DEP_1)
	v_fmac_f32_e32 v1, v37, v42
	ds_load_b128 v[35:38], v3 offset:48
	ds_load_b128 v[39:42], v26 offset:48
	v_add_nc_u32_e32 v3, 64, v3
	v_dual_fmac_f32 v1, v32, v27 :: v_dual_add_nc_u32 v26, 64, v26
	v_fmac_f32_e32 v1, v31, v28
	s_delay_alu instid0(VALU_DEP_1) | instskip(SKIP_1) | instid1(VALU_DEP_1)
	v_fmac_f32_e32 v1, v34, v29
	s_waitcnt lgkmcnt(0)
	v_dual_fmac_f32 v1, v33, v30 :: v_dual_fmac_f32 v20, v35, v39
	s_delay_alu instid0(VALU_DEP_1) | instskip(NEXT) | instid1(VALU_DEP_2)
	v_fmac_f32_e32 v1, v36, v39
	v_fma_f32 v20, -v36, v40, v20
	s_delay_alu instid0(VALU_DEP_1) | instskip(NEXT) | instid1(VALU_DEP_1)
	v_dual_fmac_f32 v1, v35, v40 :: v_dual_fmac_f32 v20, v37, v41
	v_fmac_f32_e32 v1, v38, v41
	s_delay_alu instid0(VALU_DEP_2) | instskip(NEXT) | instid1(VALU_DEP_2)
	v_fma_f32 v20, -v38, v42, v20
	v_fmac_f32_e32 v1, v37, v42
	s_cbranch_scc1 .LBB27_27
; %bb.28:                               ;   in Loop: Header=BB27_16 Depth=1
	s_mov_b32 s33, s28
	s_and_not1_b32 vcc_lo, exec_lo, s30
	s_cbranch_vccz .LBB27_30
	s_branch .LBB27_32
.LBB27_29:                              ;   in Loop: Header=BB27_16 Depth=1
	s_mov_b32 s33, 0
	s_and_not1_b32 vcc_lo, exec_lo, s30
	s_cbranch_vccnz .LBB27_32
.LBB27_30:                              ;   in Loop: Header=BB27_16 Depth=1
	s_lshl_b32 s33, s33, 3
	s_delay_alu instid0(SALU_CYCLE_1)
	v_add_nc_u32_e32 v3, s33, v23
	v_add_nc_u32_e32 v26, s33, v24
	s_mov_b32 s33, s8
.LBB27_31:                              ;   Parent Loop BB27_16 Depth=1
                                        ; =>  This Inner Loop Header: Depth=2
	ds_load_b64 v[27:28], v26
	ds_load_b64 v[29:30], v3
	s_add_i32 s33, s33, -1
	v_add_nc_u32_e32 v3, 8, v3
	v_add_nc_u32_e32 v26, 8, v26
	s_cmp_lg_u32 s33, 0
	s_waitcnt lgkmcnt(0)
	v_fmac_f32_e32 v20, v27, v29
	v_fmac_f32_e32 v1, v28, v29
	s_delay_alu instid0(VALU_DEP_2) | instskip(NEXT) | instid1(VALU_DEP_2)
	v_fma_f32 v20, -v28, v30, v20
	v_fmac_f32_e32 v1, v27, v30
	s_cbranch_scc1 .LBB27_31
.LBB27_32:                              ;   in Loop: Header=BB27_16 Depth=1
	s_or_b32 exec_lo, exec_lo, s31
	s_and_saveexec_b32 s31, s4
	s_cbranch_execz .LBB27_14
; %bb.33:                               ;   in Loop: Header=BB27_16 Depth=1
	s_and_not1_b32 vcc_lo, exec_lo, s9
	s_cbranch_vccnz .LBB27_37
; %bb.34:                               ;   in Loop: Header=BB27_16 Depth=1
	v_dual_mov_b32 v3, v24 :: v_dual_mov_b32 v26, v25
	s_mov_b32 s33, 0
.LBB27_35:                              ;   Parent Loop BB27_16 Depth=1
                                        ; =>  This Inner Loop Header: Depth=2
	ds_load_b128 v[27:30], v26
	ds_load_b128 v[31:34], v3
	ds_load_b128 v[35:38], v3 offset:16
	ds_load_b128 v[39:42], v26 offset:16
	s_add_i32 s33, s33, 8
	s_delay_alu instid0(SALU_CYCLE_1) | instskip(SKIP_2) | instid1(VALU_DEP_1)
	s_cmp_lg_u32 s28, s33
	s_waitcnt lgkmcnt(2)
	v_fmac_f32_e32 v18, v32, v27
	v_fmac_f32_e32 v18, v31, v28
	s_delay_alu instid0(VALU_DEP_1) | instskip(NEXT) | instid1(VALU_DEP_1)
	v_dual_fmac_f32 v19, v31, v27 :: v_dual_fmac_f32 v18, v34, v29
	v_fma_f32 v19, -v32, v28, v19
	s_delay_alu instid0(VALU_DEP_1) | instskip(NEXT) | instid1(VALU_DEP_1)
	v_fmac_f32_e32 v19, v33, v29
	v_fma_f32 v19, -v34, v30, v19
	s_delay_alu instid0(VALU_DEP_4) | instskip(SKIP_4) | instid1(VALU_DEP_1)
	v_fmac_f32_e32 v18, v33, v30
	ds_load_b128 v[27:30], v26 offset:32
	ds_load_b128 v[31:34], v3 offset:32
	s_waitcnt lgkmcnt(2)
	v_fmac_f32_e32 v19, v35, v39
	v_fma_f32 v19, -v36, v40, v19
	s_delay_alu instid0(VALU_DEP_1) | instskip(NEXT) | instid1(VALU_DEP_1)
	v_fmac_f32_e32 v19, v37, v41
	v_fma_f32 v19, -v38, v42, v19
	s_waitcnt lgkmcnt(0)
	s_delay_alu instid0(VALU_DEP_1) | instskip(NEXT) | instid1(VALU_DEP_1)
	v_fmac_f32_e32 v19, v31, v27
	v_fma_f32 v19, -v32, v28, v19
	s_delay_alu instid0(VALU_DEP_1) | instskip(NEXT) | instid1(VALU_DEP_1)
	v_dual_fmac_f32 v18, v36, v39 :: v_dual_fmac_f32 v19, v33, v29
	v_fmac_f32_e32 v18, v35, v40
	s_delay_alu instid0(VALU_DEP_2) | instskip(NEXT) | instid1(VALU_DEP_2)
	v_fma_f32 v19, -v34, v30, v19
	v_fmac_f32_e32 v18, v38, v41
	s_delay_alu instid0(VALU_DEP_1)
	v_fmac_f32_e32 v18, v37, v42
	ds_load_b128 v[35:38], v3 offset:48
	ds_load_b128 v[39:42], v26 offset:48
	v_add_nc_u32_e32 v3, 64, v3
	v_add_nc_u32_e32 v26, 64, v26
	v_fmac_f32_e32 v18, v32, v27
	s_delay_alu instid0(VALU_DEP_1) | instskip(NEXT) | instid1(VALU_DEP_1)
	v_fmac_f32_e32 v18, v31, v28
	v_fmac_f32_e32 v18, v34, v29
	s_waitcnt lgkmcnt(0)
	s_delay_alu instid0(VALU_DEP_1) | instskip(NEXT) | instid1(VALU_DEP_1)
	v_dual_fmac_f32 v18, v33, v30 :: v_dual_fmac_f32 v19, v35, v39
	v_fmac_f32_e32 v18, v36, v39
	s_delay_alu instid0(VALU_DEP_2) | instskip(NEXT) | instid1(VALU_DEP_1)
	v_fma_f32 v19, -v36, v40, v19
	v_dual_fmac_f32 v18, v35, v40 :: v_dual_fmac_f32 v19, v37, v41
	s_delay_alu instid0(VALU_DEP_1) | instskip(NEXT) | instid1(VALU_DEP_2)
	v_fmac_f32_e32 v18, v38, v41
	v_fma_f32 v19, -v38, v42, v19
	s_delay_alu instid0(VALU_DEP_2)
	v_fmac_f32_e32 v18, v37, v42
	s_cbranch_scc1 .LBB27_35
; %bb.36:                               ;   in Loop: Header=BB27_16 Depth=1
	s_mov_b32 s33, s28
	s_and_not1_b32 vcc_lo, exec_lo, s30
	s_cbranch_vccz .LBB27_38
	s_branch .LBB27_14
.LBB27_37:                              ;   in Loop: Header=BB27_16 Depth=1
	s_mov_b32 s33, 0
	s_and_not1_b32 vcc_lo, exec_lo, s30
	s_cbranch_vccnz .LBB27_14
.LBB27_38:                              ;   in Loop: Header=BB27_16 Depth=1
	s_lshl_b32 s33, s33, 3
	s_delay_alu instid0(SALU_CYCLE_1)
	v_add_nc_u32_e32 v3, s33, v25
	v_add_nc_u32_e32 v26, s33, v24
	s_mov_b32 s33, s8
.LBB27_39:                              ;   Parent Loop BB27_16 Depth=1
                                        ; =>  This Inner Loop Header: Depth=2
	ds_load_b64 v[27:28], v26
	ds_load_b64 v[29:30], v3
	s_add_i32 s33, s33, -1
	v_add_nc_u32_e32 v3, 8, v3
	v_add_nc_u32_e32 v26, 8, v26
	s_cmp_lg_u32 s33, 0
	s_waitcnt lgkmcnt(0)
	v_fmac_f32_e32 v19, v27, v29
	v_fmac_f32_e32 v18, v28, v29
	s_delay_alu instid0(VALU_DEP_2) | instskip(NEXT) | instid1(VALU_DEP_2)
	v_fma_f32 v19, -v28, v30, v19
	v_fmac_f32_e32 v18, v27, v30
	s_cbranch_scc1 .LBB27_39
	s_branch .LBB27_14
.LBB27_40:
	v_dual_mov_b32 v1, s6 :: v_dual_mov_b32 v2, s7
	flat_load_b32 v14, v[1:2]
	v_cndmask_b32_e64 v1, 0, 1, s3
	v_mov_b32_e32 v15, s7
	s_and_not1_b32 vcc_lo, exec_lo, s3
	s_cbranch_vccnz .LBB27_2
.LBB27_41:
	v_dual_mov_b32 v2, s6 :: v_dual_mov_b32 v3, s7
	flat_load_b32 v15, v[2:3] offset:4
	v_cmp_ne_u32_e32 vcc_lo, 1, v1
	v_mov_b32_e32 v16, s4
	s_cbranch_vccnz .LBB27_3
.LBB27_42:
	v_dual_mov_b32 v2, s4 :: v_dual_mov_b32 v3, s5
	flat_load_b32 v16, v[2:3]
	v_cmp_ne_u32_e32 vcc_lo, 1, v1
	v_mov_b32_e32 v17, s5
	s_cbranch_vccz .LBB27_4
	s_branch .LBB27_5
.LBB27_43:
	s_delay_alu instid0(VALU_DEP_1) | instskip(NEXT) | instid1(SALU_CYCLE_1)
	s_and_b32 s2, s18, s2
	s_and_b32 exec_lo, exec_lo, s2
	s_cbranch_execz .LBB27_66
; %bb.44:
	s_load_b64 s[2:3], s[0:1], 0x70
	v_mad_u64_u32 v[5:6], null, s14, s10, v[4:5]
	v_cmp_neq_f32_e32 vcc_lo, 0, v16
	v_cmp_neq_f32_e64 s0, 0, v17
	s_mov_b32 s4, exec_lo
	s_delay_alu instid0(VALU_DEP_1) | instskip(NEXT) | instid1(VALU_DEP_3)
	s_or_b32 s1, vcc_lo, s0
	v_ashrrev_i32_e32 v6, 31, v5
	s_cmp_lg_u32 s16, 1
	s_cselect_b32 s0, -1, 0
	s_waitcnt lgkmcnt(0)
	s_delay_alu instid0(VALU_DEP_1) | instskip(SKIP_2) | instid1(VALU_DEP_1)
	v_mul_lo_u32 v7, v6, s2
	v_mul_lo_u32 v8, v5, s3
	v_mad_u64_u32 v[3:4], null, v5, s2, 0
	v_add3_u32 v4, v4, v8, v7
	v_lshlrev_b64 v[6:7], 3, v[5:6]
	s_delay_alu instid0(VALU_DEP_2) | instskip(NEXT) | instid1(VALU_DEP_2)
	v_lshlrev_b64 v[3:4], 3, v[3:4]
	v_add_co_u32 v6, vcc_lo, s6, v6
	s_delay_alu instid0(VALU_DEP_3) | instskip(NEXT) | instid1(VALU_DEP_3)
	v_add_co_ci_u32_e32 v7, vcc_lo, s7, v7, vcc_lo
	v_add_co_u32 v8, vcc_lo, s6, v3
	s_delay_alu instid0(VALU_DEP_4)
	v_add_co_ci_u32_e32 v9, vcc_lo, s7, v4, vcc_lo
	v_cmpx_gt_i32_e64 s11, v2
	s_cbranch_execz .LBB27_55
; %bb.45:
	s_and_saveexec_b32 s5, s1
	s_delay_alu instid0(SALU_CYCLE_1)
	s_xor_b32 s5, exec_lo, s5
	s_cbranch_execz .LBB27_50
; %bb.46:
	v_ashrrev_i32_e32 v3, 31, v2
	s_and_b32 vcc_lo, exec_lo, s0
	s_mov_b32 s6, -1
	s_cbranch_vccz .LBB27_48
; %bb.47:
	s_delay_alu instid0(VALU_DEP_1) | instskip(SKIP_3) | instid1(VALU_DEP_2)
	v_lshlrev_b64 v[4:5], 3, v[2:3]
	v_mul_f32_e64 v12, v1, -v15
	v_mul_f32_e32 v13, v1, v14
	s_mov_b32 s6, 0
	v_fmac_f32_e32 v12, v14, v20
	s_delay_alu instid0(VALU_DEP_4) | instskip(SKIP_4) | instid1(VALU_DEP_1)
	v_add_co_u32 v4, vcc_lo, v8, v4
	v_add_co_ci_u32_e32 v5, vcc_lo, v9, v5, vcc_lo
	global_load_b64 v[10:11], v[4:5], off
	s_waitcnt vmcnt(0)
	v_dual_fmac_f32 v13, v15, v20 :: v_dual_fmac_f32 v12, v16, v10
	v_fmac_f32_e32 v13, v17, v10
	s_delay_alu instid0(VALU_DEP_2) | instskip(NEXT) | instid1(VALU_DEP_2)
	v_fma_f32 v12, -v17, v11, v12
	v_fmac_f32_e32 v13, v16, v11
	global_store_b64 v[4:5], v[12:13], off
.LBB27_48:
	s_and_not1_b32 vcc_lo, exec_lo, s6
	s_cbranch_vccnz .LBB27_50
; %bb.49:
	v_mul_lo_u32 v5, v3, s2
	v_mul_lo_u32 v10, v2, s3
	v_mad_u64_u32 v[3:4], null, v2, s2, 0
	s_delay_alu instid0(VALU_DEP_1) | instskip(SKIP_2) | instid1(VALU_DEP_3)
	v_add3_u32 v4, v4, v10, v5
	v_mul_f32_e64 v10, v1, -v15
	v_mul_f32_e32 v11, v1, v14
                                        ; implicit-def: $vgpr1
	v_lshlrev_b64 v[2:3], 3, v[3:4]
	s_delay_alu instid0(VALU_DEP_3) | instskip(NEXT) | instid1(VALU_DEP_3)
	v_fmac_f32_e32 v10, v14, v20
	v_fmac_f32_e32 v11, v15, v20
                                        ; implicit-def: $vgpr20
	s_delay_alu instid0(VALU_DEP_3) | instskip(NEXT) | instid1(VALU_DEP_4)
	v_add_co_u32 v2, vcc_lo, v6, v2
	v_add_co_ci_u32_e32 v3, vcc_lo, v7, v3, vcc_lo
	global_load_b64 v[4:5], v[2:3], off
	s_waitcnt vmcnt(0)
	v_fmac_f32_e32 v10, v16, v4
	v_fmac_f32_e32 v11, v17, v4
	s_delay_alu instid0(VALU_DEP_2) | instskip(NEXT) | instid1(VALU_DEP_2)
	v_fma_f32 v10, -v17, v5, v10
	v_fmac_f32_e32 v11, v16, v5
	global_store_b64 v[2:3], v[10:11], off
                                        ; implicit-def: $vgpr2
.LBB27_50:
	s_and_not1_saveexec_b32 s5, s5
	s_cbranch_execz .LBB27_55
; %bb.51:
	v_mul_f32_e64 v4, v1, -v15
	v_mul_f32_e32 v5, v1, v14
	v_ashrrev_i32_e32 v3, 31, v2
	s_and_b32 vcc_lo, exec_lo, s0
	s_mov_b32 s5, -1
	v_fmac_f32_e32 v4, v14, v20
	v_fmac_f32_e32 v5, v15, v20
	s_cbranch_vccz .LBB27_53
; %bb.52:
	v_lshlrev_b64 v[10:11], 3, v[2:3]
	s_mov_b32 s5, 0
	s_delay_alu instid0(VALU_DEP_1) | instskip(NEXT) | instid1(VALU_DEP_2)
	v_add_co_u32 v10, vcc_lo, v8, v10
	v_add_co_ci_u32_e32 v11, vcc_lo, v9, v11, vcc_lo
	global_store_b64 v[10:11], v[4:5], off
.LBB27_53:
	s_and_not1_b32 vcc_lo, exec_lo, s5
	s_cbranch_vccnz .LBB27_55
; %bb.54:
	v_mul_lo_u32 v1, v3, s2
	v_mul_lo_u32 v3, v2, s3
	v_mad_u64_u32 v[10:11], null, v2, s2, 0
	s_delay_alu instid0(VALU_DEP_1) | instskip(NEXT) | instid1(VALU_DEP_1)
	v_add3_u32 v11, v11, v3, v1
	v_lshlrev_b64 v[1:2], 3, v[10:11]
	s_delay_alu instid0(VALU_DEP_1) | instskip(NEXT) | instid1(VALU_DEP_2)
	v_add_co_u32 v1, vcc_lo, v6, v1
	v_add_co_ci_u32_e32 v2, vcc_lo, v7, v2, vcc_lo
	global_store_b64 v[1:2], v[4:5], off
.LBB27_55:
	s_or_b32 exec_lo, exec_lo, s4
	v_cmp_gt_i32_e32 vcc_lo, s11, v0
	s_and_b32 exec_lo, exec_lo, vcc_lo
	s_cbranch_execz .LBB27_66
; %bb.56:
	s_and_saveexec_b32 s4, s1
	s_delay_alu instid0(SALU_CYCLE_1)
	s_xor_b32 s1, exec_lo, s4
	s_cbranch_execz .LBB27_61
; %bb.57:
	v_ashrrev_i32_e32 v1, 31, v0
	s_and_not1_b32 vcc_lo, exec_lo, s0
	s_mov_b32 s4, -1
	s_cbranch_vccnz .LBB27_59
; %bb.58:
	s_delay_alu instid0(VALU_DEP_1) | instskip(SKIP_1) | instid1(VALU_DEP_1)
	v_lshlrev_b64 v[2:3], 3, v[0:1]
	s_mov_b32 s4, 0
	v_add_co_u32 v2, vcc_lo, v8, v2
	s_delay_alu instid0(VALU_DEP_2) | instskip(SKIP_4) | instid1(VALU_DEP_1)
	v_add_co_ci_u32_e32 v3, vcc_lo, v9, v3, vcc_lo
	v_mul_f32_e64 v8, v18, -v15
	global_load_b64 v[4:5], v[2:3], off
	v_fmac_f32_e32 v8, v14, v19
	s_waitcnt vmcnt(0)
	v_dual_mul_f32 v9, v18, v14 :: v_dual_fmac_f32 v8, v16, v4
	s_delay_alu instid0(VALU_DEP_1) | instskip(NEXT) | instid1(VALU_DEP_2)
	v_fmac_f32_e32 v9, v15, v19
	v_fma_f32 v8, -v17, v5, v8
	s_delay_alu instid0(VALU_DEP_2) | instskip(NEXT) | instid1(VALU_DEP_1)
	v_fmac_f32_e32 v9, v17, v4
	v_fmac_f32_e32 v9, v16, v5
	global_store_b64 v[2:3], v[8:9], off
.LBB27_59:
	s_and_not1_b32 vcc_lo, exec_lo, s4
                                        ; implicit-def: $vgpr8
                                        ; implicit-def: $vgpr9
	s_cbranch_vccnz .LBB27_61
; %bb.60:
	v_mul_lo_u32 v3, v1, s2
	v_mul_lo_u32 v4, v0, s3
	v_mad_u64_u32 v[1:2], null, v0, s2, 0
	v_mul_f32_e32 v5, v18, v14
                                        ; implicit-def: $vgpr8
                                        ; implicit-def: $vgpr9
	s_delay_alu instid0(VALU_DEP_2) | instskip(SKIP_1) | instid1(VALU_DEP_2)
	v_add3_u32 v2, v2, v4, v3
	v_mul_f32_e64 v4, v18, -v15
                                        ; implicit-def: $vgpr18
	v_lshlrev_b64 v[0:1], 3, v[1:2]
	s_delay_alu instid0(VALU_DEP_1) | instskip(NEXT) | instid1(VALU_DEP_2)
	v_add_co_u32 v0, vcc_lo, v6, v0
	v_add_co_ci_u32_e32 v1, vcc_lo, v7, v1, vcc_lo
                                        ; implicit-def: $vgpr6
                                        ; implicit-def: $vgpr7
	global_load_b64 v[2:3], v[0:1], off
	v_fmac_f32_e32 v5, v15, v19
	v_fmac_f32_e32 v4, v14, v19
                                        ; implicit-def: $vgpr14
                                        ; implicit-def: $vgpr15
                                        ; implicit-def: $vgpr19
	s_waitcnt vmcnt(0)
	s_delay_alu instid0(VALU_DEP_2) | instskip(NEXT) | instid1(VALU_DEP_2)
	v_fmac_f32_e32 v5, v17, v2
	v_fmac_f32_e32 v4, v16, v2
	s_delay_alu instid0(VALU_DEP_2) | instskip(NEXT) | instid1(VALU_DEP_2)
	v_fmac_f32_e32 v5, v16, v3
	v_fma_f32 v4, -v17, v3, v4
	global_store_b64 v[0:1], v[4:5], off
                                        ; implicit-def: $vgpr0
.LBB27_61:
	s_and_not1_saveexec_b32 s1, s1
	s_cbranch_execz .LBB27_66
; %bb.62:
	v_mul_f32_e64 v2, v18, -v15
	v_mul_f32_e32 v3, v18, v14
	v_ashrrev_i32_e32 v1, 31, v0
	s_and_not1_b32 vcc_lo, exec_lo, s0
	s_mov_b32 s0, -1
	v_fmac_f32_e32 v2, v14, v19
	v_fmac_f32_e32 v3, v15, v19
	s_cbranch_vccnz .LBB27_64
; %bb.63:
	v_lshlrev_b64 v[4:5], 3, v[0:1]
	s_mov_b32 s0, 0
	s_delay_alu instid0(VALU_DEP_1) | instskip(NEXT) | instid1(VALU_DEP_2)
	v_add_co_u32 v4, vcc_lo, v8, v4
	v_add_co_ci_u32_e32 v5, vcc_lo, v9, v5, vcc_lo
	global_store_b64 v[4:5], v[2:3], off
.LBB27_64:
	s_and_not1_b32 vcc_lo, exec_lo, s0
	s_cbranch_vccnz .LBB27_66
; %bb.65:
	v_mul_lo_u32 v1, v1, s2
	v_mul_lo_u32 v8, v0, s3
	v_mad_u64_u32 v[4:5], null, v0, s2, 0
	s_delay_alu instid0(VALU_DEP_1) | instskip(NEXT) | instid1(VALU_DEP_1)
	v_add3_u32 v5, v5, v8, v1
	v_lshlrev_b64 v[0:1], 3, v[4:5]
	s_delay_alu instid0(VALU_DEP_1) | instskip(NEXT) | instid1(VALU_DEP_2)
	v_add_co_u32 v0, vcc_lo, v6, v0
	v_add_co_ci_u32_e32 v1, vcc_lo, v7, v1, vcc_lo
	global_store_b64 v[0:1], v[2:3], off
.LBB27_66:
	s_nop 0
	s_sendmsg sendmsg(MSG_DEALLOC_VGPRS)
	s_endpgm
	.section	.rodata,"a",@progbits
	.p2align	6, 0x0
	.amdhsa_kernel _ZN9rocsparseL31bsrmm_large_blockdim_kernel_extILj32ELj32ELj2Eii21rocsparse_complex_numIfES2_S2_S2_EEvb20rocsparse_direction_T3_S4_llNS_24const_host_device_scalarIT7_EEPKT2_PKS4_PKT4_S4_PKT5_llS7_PT6_ll16rocsparse_order_21rocsparse_index_base_b
		.amdhsa_group_segment_fixed_size 24576
		.amdhsa_private_segment_fixed_size 0
		.amdhsa_kernarg_size 140
		.amdhsa_user_sgpr_count 14
		.amdhsa_user_sgpr_dispatch_ptr 0
		.amdhsa_user_sgpr_queue_ptr 0
		.amdhsa_user_sgpr_kernarg_segment_ptr 1
		.amdhsa_user_sgpr_dispatch_id 0
		.amdhsa_user_sgpr_private_segment_size 0
		.amdhsa_wavefront_size32 1
		.amdhsa_uses_dynamic_stack 0
		.amdhsa_enable_private_segment 0
		.amdhsa_system_sgpr_workgroup_id_x 1
		.amdhsa_system_sgpr_workgroup_id_y 1
		.amdhsa_system_sgpr_workgroup_id_z 0
		.amdhsa_system_sgpr_workgroup_info 0
		.amdhsa_system_vgpr_workitem_id 1
		.amdhsa_next_free_vgpr 43
		.amdhsa_next_free_sgpr 36
		.amdhsa_reserve_vcc 1
		.amdhsa_float_round_mode_32 0
		.amdhsa_float_round_mode_16_64 0
		.amdhsa_float_denorm_mode_32 3
		.amdhsa_float_denorm_mode_16_64 3
		.amdhsa_dx10_clamp 1
		.amdhsa_ieee_mode 1
		.amdhsa_fp16_overflow 0
		.amdhsa_workgroup_processor_mode 1
		.amdhsa_memory_ordered 1
		.amdhsa_forward_progress 0
		.amdhsa_shared_vgpr_count 0
		.amdhsa_exception_fp_ieee_invalid_op 0
		.amdhsa_exception_fp_denorm_src 0
		.amdhsa_exception_fp_ieee_div_zero 0
		.amdhsa_exception_fp_ieee_overflow 0
		.amdhsa_exception_fp_ieee_underflow 0
		.amdhsa_exception_fp_ieee_inexact 0
		.amdhsa_exception_int_div_zero 0
	.end_amdhsa_kernel
	.section	.text._ZN9rocsparseL31bsrmm_large_blockdim_kernel_extILj32ELj32ELj2Eii21rocsparse_complex_numIfES2_S2_S2_EEvb20rocsparse_direction_T3_S4_llNS_24const_host_device_scalarIT7_EEPKT2_PKS4_PKT4_S4_PKT5_llS7_PT6_ll16rocsparse_order_21rocsparse_index_base_b,"axG",@progbits,_ZN9rocsparseL31bsrmm_large_blockdim_kernel_extILj32ELj32ELj2Eii21rocsparse_complex_numIfES2_S2_S2_EEvb20rocsparse_direction_T3_S4_llNS_24const_host_device_scalarIT7_EEPKT2_PKS4_PKT4_S4_PKT5_llS7_PT6_ll16rocsparse_order_21rocsparse_index_base_b,comdat
.Lfunc_end27:
	.size	_ZN9rocsparseL31bsrmm_large_blockdim_kernel_extILj32ELj32ELj2Eii21rocsparse_complex_numIfES2_S2_S2_EEvb20rocsparse_direction_T3_S4_llNS_24const_host_device_scalarIT7_EEPKT2_PKS4_PKT4_S4_PKT5_llS7_PT6_ll16rocsparse_order_21rocsparse_index_base_b, .Lfunc_end27-_ZN9rocsparseL31bsrmm_large_blockdim_kernel_extILj32ELj32ELj2Eii21rocsparse_complex_numIfES2_S2_S2_EEvb20rocsparse_direction_T3_S4_llNS_24const_host_device_scalarIT7_EEPKT2_PKS4_PKT4_S4_PKT5_llS7_PT6_ll16rocsparse_order_21rocsparse_index_base_b
                                        ; -- End function
	.section	.AMDGPU.csdata,"",@progbits
; Kernel info:
; codeLenInByte = 3208
; NumSgprs: 38
; NumVgprs: 43
; ScratchSize: 0
; MemoryBound: 0
; FloatMode: 240
; IeeeMode: 1
; LDSByteSize: 24576 bytes/workgroup (compile time only)
; SGPRBlocks: 4
; VGPRBlocks: 5
; NumSGPRsForWavesPerEU: 38
; NumVGPRsForWavesPerEU: 43
; Occupancy: 16
; WaveLimiterHint : 1
; COMPUTE_PGM_RSRC2:SCRATCH_EN: 0
; COMPUTE_PGM_RSRC2:USER_SGPR: 14
; COMPUTE_PGM_RSRC2:TRAP_HANDLER: 0
; COMPUTE_PGM_RSRC2:TGID_X_EN: 1
; COMPUTE_PGM_RSRC2:TGID_Y_EN: 1
; COMPUTE_PGM_RSRC2:TGID_Z_EN: 0
; COMPUTE_PGM_RSRC2:TIDIG_COMP_CNT: 1
	.section	.text._ZN9rocsparseL31bsrmm_large_blockdim_kernel_extILj8ELj8ELj2Eli21rocsparse_complex_numIfES2_S2_S2_EEvb20rocsparse_direction_T3_S4_llNS_24const_host_device_scalarIT7_EEPKT2_PKS4_PKT4_S4_PKT5_llS7_PT6_ll16rocsparse_order_21rocsparse_index_base_b,"axG",@progbits,_ZN9rocsparseL31bsrmm_large_blockdim_kernel_extILj8ELj8ELj2Eli21rocsparse_complex_numIfES2_S2_S2_EEvb20rocsparse_direction_T3_S4_llNS_24const_host_device_scalarIT7_EEPKT2_PKS4_PKT4_S4_PKT5_llS7_PT6_ll16rocsparse_order_21rocsparse_index_base_b,comdat
	.globl	_ZN9rocsparseL31bsrmm_large_blockdim_kernel_extILj8ELj8ELj2Eli21rocsparse_complex_numIfES2_S2_S2_EEvb20rocsparse_direction_T3_S4_llNS_24const_host_device_scalarIT7_EEPKT2_PKS4_PKT4_S4_PKT5_llS7_PT6_ll16rocsparse_order_21rocsparse_index_base_b ; -- Begin function _ZN9rocsparseL31bsrmm_large_blockdim_kernel_extILj8ELj8ELj2Eli21rocsparse_complex_numIfES2_S2_S2_EEvb20rocsparse_direction_T3_S4_llNS_24const_host_device_scalarIT7_EEPKT2_PKS4_PKT4_S4_PKT5_llS7_PT6_ll16rocsparse_order_21rocsparse_index_base_b
	.p2align	8
	.type	_ZN9rocsparseL31bsrmm_large_blockdim_kernel_extILj8ELj8ELj2Eli21rocsparse_complex_numIfES2_S2_S2_EEvb20rocsparse_direction_T3_S4_llNS_24const_host_device_scalarIT7_EEPKT2_PKS4_PKT4_S4_PKT5_llS7_PT6_ll16rocsparse_order_21rocsparse_index_base_b,@function
_ZN9rocsparseL31bsrmm_large_blockdim_kernel_extILj8ELj8ELj2Eli21rocsparse_complex_numIfES2_S2_S2_EEvb20rocsparse_direction_T3_S4_llNS_24const_host_device_scalarIT7_EEPKT2_PKS4_PKT4_S4_PKT5_llS7_PT6_ll16rocsparse_order_21rocsparse_index_base_b: ; @_ZN9rocsparseL31bsrmm_large_blockdim_kernel_extILj8ELj8ELj2Eli21rocsparse_complex_numIfES2_S2_S2_EEvb20rocsparse_direction_T3_S4_llNS_24const_host_device_scalarIT7_EEPKT2_PKS4_PKT4_S4_PKT5_llS7_PT6_ll16rocsparse_order_21rocsparse_index_base_b
; %bb.0:
	s_clause 0x2
	s_load_b128 s[16:19], s[0:1], 0x80
	s_load_b64 s[6:7], s[0:1], 0x20
	s_load_b64 s[4:5], s[0:1], 0x60
	s_mov_b32 s2, s15
	s_waitcnt lgkmcnt(0)
	s_bitcmp1_b32 s18, 0
	v_mov_b32_e32 v14, s6
	s_cselect_b32 s3, -1, 0
	s_delay_alu instid0(SALU_CYCLE_1)
	s_and_b32 vcc_lo, exec_lo, s3
	s_xor_b32 s3, s3, -1
	s_cbranch_vccz .LBB28_40
; %bb.1:
	v_cndmask_b32_e64 v1, 0, 1, s3
	v_mov_b32_e32 v15, s7
	s_and_not1_b32 vcc_lo, exec_lo, s3
	s_cbranch_vccz .LBB28_41
.LBB28_2:
	s_delay_alu instid0(VALU_DEP_2)
	v_cmp_ne_u32_e32 vcc_lo, 1, v1
	v_mov_b32_e32 v16, s4
	s_cbranch_vccz .LBB28_42
.LBB28_3:
	v_cmp_ne_u32_e32 vcc_lo, 1, v1
	v_mov_b32_e32 v17, s5
	s_cbranch_vccnz .LBB28_5
.LBB28_4:
	v_dual_mov_b32 v1, s4 :: v_dual_mov_b32 v2, s5
	flat_load_b32 v17, v[1:2] offset:4
.LBB28_5:
	s_waitcnt vmcnt(0) lgkmcnt(0)
	v_cmp_eq_f32_e32 vcc_lo, 0, v14
	v_cmp_eq_f32_e64 s3, 0, v15
	s_delay_alu instid0(VALU_DEP_1)
	s_and_b32 s5, vcc_lo, s3
	s_mov_b32 s3, -1
	s_and_saveexec_b32 s4, s5
; %bb.6:
	v_cmp_neq_f32_e32 vcc_lo, 1.0, v16
	v_cmp_neq_f32_e64 s3, 0, v17
	s_delay_alu instid0(VALU_DEP_1) | instskip(NEXT) | instid1(SALU_CYCLE_1)
	s_or_b32 s3, vcc_lo, s3
	s_or_not1_b32 s3, s3, exec_lo
; %bb.7:
	s_or_b32 exec_lo, exec_lo, s4
	s_and_saveexec_b32 s4, s3
	s_cbranch_execz .LBB28_66
; %bb.8:
	s_clause 0x1
	s_load_b128 s[8:11], s[0:1], 0x0
	s_load_b64 s[4:5], s[0:1], 0x28
	s_mov_b64 s[12:13], 0
	s_mov_b64 s[18:19], 0
	s_waitcnt lgkmcnt(0)
	s_cmp_lt_i32 s14, s10
	s_cselect_b32 s28, -1, 0
	s_cmp_ge_i32 s14, s10
	s_cbranch_scc1 .LBB28_10
; %bb.9:
	s_ashr_i32 s15, s14, 31
	s_delay_alu instid0(SALU_CYCLE_1) | instskip(NEXT) | instid1(SALU_CYCLE_1)
	s_lshl_b64 s[6:7], s[14:15], 3
	s_add_u32 s6, s4, s6
	s_addc_u32 s7, s5, s7
	s_load_b64 s[6:7], s[6:7], 0x0
	s_waitcnt lgkmcnt(0)
	s_sub_u32 s18, s6, s17
	s_subb_u32 s19, s7, 0
.LBB28_10:
	s_and_not1_b32 vcc_lo, exec_lo, s28
	s_cbranch_vccnz .LBB28_12
; %bb.11:
	s_ashr_i32 s15, s14, 31
	s_delay_alu instid0(SALU_CYCLE_1) | instskip(NEXT) | instid1(SALU_CYCLE_1)
	s_lshl_b64 s[6:7], s[14:15], 3
	s_add_u32 s4, s4, s6
	s_addc_u32 s5, s5, s7
	s_load_b64 s[4:5], s[4:5], 0x8
	s_waitcnt lgkmcnt(0)
	s_sub_u32 s12, s4, s17
	s_subb_u32 s13, s5, 0
.LBB28_12:
	s_clause 0x1
	s_load_b32 s10, s[0:1], 0x40
	s_load_b64 s[6:7], s[0:1], 0x68
	v_bfe_u32 v6, v0, 10, 10
	v_dual_mov_b32 v18, 0 :: v_dual_and_b32 v5, 0x3ff, v0
	v_dual_mov_b32 v1, 0 :: v_dual_mov_b32 v2, 0
	s_delay_alu instid0(VALU_DEP_3) | instskip(SKIP_1) | instid1(VALU_DEP_2)
	v_lshl_add_u32 v3, s2, 4, v6
	v_cmp_ge_i64_e64 s2, s[18:19], s[12:13]
	v_dual_mov_b32 v19, 0 :: v_dual_add_nc_u32 v0, 8, v3
	v_cmp_gt_i32_e64 s3, s11, v3
	s_delay_alu instid0(VALU_DEP_3) | instskip(NEXT) | instid1(VALU_DEP_2)
	s_and_b32 vcc_lo, exec_lo, s2
	v_cmp_gt_i32_e64 s4, s11, v0
	s_waitcnt lgkmcnt(0)
	v_cmp_gt_i32_e64 s2, s10, v5
	s_cbranch_vccnz .LBB28_43
; %bb.13:
	s_clause 0x1
	s_load_b128 s[20:23], s[0:1], 0x30
	s_load_b128 s[24:27], s[0:1], 0x48
	v_mul_lo_u32 v1, v6, s10
	v_dual_mov_b32 v2, 0 :: v_dual_lshlrev_b32 v9, 3, v6
	v_cmp_gt_i32_e32 vcc_lo, s10, v6
	v_lshlrev_b32_e32 v10, 3, v5
	v_ashrrev_i32_e32 v4, 31, v3
	s_and_b32 s15, s2, vcc_lo
	v_lshlrev_b64 v[7:8], 3, v[1:2]
	v_mul_lo_u32 v1, v5, s10
	v_add_nc_u32_e32 v12, v10, v6
	s_bitcmp1_b32 s8, 0
	s_cselect_b32 s5, -1, 0
	s_cmp_eq_u32 s9, 0
	s_delay_alu instid0(VALU_DEP_1) | instskip(SKIP_4) | instid1(VALU_DEP_3)
	v_lshl_add_u32 v20, v12, 3, 0x400
	s_waitcnt lgkmcnt(0)
	v_add_co_u32 v11, vcc_lo, s22, v7
	v_add_co_ci_u32_e32 v13, vcc_lo, s23, v8, vcc_lo
	v_lshlrev_b64 v[7:8], 3, v[1:2]
	v_add_co_u32 v18, vcc_lo, v11, v10
	v_ashrrev_i32_e32 v1, 31, v0
	s_delay_alu instid0(VALU_DEP_4) | instskip(NEXT) | instid1(VALU_DEP_4)
	v_add_co_ci_u32_e32 v13, vcc_lo, 0, v13, vcc_lo
	v_add_co_u32 v19, vcc_lo, s22, v7
	v_add_co_ci_u32_e32 v21, vcc_lo, s23, v8, vcc_lo
	v_mul_lo_u32 v22, v3, s27
	v_mul_lo_u32 v23, v4, s26
	v_mad_u64_u32 v[7:8], null, v3, s26, 0
	v_mul_lo_u32 v24, v0, s27
	v_mul_lo_u32 v25, v1, s26
	v_mad_u64_u32 v[10:11], null, v0, s26, 0
	v_add_co_u32 v12, vcc_lo, v19, v9
	v_add_co_ci_u32_e32 v19, vcc_lo, 0, v21, vcc_lo
	s_cselect_b32 vcc_lo, -1, 0
	v_add3_u32 v8, v8, v22, v23
	s_delay_alu instid0(VALU_DEP_4) | instskip(NEXT) | instid1(VALU_DEP_3)
	v_add3_u32 v11, v11, v24, v25
	v_dual_cndmask_b32 v22, v13, v19 :: v_dual_lshlrev_b32 v23, 6, v6
	s_add_i32 s9, s10, -1
	s_and_b32 s8, s10, 7
	s_cmp_gt_u32 s9, 6
	v_add_lshl_u32 v21, v9, v5, 3
	v_cndmask_b32_e32 v24, v18, v12, vcc_lo
	v_lshlrev_b64 v[6:7], 3, v[7:8]
	v_lshlrev_b64 v[8:9], 3, v[3:4]
	;; [unrolled: 1-line block ×4, first 2 shown]
	s_cselect_b32 s9, -1, 0
	s_and_b32 s22, s10, -8
	v_lshl_add_u32 v25, v5, 6, 0x400
	v_dual_mov_b32 v19, v2 :: v_dual_add_nc_u32 v26, 0x200, v23
	v_mov_b32_e32 v18, v2
	v_mov_b32_e32 v1, v2
	s_cmp_lg_u32 s8, 0
	s_mul_i32 s23, s10, s10
	s_cselect_b32 s29, -1, 0
	s_branch .LBB28_16
.LBB28_14:                              ;   in Loop: Header=BB28_16 Depth=1
	s_or_b32 exec_lo, exec_lo, s31
.LBB28_15:                              ;   in Loop: Header=BB28_16 Depth=1
	s_delay_alu instid0(SALU_CYCLE_1) | instskip(SKIP_2) | instid1(SALU_CYCLE_1)
	s_or_b32 exec_lo, exec_lo, s30
	s_add_u32 s18, s18, 1
	s_addc_u32 s19, s19, 0
	v_cmp_ge_i64_e64 s30, s[18:19], s[12:13]
	s_barrier
	buffer_gl0_inv
	s_and_b32 vcc_lo, exec_lo, s30
	s_cbranch_vccnz .LBB28_43
.LBB28_16:                              ; =>This Loop Header: Depth=1
                                        ;     Child Loop BB28_27 Depth 2
                                        ;     Child Loop BB28_31 Depth 2
	;; [unrolled: 1-line block ×4, first 2 shown]
	s_and_saveexec_b32 s30, s2
	s_cbranch_execz .LBB28_21
; %bb.17:                               ;   in Loop: Header=BB28_16 Depth=1
	s_lshl_b64 s[34:35], s[18:19], 2
	s_delay_alu instid0(SALU_CYCLE_1) | instskip(SKIP_4) | instid1(SALU_CYCLE_1)
	s_add_u32 s34, s20, s34
	s_addc_u32 s35, s21, s35
	s_load_b32 s31, s[34:35], 0x0
	s_waitcnt lgkmcnt(0)
	s_sub_i32 s31, s31, s17
	v_mad_u64_u32 v[27:28], null, s31, s10, v[5:6]
	s_delay_alu instid0(VALU_DEP_1) | instskip(SKIP_2) | instid1(VALU_DEP_3)
	v_ashrrev_i32_e32 v28, 31, v27
	v_mul_lo_u32 v4, v27, s27
	v_mad_u64_u32 v[29:30], null, v27, s26, 0
	v_mul_lo_u32 v31, v28, s26
	s_delay_alu instid0(VALU_DEP_1) | instskip(SKIP_1) | instid1(VALU_DEP_2)
	v_add3_u32 v30, v30, v4, v31
	v_lshlrev_b64 v[31:32], 3, v[27:28]
	v_lshlrev_b64 v[29:30], 3, v[29:30]
	s_delay_alu instid0(VALU_DEP_1) | instskip(NEXT) | instid1(VALU_DEP_2)
	v_add_co_u32 v4, vcc_lo, s24, v29
	v_add_co_ci_u32_e32 v27, vcc_lo, s25, v30, vcc_lo
	s_delay_alu instid0(VALU_DEP_4)
	v_add_co_u32 v28, vcc_lo, s24, v31
	v_add_co_ci_u32_e32 v29, vcc_lo, s25, v32, vcc_lo
	s_and_saveexec_b32 s31, s3
	s_cbranch_execz .LBB28_19
; %bb.18:                               ;   in Loop: Header=BB28_16 Depth=1
	s_delay_alu instid0(VALU_DEP_2) | instskip(NEXT) | instid1(VALU_DEP_2)
	v_add_co_u32 v30, vcc_lo, v28, v6
	v_add_co_ci_u32_e32 v31, vcc_lo, v29, v7, vcc_lo
	v_add_co_u32 v32, vcc_lo, v4, v8
	v_add_co_ci_u32_e32 v33, vcc_lo, v27, v9, vcc_lo
	s_delay_alu instid0(VALU_DEP_2) | instskip(NEXT) | instid1(VALU_DEP_2)
	v_cndmask_b32_e64 v30, v32, v30, s5
	v_cndmask_b32_e64 v31, v33, v31, s5
	global_load_b64 v[30:31], v[30:31], off
	s_waitcnt vmcnt(0)
	ds_store_b64 v21, v[30:31]
.LBB28_19:                              ;   in Loop: Header=BB28_16 Depth=1
	s_or_b32 exec_lo, exec_lo, s31
	s_delay_alu instid0(SALU_CYCLE_1)
	s_and_b32 exec_lo, exec_lo, s4
	s_cbranch_execz .LBB28_21
; %bb.20:                               ;   in Loop: Header=BB28_16 Depth=1
	v_add_co_u32 v30, vcc_lo, v28, v10
	v_add_co_ci_u32_e32 v28, vcc_lo, v29, v11, vcc_lo
	v_add_co_u32 v4, vcc_lo, v4, v12
	v_add_co_ci_u32_e32 v27, vcc_lo, v27, v13, vcc_lo
	s_delay_alu instid0(VALU_DEP_1) | instskip(NEXT) | instid1(VALU_DEP_3)
	v_cndmask_b32_e64 v28, v27, v28, s5
	v_cndmask_b32_e64 v27, v4, v30, s5
	global_load_b64 v[27:28], v[27:28], off
	s_waitcnt vmcnt(0)
	ds_store_b64 v21, v[27:28] offset:512
.LBB28_21:                              ;   in Loop: Header=BB28_16 Depth=1
	s_or_b32 exec_lo, exec_lo, s30
	s_and_saveexec_b32 s30, s15
	s_cbranch_execz .LBB28_23
; %bb.22:                               ;   in Loop: Header=BB28_16 Depth=1
	s_mul_i32 s31, s19, s23
	s_mul_hi_u32 s33, s18, s23
	s_mul_i32 s34, s18, s23
	s_add_i32 s35, s33, s31
	s_delay_alu instid0(SALU_CYCLE_1) | instskip(NEXT) | instid1(SALU_CYCLE_1)
	s_lshl_b64 s[34:35], s[34:35], 3
	v_add_co_u32 v27, vcc_lo, v24, s34
	v_add_co_ci_u32_e32 v28, vcc_lo, s35, v22, vcc_lo
	global_load_b64 v[27:28], v[27:28], off
	s_waitcnt vmcnt(0)
	ds_store_b64 v20, v[27:28]
.LBB28_23:                              ;   in Loop: Header=BB28_16 Depth=1
	s_or_b32 exec_lo, exec_lo, s30
	s_waitcnt lgkmcnt(0)
	s_barrier
	buffer_gl0_inv
	s_and_saveexec_b32 s30, s2
	s_cbranch_execz .LBB28_15
; %bb.24:                               ;   in Loop: Header=BB28_16 Depth=1
	s_and_saveexec_b32 s31, s3
	s_cbranch_execz .LBB28_32
; %bb.25:                               ;   in Loop: Header=BB28_16 Depth=1
	s_and_not1_b32 vcc_lo, exec_lo, s9
	s_cbranch_vccnz .LBB28_29
; %bb.26:                               ;   in Loop: Header=BB28_16 Depth=1
	v_dual_mov_b32 v4, v25 :: v_dual_mov_b32 v27, v23
	s_mov_b32 s33, 0
.LBB28_27:                              ;   Parent Loop BB28_16 Depth=1
                                        ; =>  This Inner Loop Header: Depth=2
	ds_load_b128 v[28:31], v27
	ds_load_b128 v[32:35], v4
	ds_load_b128 v[36:39], v4 offset:16
	ds_load_b128 v[40:43], v27 offset:16
	s_add_i32 s33, s33, 8
	s_delay_alu instid0(SALU_CYCLE_1) | instskip(SKIP_3) | instid1(VALU_DEP_2)
	s_cmp_lg_u32 s22, s33
	s_waitcnt lgkmcnt(2)
	v_fmac_f32_e32 v19, v32, v28
	v_fmac_f32_e32 v1, v33, v28
	v_fma_f32 v19, -v33, v29, v19
	s_delay_alu instid0(VALU_DEP_2) | instskip(NEXT) | instid1(VALU_DEP_2)
	v_fmac_f32_e32 v1, v32, v29
	v_fmac_f32_e32 v19, v34, v30
	s_delay_alu instid0(VALU_DEP_2) | instskip(NEXT) | instid1(VALU_DEP_2)
	v_fmac_f32_e32 v1, v35, v30
	v_fma_f32 v19, -v35, v31, v19
	s_delay_alu instid0(VALU_DEP_2)
	v_fmac_f32_e32 v1, v34, v31
	ds_load_b128 v[28:31], v27 offset:32
	ds_load_b128 v[32:35], v4 offset:32
	s_waitcnt lgkmcnt(2)
	v_fmac_f32_e32 v19, v36, v40
	v_fmac_f32_e32 v1, v37, v40
	s_delay_alu instid0(VALU_DEP_2) | instskip(NEXT) | instid1(VALU_DEP_2)
	v_fma_f32 v19, -v37, v41, v19
	v_fmac_f32_e32 v1, v36, v41
	s_delay_alu instid0(VALU_DEP_2) | instskip(NEXT) | instid1(VALU_DEP_2)
	v_fmac_f32_e32 v19, v38, v42
	v_fmac_f32_e32 v1, v39, v42
	s_delay_alu instid0(VALU_DEP_2) | instskip(NEXT) | instid1(VALU_DEP_2)
	v_fma_f32 v19, -v39, v43, v19
	v_fmac_f32_e32 v1, v38, v43
	ds_load_b128 v[36:39], v4 offset:48
	ds_load_b128 v[40:43], v27 offset:48
	v_add_nc_u32_e32 v4, 64, v4
	v_add_nc_u32_e32 v27, 64, v27
	s_waitcnt lgkmcnt(2)
	v_fmac_f32_e32 v19, v32, v28
	v_fmac_f32_e32 v1, v33, v28
	s_delay_alu instid0(VALU_DEP_2) | instskip(NEXT) | instid1(VALU_DEP_2)
	v_fma_f32 v19, -v33, v29, v19
	v_fmac_f32_e32 v1, v32, v29
	s_delay_alu instid0(VALU_DEP_2) | instskip(NEXT) | instid1(VALU_DEP_2)
	v_fmac_f32_e32 v19, v34, v30
	v_fmac_f32_e32 v1, v35, v30
	s_delay_alu instid0(VALU_DEP_2) | instskip(NEXT) | instid1(VALU_DEP_2)
	v_fma_f32 v19, -v35, v31, v19
	v_fmac_f32_e32 v1, v34, v31
	s_waitcnt lgkmcnt(0)
	s_delay_alu instid0(VALU_DEP_2) | instskip(NEXT) | instid1(VALU_DEP_2)
	v_fmac_f32_e32 v19, v36, v40
	v_fmac_f32_e32 v1, v37, v40
	s_delay_alu instid0(VALU_DEP_2) | instskip(NEXT) | instid1(VALU_DEP_2)
	v_fma_f32 v19, -v37, v41, v19
	v_fmac_f32_e32 v1, v36, v41
	s_delay_alu instid0(VALU_DEP_2) | instskip(NEXT) | instid1(VALU_DEP_2)
	v_fmac_f32_e32 v19, v38, v42
	v_fmac_f32_e32 v1, v39, v42
	s_delay_alu instid0(VALU_DEP_2) | instskip(NEXT) | instid1(VALU_DEP_2)
	v_fma_f32 v19, -v39, v43, v19
	v_fmac_f32_e32 v1, v38, v43
	s_cbranch_scc1 .LBB28_27
; %bb.28:                               ;   in Loop: Header=BB28_16 Depth=1
	s_mov_b32 s33, s22
	s_and_not1_b32 vcc_lo, exec_lo, s29
	s_cbranch_vccz .LBB28_30
	s_branch .LBB28_32
.LBB28_29:                              ;   in Loop: Header=BB28_16 Depth=1
	s_mov_b32 s33, 0
	s_and_not1_b32 vcc_lo, exec_lo, s29
	s_cbranch_vccnz .LBB28_32
.LBB28_30:                              ;   in Loop: Header=BB28_16 Depth=1
	s_lshl_b32 s33, s33, 3
	s_delay_alu instid0(SALU_CYCLE_1)
	v_add_nc_u32_e32 v4, s33, v23
	v_add_nc_u32_e32 v27, s33, v25
	s_mov_b32 s33, s8
.LBB28_31:                              ;   Parent Loop BB28_16 Depth=1
                                        ; =>  This Inner Loop Header: Depth=2
	ds_load_b64 v[28:29], v27
	ds_load_b64 v[30:31], v4
	v_add_nc_u32_e32 v27, 8, v27
	s_add_i32 s33, s33, -1
	v_add_nc_u32_e32 v4, 8, v4
	s_cmp_lg_u32 s33, 0
	s_waitcnt lgkmcnt(0)
	v_fmac_f32_e32 v19, v28, v30
	v_fmac_f32_e32 v1, v29, v30
	s_delay_alu instid0(VALU_DEP_2) | instskip(NEXT) | instid1(VALU_DEP_2)
	v_fma_f32 v19, -v29, v31, v19
	v_fmac_f32_e32 v1, v28, v31
	s_cbranch_scc1 .LBB28_31
.LBB28_32:                              ;   in Loop: Header=BB28_16 Depth=1
	s_or_b32 exec_lo, exec_lo, s31
	s_and_saveexec_b32 s31, s4
	s_cbranch_execz .LBB28_14
; %bb.33:                               ;   in Loop: Header=BB28_16 Depth=1
	s_and_not1_b32 vcc_lo, exec_lo, s9
	s_cbranch_vccnz .LBB28_37
; %bb.34:                               ;   in Loop: Header=BB28_16 Depth=1
	v_dual_mov_b32 v4, v25 :: v_dual_mov_b32 v27, v26
	s_mov_b32 s33, 0
.LBB28_35:                              ;   Parent Loop BB28_16 Depth=1
                                        ; =>  This Inner Loop Header: Depth=2
	ds_load_b128 v[28:31], v27
	ds_load_b128 v[32:35], v4
	ds_load_b128 v[36:39], v4 offset:16
	ds_load_b128 v[40:43], v27 offset:16
	s_add_i32 s33, s33, 8
	s_delay_alu instid0(SALU_CYCLE_1) | instskip(SKIP_3) | instid1(VALU_DEP_2)
	s_cmp_lg_u32 s22, s33
	s_waitcnt lgkmcnt(2)
	v_fmac_f32_e32 v18, v32, v28
	v_fmac_f32_e32 v2, v33, v28
	v_fma_f32 v18, -v33, v29, v18
	s_delay_alu instid0(VALU_DEP_2) | instskip(NEXT) | instid1(VALU_DEP_2)
	v_fmac_f32_e32 v2, v32, v29
	v_fmac_f32_e32 v18, v34, v30
	s_delay_alu instid0(VALU_DEP_2) | instskip(NEXT) | instid1(VALU_DEP_2)
	v_fmac_f32_e32 v2, v35, v30
	v_fma_f32 v18, -v35, v31, v18
	s_delay_alu instid0(VALU_DEP_2)
	v_fmac_f32_e32 v2, v34, v31
	ds_load_b128 v[28:31], v27 offset:32
	ds_load_b128 v[32:35], v4 offset:32
	s_waitcnt lgkmcnt(2)
	v_fmac_f32_e32 v18, v36, v40
	v_fmac_f32_e32 v2, v37, v40
	s_delay_alu instid0(VALU_DEP_2) | instskip(NEXT) | instid1(VALU_DEP_2)
	v_fma_f32 v18, -v37, v41, v18
	v_fmac_f32_e32 v2, v36, v41
	s_delay_alu instid0(VALU_DEP_2) | instskip(NEXT) | instid1(VALU_DEP_2)
	v_fmac_f32_e32 v18, v38, v42
	v_fmac_f32_e32 v2, v39, v42
	s_delay_alu instid0(VALU_DEP_2) | instskip(NEXT) | instid1(VALU_DEP_2)
	v_fma_f32 v18, -v39, v43, v18
	v_fmac_f32_e32 v2, v38, v43
	ds_load_b128 v[36:39], v4 offset:48
	ds_load_b128 v[40:43], v27 offset:48
	v_add_nc_u32_e32 v27, 64, v27
	v_add_nc_u32_e32 v4, 64, v4
	s_waitcnt lgkmcnt(2)
	v_fmac_f32_e32 v18, v32, v28
	v_fmac_f32_e32 v2, v33, v28
	s_delay_alu instid0(VALU_DEP_2) | instskip(NEXT) | instid1(VALU_DEP_2)
	v_fma_f32 v18, -v33, v29, v18
	v_fmac_f32_e32 v2, v32, v29
	s_delay_alu instid0(VALU_DEP_2) | instskip(NEXT) | instid1(VALU_DEP_2)
	v_fmac_f32_e32 v18, v34, v30
	v_fmac_f32_e32 v2, v35, v30
	s_delay_alu instid0(VALU_DEP_2) | instskip(NEXT) | instid1(VALU_DEP_2)
	v_fma_f32 v18, -v35, v31, v18
	v_fmac_f32_e32 v2, v34, v31
	s_waitcnt lgkmcnt(0)
	s_delay_alu instid0(VALU_DEP_2) | instskip(NEXT) | instid1(VALU_DEP_2)
	v_fmac_f32_e32 v18, v36, v40
	v_fmac_f32_e32 v2, v37, v40
	s_delay_alu instid0(VALU_DEP_2) | instskip(NEXT) | instid1(VALU_DEP_2)
	v_fma_f32 v18, -v37, v41, v18
	v_fmac_f32_e32 v2, v36, v41
	s_delay_alu instid0(VALU_DEP_2) | instskip(NEXT) | instid1(VALU_DEP_2)
	v_fmac_f32_e32 v18, v38, v42
	v_fmac_f32_e32 v2, v39, v42
	s_delay_alu instid0(VALU_DEP_2) | instskip(NEXT) | instid1(VALU_DEP_2)
	v_fma_f32 v18, -v39, v43, v18
	v_fmac_f32_e32 v2, v38, v43
	s_cbranch_scc1 .LBB28_35
; %bb.36:                               ;   in Loop: Header=BB28_16 Depth=1
	s_mov_b32 s33, s22
	s_and_not1_b32 vcc_lo, exec_lo, s29
	s_cbranch_vccz .LBB28_38
	s_branch .LBB28_14
.LBB28_37:                              ;   in Loop: Header=BB28_16 Depth=1
	s_mov_b32 s33, 0
	s_and_not1_b32 vcc_lo, exec_lo, s29
	s_cbranch_vccnz .LBB28_14
.LBB28_38:                              ;   in Loop: Header=BB28_16 Depth=1
	s_lshl_b32 s33, s33, 3
	s_delay_alu instid0(SALU_CYCLE_1)
	v_add_nc_u32_e32 v4, s33, v26
	v_add_nc_u32_e32 v27, s33, v25
	s_mov_b32 s33, s8
.LBB28_39:                              ;   Parent Loop BB28_16 Depth=1
                                        ; =>  This Inner Loop Header: Depth=2
	ds_load_b64 v[28:29], v27
	ds_load_b64 v[30:31], v4
	v_add_nc_u32_e32 v4, 8, v4
	s_add_i32 s33, s33, -1
	v_add_nc_u32_e32 v27, 8, v27
	s_cmp_lg_u32 s33, 0
	s_waitcnt lgkmcnt(0)
	v_fmac_f32_e32 v18, v28, v30
	v_fmac_f32_e32 v2, v29, v30
	s_delay_alu instid0(VALU_DEP_2) | instskip(NEXT) | instid1(VALU_DEP_2)
	v_fma_f32 v18, -v29, v31, v18
	v_fmac_f32_e32 v2, v28, v31
	s_cbranch_scc1 .LBB28_39
	s_branch .LBB28_14
.LBB28_40:
	v_dual_mov_b32 v1, s6 :: v_dual_mov_b32 v2, s7
	flat_load_b32 v14, v[1:2]
	v_cndmask_b32_e64 v1, 0, 1, s3
	v_mov_b32_e32 v15, s7
	s_and_not1_b32 vcc_lo, exec_lo, s3
	s_cbranch_vccnz .LBB28_2
.LBB28_41:
	v_dual_mov_b32 v2, s6 :: v_dual_mov_b32 v3, s7
	flat_load_b32 v15, v[2:3] offset:4
	v_cmp_ne_u32_e32 vcc_lo, 1, v1
	v_mov_b32_e32 v16, s4
	s_cbranch_vccnz .LBB28_3
.LBB28_42:
	v_dual_mov_b32 v2, s4 :: v_dual_mov_b32 v3, s5
	flat_load_b32 v16, v[2:3]
	v_cmp_ne_u32_e32 vcc_lo, 1, v1
	v_mov_b32_e32 v17, s5
	s_cbranch_vccz .LBB28_4
	s_branch .LBB28_5
.LBB28_43:
	s_delay_alu instid0(VALU_DEP_1) | instskip(NEXT) | instid1(SALU_CYCLE_1)
	s_and_b32 s2, s28, s2
	s_and_b32 exec_lo, exec_lo, s2
	s_cbranch_execz .LBB28_66
; %bb.44:
	s_load_b64 s[2:3], s[0:1], 0x70
	v_mad_u64_u32 v[6:7], null, s14, s10, v[5:6]
	v_cmp_neq_f32_e32 vcc_lo, 0, v16
	v_cmp_neq_f32_e64 s0, 0, v17
	s_mov_b32 s4, exec_lo
	s_delay_alu instid0(VALU_DEP_1) | instskip(NEXT) | instid1(VALU_DEP_3)
	s_or_b32 s1, vcc_lo, s0
	v_ashrrev_i32_e32 v7, 31, v6
	s_cmp_lg_u32 s16, 1
	s_cselect_b32 s0, -1, 0
	s_waitcnt lgkmcnt(0)
	s_delay_alu instid0(VALU_DEP_1) | instskip(SKIP_2) | instid1(VALU_DEP_1)
	v_mul_lo_u32 v8, v7, s2
	v_mul_lo_u32 v9, v6, s3
	v_mad_u64_u32 v[4:5], null, v6, s2, 0
	v_add3_u32 v5, v5, v9, v8
	v_lshlrev_b64 v[7:8], 3, v[6:7]
	s_delay_alu instid0(VALU_DEP_2) | instskip(NEXT) | instid1(VALU_DEP_2)
	v_lshlrev_b64 v[4:5], 3, v[4:5]
	v_add_co_u32 v7, vcc_lo, s6, v7
	s_delay_alu instid0(VALU_DEP_3) | instskip(NEXT) | instid1(VALU_DEP_3)
	v_add_co_ci_u32_e32 v8, vcc_lo, s7, v8, vcc_lo
	v_add_co_u32 v9, vcc_lo, s6, v4
	s_delay_alu instid0(VALU_DEP_4)
	v_add_co_ci_u32_e32 v10, vcc_lo, s7, v5, vcc_lo
	v_cmpx_gt_i32_e64 s11, v3
	s_cbranch_execz .LBB28_55
; %bb.45:
	s_and_saveexec_b32 s5, s1
	s_delay_alu instid0(SALU_CYCLE_1)
	s_xor_b32 s5, exec_lo, s5
	s_cbranch_execz .LBB28_50
; %bb.46:
	v_ashrrev_i32_e32 v4, 31, v3
	s_and_b32 vcc_lo, exec_lo, s0
	s_mov_b32 s6, -1
	s_cbranch_vccz .LBB28_48
; %bb.47:
	s_delay_alu instid0(VALU_DEP_1) | instskip(SKIP_3) | instid1(VALU_DEP_2)
	v_lshlrev_b64 v[5:6], 3, v[3:4]
	v_mul_f32_e64 v13, v1, -v15
	v_mul_f32_e32 v21, v1, v14
	s_mov_b32 s6, 0
	v_fmac_f32_e32 v13, v14, v19
	s_delay_alu instid0(VALU_DEP_4)
	v_add_co_u32 v5, vcc_lo, v9, v5
	v_add_co_ci_u32_e32 v6, vcc_lo, v10, v6, vcc_lo
	v_fmac_f32_e32 v21, v15, v19
	global_load_b64 v[11:12], v[5:6], off
	s_waitcnt vmcnt(0)
	v_fmac_f32_e32 v13, v16, v11
	v_fmac_f32_e32 v21, v17, v11
	s_delay_alu instid0(VALU_DEP_2) | instskip(NEXT) | instid1(VALU_DEP_2)
	v_fma_f32 v20, -v17, v12, v13
	v_fmac_f32_e32 v21, v16, v12
	global_store_b64 v[5:6], v[20:21], off
.LBB28_48:
	s_and_not1_b32 vcc_lo, exec_lo, s6
	s_cbranch_vccnz .LBB28_50
; %bb.49:
	v_mul_lo_u32 v6, v4, s2
	v_mul_lo_u32 v11, v3, s3
	v_mad_u64_u32 v[4:5], null, v3, s2, 0
	s_delay_alu instid0(VALU_DEP_1) | instskip(SKIP_2) | instid1(VALU_DEP_3)
	v_add3_u32 v5, v5, v11, v6
	v_mul_f32_e64 v11, v1, -v15
	v_mul_f32_e32 v12, v1, v14
                                        ; implicit-def: $vgpr1
	v_lshlrev_b64 v[3:4], 3, v[4:5]
	s_delay_alu instid0(VALU_DEP_3) | instskip(NEXT) | instid1(VALU_DEP_2)
	v_fmac_f32_e32 v11, v14, v19
	v_add_co_u32 v3, vcc_lo, v7, v3
	s_delay_alu instid0(VALU_DEP_3) | instskip(SKIP_4) | instid1(VALU_DEP_2)
	v_add_co_ci_u32_e32 v4, vcc_lo, v8, v4, vcc_lo
	global_load_b64 v[5:6], v[3:4], off
	v_fmac_f32_e32 v12, v15, v19
                                        ; implicit-def: $vgpr19
	s_waitcnt vmcnt(0)
	v_fmac_f32_e32 v11, v16, v5
	v_fmac_f32_e32 v12, v17, v5
	s_delay_alu instid0(VALU_DEP_2) | instskip(NEXT) | instid1(VALU_DEP_2)
	v_fma_f32 v11, -v17, v6, v11
	v_fmac_f32_e32 v12, v16, v6
	global_store_b64 v[3:4], v[11:12], off
                                        ; implicit-def: $vgpr3
.LBB28_50:
	s_and_not1_saveexec_b32 s5, s5
	s_cbranch_execz .LBB28_55
; %bb.51:
	v_mul_f32_e64 v5, v1, -v15
	v_mul_f32_e32 v6, v1, v14
	v_ashrrev_i32_e32 v4, 31, v3
	s_and_b32 vcc_lo, exec_lo, s0
	s_mov_b32 s5, -1
	v_fmac_f32_e32 v5, v14, v19
	v_fmac_f32_e32 v6, v15, v19
	s_cbranch_vccz .LBB28_53
; %bb.52:
	v_lshlrev_b64 v[11:12], 3, v[3:4]
	s_mov_b32 s5, 0
	s_delay_alu instid0(VALU_DEP_1) | instskip(NEXT) | instid1(VALU_DEP_2)
	v_add_co_u32 v11, vcc_lo, v9, v11
	v_add_co_ci_u32_e32 v12, vcc_lo, v10, v12, vcc_lo
	global_store_b64 v[11:12], v[5:6], off
.LBB28_53:
	s_and_not1_b32 vcc_lo, exec_lo, s5
	s_cbranch_vccnz .LBB28_55
; %bb.54:
	v_mul_lo_u32 v1, v4, s2
	v_mul_lo_u32 v4, v3, s3
	v_mad_u64_u32 v[11:12], null, v3, s2, 0
	s_delay_alu instid0(VALU_DEP_1) | instskip(NEXT) | instid1(VALU_DEP_1)
	v_add3_u32 v12, v12, v4, v1
	v_lshlrev_b64 v[3:4], 3, v[11:12]
	s_delay_alu instid0(VALU_DEP_1) | instskip(NEXT) | instid1(VALU_DEP_2)
	v_add_co_u32 v3, vcc_lo, v7, v3
	v_add_co_ci_u32_e32 v4, vcc_lo, v8, v4, vcc_lo
	global_store_b64 v[3:4], v[5:6], off
.LBB28_55:
	s_or_b32 exec_lo, exec_lo, s4
	v_cmp_gt_i32_e32 vcc_lo, s11, v0
	s_and_b32 exec_lo, exec_lo, vcc_lo
	s_cbranch_execz .LBB28_66
; %bb.56:
	s_and_saveexec_b32 s4, s1
	s_delay_alu instid0(SALU_CYCLE_1)
	s_xor_b32 s1, exec_lo, s4
	s_cbranch_execz .LBB28_61
; %bb.57:
	v_ashrrev_i32_e32 v1, 31, v0
	s_and_not1_b32 vcc_lo, exec_lo, s0
	s_mov_b32 s4, -1
	s_cbranch_vccnz .LBB28_59
; %bb.58:
	s_delay_alu instid0(VALU_DEP_1) | instskip(SKIP_1) | instid1(VALU_DEP_1)
	v_lshlrev_b64 v[3:4], 3, v[0:1]
	s_mov_b32 s4, 0
	v_add_co_u32 v3, vcc_lo, v9, v3
	s_delay_alu instid0(VALU_DEP_2) | instskip(SKIP_4) | instid1(VALU_DEP_1)
	v_add_co_ci_u32_e32 v4, vcc_lo, v10, v4, vcc_lo
	v_mul_f32_e64 v9, v2, -v15
	global_load_b64 v[5:6], v[3:4], off
	v_fmac_f32_e32 v9, v14, v18
	s_waitcnt vmcnt(0)
	v_dual_mul_f32 v10, v2, v14 :: v_dual_fmac_f32 v9, v16, v5
	s_delay_alu instid0(VALU_DEP_1) | instskip(NEXT) | instid1(VALU_DEP_2)
	v_fmac_f32_e32 v10, v15, v18
	v_fma_f32 v9, -v17, v6, v9
	s_delay_alu instid0(VALU_DEP_2) | instskip(NEXT) | instid1(VALU_DEP_1)
	v_fmac_f32_e32 v10, v17, v5
	v_fmac_f32_e32 v10, v16, v6
	global_store_b64 v[3:4], v[9:10], off
.LBB28_59:
	s_and_not1_b32 vcc_lo, exec_lo, s4
                                        ; implicit-def: $vgpr9
                                        ; implicit-def: $vgpr10
	s_cbranch_vccnz .LBB28_61
; %bb.60:
	v_mul_lo_u32 v1, v1, s2
	v_mul_lo_u32 v5, v0, s3
	v_mad_u64_u32 v[3:4], null, v0, s2, 0
                                        ; implicit-def: $vgpr9
                                        ; implicit-def: $vgpr10
	s_delay_alu instid0(VALU_DEP_1) | instskip(SKIP_1) | instid1(VALU_DEP_2)
	v_add3_u32 v4, v4, v5, v1
	v_mul_f32_e64 v5, v2, -v15
	v_lshlrev_b64 v[0:1], 3, v[3:4]
	s_delay_alu instid0(VALU_DEP_1) | instskip(NEXT) | instid1(VALU_DEP_2)
	v_add_co_u32 v0, vcc_lo, v7, v0
	v_add_co_ci_u32_e32 v1, vcc_lo, v8, v1, vcc_lo
                                        ; implicit-def: $vgpr7
                                        ; implicit-def: $vgpr8
	global_load_b64 v[3:4], v[0:1], off
	v_fmac_f32_e32 v5, v14, v18
	v_mul_f32_e32 v6, v2, v14
                                        ; implicit-def: $vgpr14
                                        ; implicit-def: $vgpr2
	s_waitcnt vmcnt(0)
	s_delay_alu instid0(VALU_DEP_1) | instskip(NEXT) | instid1(VALU_DEP_1)
	v_dual_fmac_f32 v5, v16, v3 :: v_dual_fmac_f32 v6, v15, v18
                                        ; implicit-def: $vgpr15
                                        ; implicit-def: $vgpr18
	v_fma_f32 v5, -v17, v4, v5
	s_delay_alu instid0(VALU_DEP_2) | instskip(NEXT) | instid1(VALU_DEP_1)
	v_fmac_f32_e32 v6, v17, v3
	v_fmac_f32_e32 v6, v16, v4
	global_store_b64 v[0:1], v[5:6], off
                                        ; implicit-def: $vgpr0
.LBB28_61:
	s_and_not1_saveexec_b32 s1, s1
	s_cbranch_execz .LBB28_66
; %bb.62:
	v_mul_f32_e64 v3, v2, -v15
	v_mul_f32_e32 v4, v2, v14
	v_ashrrev_i32_e32 v1, 31, v0
	s_and_not1_b32 vcc_lo, exec_lo, s0
	s_mov_b32 s0, -1
	v_fmac_f32_e32 v3, v14, v18
	v_fmac_f32_e32 v4, v15, v18
	s_cbranch_vccnz .LBB28_64
; %bb.63:
	v_lshlrev_b64 v[5:6], 3, v[0:1]
	s_mov_b32 s0, 0
	s_delay_alu instid0(VALU_DEP_1) | instskip(NEXT) | instid1(VALU_DEP_2)
	v_add_co_u32 v5, vcc_lo, v9, v5
	v_add_co_ci_u32_e32 v6, vcc_lo, v10, v6, vcc_lo
	global_store_b64 v[5:6], v[3:4], off
.LBB28_64:
	s_and_not1_b32 vcc_lo, exec_lo, s0
	s_cbranch_vccnz .LBB28_66
; %bb.65:
	v_mul_lo_u32 v5, v1, s2
	v_mul_lo_u32 v6, v0, s3
	v_mad_u64_u32 v[1:2], null, v0, s2, 0
	s_delay_alu instid0(VALU_DEP_1) | instskip(NEXT) | instid1(VALU_DEP_1)
	v_add3_u32 v2, v2, v6, v5
	v_lshlrev_b64 v[0:1], 3, v[1:2]
	s_delay_alu instid0(VALU_DEP_1) | instskip(NEXT) | instid1(VALU_DEP_2)
	v_add_co_u32 v0, vcc_lo, v7, v0
	v_add_co_ci_u32_e32 v1, vcc_lo, v8, v1, vcc_lo
	global_store_b64 v[0:1], v[3:4], off
.LBB28_66:
	s_nop 0
	s_sendmsg sendmsg(MSG_DEALLOC_VGPRS)
	s_endpgm
	.section	.rodata,"a",@progbits
	.p2align	6, 0x0
	.amdhsa_kernel _ZN9rocsparseL31bsrmm_large_blockdim_kernel_extILj8ELj8ELj2Eli21rocsparse_complex_numIfES2_S2_S2_EEvb20rocsparse_direction_T3_S4_llNS_24const_host_device_scalarIT7_EEPKT2_PKS4_PKT4_S4_PKT5_llS7_PT6_ll16rocsparse_order_21rocsparse_index_base_b
		.amdhsa_group_segment_fixed_size 1536
		.amdhsa_private_segment_fixed_size 0
		.amdhsa_kernarg_size 140
		.amdhsa_user_sgpr_count 14
		.amdhsa_user_sgpr_dispatch_ptr 0
		.amdhsa_user_sgpr_queue_ptr 0
		.amdhsa_user_sgpr_kernarg_segment_ptr 1
		.amdhsa_user_sgpr_dispatch_id 0
		.amdhsa_user_sgpr_private_segment_size 0
		.amdhsa_wavefront_size32 1
		.amdhsa_uses_dynamic_stack 0
		.amdhsa_enable_private_segment 0
		.amdhsa_system_sgpr_workgroup_id_x 1
		.amdhsa_system_sgpr_workgroup_id_y 1
		.amdhsa_system_sgpr_workgroup_id_z 0
		.amdhsa_system_sgpr_workgroup_info 0
		.amdhsa_system_vgpr_workitem_id 1
		.amdhsa_next_free_vgpr 44
		.amdhsa_next_free_sgpr 36
		.amdhsa_reserve_vcc 1
		.amdhsa_float_round_mode_32 0
		.amdhsa_float_round_mode_16_64 0
		.amdhsa_float_denorm_mode_32 3
		.amdhsa_float_denorm_mode_16_64 3
		.amdhsa_dx10_clamp 1
		.amdhsa_ieee_mode 1
		.amdhsa_fp16_overflow 0
		.amdhsa_workgroup_processor_mode 1
		.amdhsa_memory_ordered 1
		.amdhsa_forward_progress 0
		.amdhsa_shared_vgpr_count 0
		.amdhsa_exception_fp_ieee_invalid_op 0
		.amdhsa_exception_fp_denorm_src 0
		.amdhsa_exception_fp_ieee_div_zero 0
		.amdhsa_exception_fp_ieee_overflow 0
		.amdhsa_exception_fp_ieee_underflow 0
		.amdhsa_exception_fp_ieee_inexact 0
		.amdhsa_exception_int_div_zero 0
	.end_amdhsa_kernel
	.section	.text._ZN9rocsparseL31bsrmm_large_blockdim_kernel_extILj8ELj8ELj2Eli21rocsparse_complex_numIfES2_S2_S2_EEvb20rocsparse_direction_T3_S4_llNS_24const_host_device_scalarIT7_EEPKT2_PKS4_PKT4_S4_PKT5_llS7_PT6_ll16rocsparse_order_21rocsparse_index_base_b,"axG",@progbits,_ZN9rocsparseL31bsrmm_large_blockdim_kernel_extILj8ELj8ELj2Eli21rocsparse_complex_numIfES2_S2_S2_EEvb20rocsparse_direction_T3_S4_llNS_24const_host_device_scalarIT7_EEPKT2_PKS4_PKT4_S4_PKT5_llS7_PT6_ll16rocsparse_order_21rocsparse_index_base_b,comdat
.Lfunc_end28:
	.size	_ZN9rocsparseL31bsrmm_large_blockdim_kernel_extILj8ELj8ELj2Eli21rocsparse_complex_numIfES2_S2_S2_EEvb20rocsparse_direction_T3_S4_llNS_24const_host_device_scalarIT7_EEPKT2_PKS4_PKT4_S4_PKT5_llS7_PT6_ll16rocsparse_order_21rocsparse_index_base_b, .Lfunc_end28-_ZN9rocsparseL31bsrmm_large_blockdim_kernel_extILj8ELj8ELj2Eli21rocsparse_complex_numIfES2_S2_S2_EEvb20rocsparse_direction_T3_S4_llNS_24const_host_device_scalarIT7_EEPKT2_PKS4_PKT4_S4_PKT5_llS7_PT6_ll16rocsparse_order_21rocsparse_index_base_b
                                        ; -- End function
	.section	.AMDGPU.csdata,"",@progbits
; Kernel info:
; codeLenInByte = 3308
; NumSgprs: 38
; NumVgprs: 44
; ScratchSize: 0
; MemoryBound: 0
; FloatMode: 240
; IeeeMode: 1
; LDSByteSize: 1536 bytes/workgroup (compile time only)
; SGPRBlocks: 4
; VGPRBlocks: 5
; NumSGPRsForWavesPerEU: 38
; NumVGPRsForWavesPerEU: 44
; Occupancy: 16
; WaveLimiterHint : 1
; COMPUTE_PGM_RSRC2:SCRATCH_EN: 0
; COMPUTE_PGM_RSRC2:USER_SGPR: 14
; COMPUTE_PGM_RSRC2:TRAP_HANDLER: 0
; COMPUTE_PGM_RSRC2:TGID_X_EN: 1
; COMPUTE_PGM_RSRC2:TGID_Y_EN: 1
; COMPUTE_PGM_RSRC2:TGID_Z_EN: 0
; COMPUTE_PGM_RSRC2:TIDIG_COMP_CNT: 1
	.section	.text._ZN9rocsparseL31bsrmm_large_blockdim_kernel_extILj4ELj16ELj2Eli21rocsparse_complex_numIfES2_S2_S2_EEvb20rocsparse_direction_T3_S4_llNS_24const_host_device_scalarIT7_EEPKT2_PKS4_PKT4_S4_PKT5_llS7_PT6_ll16rocsparse_order_21rocsparse_index_base_b,"axG",@progbits,_ZN9rocsparseL31bsrmm_large_blockdim_kernel_extILj4ELj16ELj2Eli21rocsparse_complex_numIfES2_S2_S2_EEvb20rocsparse_direction_T3_S4_llNS_24const_host_device_scalarIT7_EEPKT2_PKS4_PKT4_S4_PKT5_llS7_PT6_ll16rocsparse_order_21rocsparse_index_base_b,comdat
	.globl	_ZN9rocsparseL31bsrmm_large_blockdim_kernel_extILj4ELj16ELj2Eli21rocsparse_complex_numIfES2_S2_S2_EEvb20rocsparse_direction_T3_S4_llNS_24const_host_device_scalarIT7_EEPKT2_PKS4_PKT4_S4_PKT5_llS7_PT6_ll16rocsparse_order_21rocsparse_index_base_b ; -- Begin function _ZN9rocsparseL31bsrmm_large_blockdim_kernel_extILj4ELj16ELj2Eli21rocsparse_complex_numIfES2_S2_S2_EEvb20rocsparse_direction_T3_S4_llNS_24const_host_device_scalarIT7_EEPKT2_PKS4_PKT4_S4_PKT5_llS7_PT6_ll16rocsparse_order_21rocsparse_index_base_b
	.p2align	8
	.type	_ZN9rocsparseL31bsrmm_large_blockdim_kernel_extILj4ELj16ELj2Eli21rocsparse_complex_numIfES2_S2_S2_EEvb20rocsparse_direction_T3_S4_llNS_24const_host_device_scalarIT7_EEPKT2_PKS4_PKT4_S4_PKT5_llS7_PT6_ll16rocsparse_order_21rocsparse_index_base_b,@function
_ZN9rocsparseL31bsrmm_large_blockdim_kernel_extILj4ELj16ELj2Eli21rocsparse_complex_numIfES2_S2_S2_EEvb20rocsparse_direction_T3_S4_llNS_24const_host_device_scalarIT7_EEPKT2_PKS4_PKT4_S4_PKT5_llS7_PT6_ll16rocsparse_order_21rocsparse_index_base_b: ; @_ZN9rocsparseL31bsrmm_large_blockdim_kernel_extILj4ELj16ELj2Eli21rocsparse_complex_numIfES2_S2_S2_EEvb20rocsparse_direction_T3_S4_llNS_24const_host_device_scalarIT7_EEPKT2_PKS4_PKT4_S4_PKT5_llS7_PT6_ll16rocsparse_order_21rocsparse_index_base_b
; %bb.0:
	s_clause 0x2
	s_load_b128 s[16:19], s[0:1], 0x80
	s_load_b64 s[6:7], s[0:1], 0x20
	s_load_b64 s[4:5], s[0:1], 0x60
	s_mov_b32 s2, s15
	s_waitcnt lgkmcnt(0)
	s_bitcmp1_b32 s18, 0
	v_mov_b32_e32 v14, s6
	s_cselect_b32 s3, -1, 0
	s_delay_alu instid0(SALU_CYCLE_1)
	s_and_b32 vcc_lo, exec_lo, s3
	s_xor_b32 s3, s3, -1
	s_cbranch_vccz .LBB29_40
; %bb.1:
	v_cndmask_b32_e64 v1, 0, 1, s3
	v_mov_b32_e32 v15, s7
	s_and_not1_b32 vcc_lo, exec_lo, s3
	s_cbranch_vccz .LBB29_41
.LBB29_2:
	s_delay_alu instid0(VALU_DEP_2)
	v_cmp_ne_u32_e32 vcc_lo, 1, v1
	v_mov_b32_e32 v16, s4
	s_cbranch_vccz .LBB29_42
.LBB29_3:
	v_cmp_ne_u32_e32 vcc_lo, 1, v1
	v_mov_b32_e32 v17, s5
	s_cbranch_vccnz .LBB29_5
.LBB29_4:
	v_dual_mov_b32 v1, s4 :: v_dual_mov_b32 v2, s5
	flat_load_b32 v17, v[1:2] offset:4
.LBB29_5:
	s_waitcnt vmcnt(0) lgkmcnt(0)
	v_cmp_eq_f32_e32 vcc_lo, 0, v14
	v_cmp_eq_f32_e64 s3, 0, v15
	s_delay_alu instid0(VALU_DEP_1)
	s_and_b32 s5, vcc_lo, s3
	s_mov_b32 s3, -1
	s_and_saveexec_b32 s4, s5
; %bb.6:
	v_cmp_neq_f32_e32 vcc_lo, 1.0, v16
	v_cmp_neq_f32_e64 s3, 0, v17
	s_delay_alu instid0(VALU_DEP_1) | instskip(NEXT) | instid1(SALU_CYCLE_1)
	s_or_b32 s3, vcc_lo, s3
	s_or_not1_b32 s3, s3, exec_lo
; %bb.7:
	s_or_b32 exec_lo, exec_lo, s4
	s_and_saveexec_b32 s4, s3
	s_cbranch_execz .LBB29_66
; %bb.8:
	s_clause 0x1
	s_load_b128 s[8:11], s[0:1], 0x0
	s_load_b64 s[4:5], s[0:1], 0x28
	s_mov_b64 s[12:13], 0
	s_mov_b64 s[18:19], 0
	s_waitcnt lgkmcnt(0)
	s_cmp_lt_i32 s14, s10
	s_cselect_b32 s28, -1, 0
	s_cmp_ge_i32 s14, s10
	s_cbranch_scc1 .LBB29_10
; %bb.9:
	s_ashr_i32 s15, s14, 31
	s_delay_alu instid0(SALU_CYCLE_1) | instskip(NEXT) | instid1(SALU_CYCLE_1)
	s_lshl_b64 s[6:7], s[14:15], 3
	s_add_u32 s6, s4, s6
	s_addc_u32 s7, s5, s7
	s_load_b64 s[6:7], s[6:7], 0x0
	s_waitcnt lgkmcnt(0)
	s_sub_u32 s18, s6, s17
	s_subb_u32 s19, s7, 0
.LBB29_10:
	s_and_not1_b32 vcc_lo, exec_lo, s28
	s_cbranch_vccnz .LBB29_12
; %bb.11:
	s_ashr_i32 s15, s14, 31
	s_delay_alu instid0(SALU_CYCLE_1) | instskip(NEXT) | instid1(SALU_CYCLE_1)
	s_lshl_b64 s[6:7], s[14:15], 3
	s_add_u32 s4, s4, s6
	s_addc_u32 s5, s5, s7
	s_load_b64 s[4:5], s[4:5], 0x8
	s_waitcnt lgkmcnt(0)
	s_sub_u32 s12, s4, s17
	s_subb_u32 s13, s5, 0
.LBB29_12:
	s_clause 0x1
	s_load_b32 s10, s[0:1], 0x40
	s_load_b64 s[6:7], s[0:1], 0x68
	v_bfe_u32 v6, v0, 10, 10
	v_dual_mov_b32 v18, 0 :: v_dual_and_b32 v5, 0x3ff, v0
	v_dual_mov_b32 v1, 0 :: v_dual_mov_b32 v2, 0
	s_delay_alu instid0(VALU_DEP_3) | instskip(SKIP_1) | instid1(VALU_DEP_2)
	v_lshl_add_u32 v3, s2, 5, v6
	v_cmp_ge_i64_e64 s2, s[18:19], s[12:13]
	v_dual_mov_b32 v19, 0 :: v_dual_add_nc_u32 v0, 16, v3
	v_cmp_gt_i32_e64 s3, s11, v3
	s_delay_alu instid0(VALU_DEP_3) | instskip(NEXT) | instid1(VALU_DEP_2)
	s_and_b32 vcc_lo, exec_lo, s2
	v_cmp_gt_i32_e64 s4, s11, v0
	s_waitcnt lgkmcnt(0)
	v_cmp_gt_i32_e64 s2, s10, v5
	s_cbranch_vccnz .LBB29_43
; %bb.13:
	s_clause 0x1
	s_load_b128 s[20:23], s[0:1], 0x30
	s_load_b128 s[24:27], s[0:1], 0x48
	v_mul_lo_u32 v1, v6, s10
	v_dual_mov_b32 v2, 0 :: v_dual_lshlrev_b32 v9, 2, v6
	v_cmp_gt_i32_e32 vcc_lo, s10, v6
	v_lshlrev_b32_e32 v10, 3, v5
	v_ashrrev_i32_e32 v4, 31, v3
	v_lshl_add_u32 v12, v5, 2, v6
	v_lshlrev_b32_e32 v22, 3, v6
	v_lshlrev_b64 v[7:8], 3, v[1:2]
	v_mul_lo_u32 v1, v5, s10
	s_and_b32 s15, s2, vcc_lo
	v_lshl_add_u32 v20, v12, 3, 0x400
	s_bitcmp1_b32 s8, 0
	s_cselect_b32 s5, -1, 0
	s_cmp_eq_u32 s9, 0
	s_waitcnt lgkmcnt(0)
	v_add_co_u32 v11, vcc_lo, s22, v7
	v_add_co_ci_u32_e32 v13, vcc_lo, s23, v8, vcc_lo
	v_lshlrev_b64 v[7:8], 3, v[1:2]
	s_delay_alu instid0(VALU_DEP_3) | instskip(SKIP_1) | instid1(VALU_DEP_4)
	v_add_co_u32 v18, vcc_lo, v11, v10
	v_ashrrev_i32_e32 v1, 31, v0
	v_add_co_ci_u32_e32 v13, vcc_lo, 0, v13, vcc_lo
	s_delay_alu instid0(VALU_DEP_4)
	v_add_co_u32 v19, vcc_lo, s22, v7
	v_add_co_ci_u32_e32 v21, vcc_lo, s23, v8, vcc_lo
	v_mul_lo_u32 v23, v3, s27
	v_mul_lo_u32 v24, v4, s26
	v_mad_u64_u32 v[7:8], null, v3, s26, 0
	v_mul_lo_u32 v25, v0, s27
	v_mul_lo_u32 v26, v1, s26
	v_mad_u64_u32 v[10:11], null, v0, s26, 0
	v_add_co_u32 v12, vcc_lo, v19, v22
	v_add_co_ci_u32_e32 v19, vcc_lo, 0, v21, vcc_lo
	s_cselect_b32 vcc_lo, -1, 0
	v_add3_u32 v8, v8, v23, v24
	s_delay_alu instid0(VALU_DEP_4) | instskip(NEXT) | instid1(VALU_DEP_3)
	v_add3_u32 v11, v11, v25, v26
	v_dual_cndmask_b32 v22, v13, v19 :: v_dual_lshlrev_b32 v23, 5, v6
	s_add_i32 s9, s10, -1
	s_and_b32 s8, s10, 7
	s_cmp_gt_u32 s9, 6
	v_add_lshl_u32 v21, v9, v5, 3
	v_cndmask_b32_e32 v24, v18, v12, vcc_lo
	v_lshlrev_b64 v[6:7], 3, v[7:8]
	v_lshlrev_b64 v[8:9], 3, v[3:4]
	;; [unrolled: 1-line block ×4, first 2 shown]
	s_cselect_b32 s9, -1, 0
	s_and_b32 s22, s10, -8
	v_lshl_add_u32 v25, v5, 5, 0x400
	v_add_nc_u32_e32 v26, 0x200, v23
	v_mov_b32_e32 v18, v2
	v_mov_b32_e32 v1, v2
	;; [unrolled: 1-line block ×3, first 2 shown]
	s_cmp_lg_u32 s8, 0
	s_mul_i32 s23, s10, s10
	s_cselect_b32 s29, -1, 0
	s_branch .LBB29_16
.LBB29_14:                              ;   in Loop: Header=BB29_16 Depth=1
	s_or_b32 exec_lo, exec_lo, s31
.LBB29_15:                              ;   in Loop: Header=BB29_16 Depth=1
	s_delay_alu instid0(SALU_CYCLE_1) | instskip(SKIP_2) | instid1(SALU_CYCLE_1)
	s_or_b32 exec_lo, exec_lo, s30
	s_add_u32 s18, s18, 1
	s_addc_u32 s19, s19, 0
	v_cmp_ge_i64_e64 s30, s[18:19], s[12:13]
	s_barrier
	buffer_gl0_inv
	s_and_b32 vcc_lo, exec_lo, s30
	s_cbranch_vccnz .LBB29_43
.LBB29_16:                              ; =>This Loop Header: Depth=1
                                        ;     Child Loop BB29_27 Depth 2
                                        ;     Child Loop BB29_31 Depth 2
	;; [unrolled: 1-line block ×4, first 2 shown]
	s_and_saveexec_b32 s30, s2
	s_cbranch_execz .LBB29_21
; %bb.17:                               ;   in Loop: Header=BB29_16 Depth=1
	s_lshl_b64 s[34:35], s[18:19], 2
	s_delay_alu instid0(SALU_CYCLE_1) | instskip(SKIP_4) | instid1(SALU_CYCLE_1)
	s_add_u32 s34, s20, s34
	s_addc_u32 s35, s21, s35
	s_load_b32 s31, s[34:35], 0x0
	s_waitcnt lgkmcnt(0)
	s_sub_i32 s31, s31, s17
	v_mad_u64_u32 v[27:28], null, s31, s10, v[5:6]
	s_delay_alu instid0(VALU_DEP_1) | instskip(SKIP_2) | instid1(VALU_DEP_3)
	v_ashrrev_i32_e32 v28, 31, v27
	v_mul_lo_u32 v4, v27, s27
	v_mad_u64_u32 v[29:30], null, v27, s26, 0
	v_mul_lo_u32 v31, v28, s26
	s_delay_alu instid0(VALU_DEP_1) | instskip(SKIP_1) | instid1(VALU_DEP_2)
	v_add3_u32 v30, v30, v4, v31
	v_lshlrev_b64 v[31:32], 3, v[27:28]
	v_lshlrev_b64 v[29:30], 3, v[29:30]
	s_delay_alu instid0(VALU_DEP_1) | instskip(NEXT) | instid1(VALU_DEP_2)
	v_add_co_u32 v4, vcc_lo, s24, v29
	v_add_co_ci_u32_e32 v27, vcc_lo, s25, v30, vcc_lo
	s_delay_alu instid0(VALU_DEP_4)
	v_add_co_u32 v28, vcc_lo, s24, v31
	v_add_co_ci_u32_e32 v29, vcc_lo, s25, v32, vcc_lo
	s_and_saveexec_b32 s31, s3
	s_cbranch_execz .LBB29_19
; %bb.18:                               ;   in Loop: Header=BB29_16 Depth=1
	s_delay_alu instid0(VALU_DEP_2) | instskip(NEXT) | instid1(VALU_DEP_2)
	v_add_co_u32 v30, vcc_lo, v28, v6
	v_add_co_ci_u32_e32 v31, vcc_lo, v29, v7, vcc_lo
	v_add_co_u32 v32, vcc_lo, v4, v8
	v_add_co_ci_u32_e32 v33, vcc_lo, v27, v9, vcc_lo
	s_delay_alu instid0(VALU_DEP_2) | instskip(NEXT) | instid1(VALU_DEP_2)
	v_cndmask_b32_e64 v30, v32, v30, s5
	v_cndmask_b32_e64 v31, v33, v31, s5
	global_load_b64 v[30:31], v[30:31], off
	s_waitcnt vmcnt(0)
	ds_store_b64 v21, v[30:31]
.LBB29_19:                              ;   in Loop: Header=BB29_16 Depth=1
	s_or_b32 exec_lo, exec_lo, s31
	s_delay_alu instid0(SALU_CYCLE_1)
	s_and_b32 exec_lo, exec_lo, s4
	s_cbranch_execz .LBB29_21
; %bb.20:                               ;   in Loop: Header=BB29_16 Depth=1
	v_add_co_u32 v30, vcc_lo, v28, v10
	v_add_co_ci_u32_e32 v28, vcc_lo, v29, v11, vcc_lo
	v_add_co_u32 v4, vcc_lo, v4, v12
	v_add_co_ci_u32_e32 v27, vcc_lo, v27, v13, vcc_lo
	s_delay_alu instid0(VALU_DEP_1) | instskip(NEXT) | instid1(VALU_DEP_3)
	v_cndmask_b32_e64 v28, v27, v28, s5
	v_cndmask_b32_e64 v27, v4, v30, s5
	global_load_b64 v[27:28], v[27:28], off
	s_waitcnt vmcnt(0)
	ds_store_b64 v21, v[27:28] offset:512
.LBB29_21:                              ;   in Loop: Header=BB29_16 Depth=1
	s_or_b32 exec_lo, exec_lo, s30
	s_and_saveexec_b32 s30, s15
	s_cbranch_execz .LBB29_23
; %bb.22:                               ;   in Loop: Header=BB29_16 Depth=1
	s_mul_i32 s31, s19, s23
	s_mul_hi_u32 s33, s18, s23
	s_mul_i32 s34, s18, s23
	s_add_i32 s35, s33, s31
	s_delay_alu instid0(SALU_CYCLE_1) | instskip(NEXT) | instid1(SALU_CYCLE_1)
	s_lshl_b64 s[34:35], s[34:35], 3
	v_add_co_u32 v27, vcc_lo, v24, s34
	v_add_co_ci_u32_e32 v28, vcc_lo, s35, v22, vcc_lo
	global_load_b64 v[27:28], v[27:28], off
	s_waitcnt vmcnt(0)
	ds_store_b64 v20, v[27:28]
.LBB29_23:                              ;   in Loop: Header=BB29_16 Depth=1
	s_or_b32 exec_lo, exec_lo, s30
	s_waitcnt lgkmcnt(0)
	s_barrier
	buffer_gl0_inv
	s_and_saveexec_b32 s30, s2
	s_cbranch_execz .LBB29_15
; %bb.24:                               ;   in Loop: Header=BB29_16 Depth=1
	s_and_saveexec_b32 s31, s3
	s_cbranch_execz .LBB29_32
; %bb.25:                               ;   in Loop: Header=BB29_16 Depth=1
	s_and_not1_b32 vcc_lo, exec_lo, s9
	s_cbranch_vccnz .LBB29_29
; %bb.26:                               ;   in Loop: Header=BB29_16 Depth=1
	v_dual_mov_b32 v4, v25 :: v_dual_mov_b32 v27, v23
	s_mov_b32 s33, 0
.LBB29_27:                              ;   Parent Loop BB29_16 Depth=1
                                        ; =>  This Inner Loop Header: Depth=2
	ds_load_b128 v[28:31], v27
	ds_load_b128 v[32:35], v4
	ds_load_b128 v[36:39], v4 offset:16
	ds_load_b128 v[40:43], v27 offset:16
	s_add_i32 s33, s33, 8
	s_delay_alu instid0(SALU_CYCLE_1) | instskip(SKIP_3) | instid1(VALU_DEP_2)
	s_cmp_lg_u32 s22, s33
	s_waitcnt lgkmcnt(2)
	v_fmac_f32_e32 v19, v32, v28
	v_fmac_f32_e32 v1, v33, v28
	v_fma_f32 v19, -v33, v29, v19
	s_delay_alu instid0(VALU_DEP_2) | instskip(NEXT) | instid1(VALU_DEP_2)
	v_fmac_f32_e32 v1, v32, v29
	v_fmac_f32_e32 v19, v34, v30
	s_delay_alu instid0(VALU_DEP_2) | instskip(NEXT) | instid1(VALU_DEP_2)
	v_fmac_f32_e32 v1, v35, v30
	v_fma_f32 v19, -v35, v31, v19
	s_delay_alu instid0(VALU_DEP_2)
	v_fmac_f32_e32 v1, v34, v31
	ds_load_b128 v[28:31], v27 offset:32
	ds_load_b128 v[32:35], v4 offset:32
	s_waitcnt lgkmcnt(2)
	v_fmac_f32_e32 v19, v36, v40
	v_fmac_f32_e32 v1, v37, v40
	s_delay_alu instid0(VALU_DEP_2) | instskip(NEXT) | instid1(VALU_DEP_2)
	v_fma_f32 v19, -v37, v41, v19
	v_fmac_f32_e32 v1, v36, v41
	s_delay_alu instid0(VALU_DEP_2) | instskip(NEXT) | instid1(VALU_DEP_2)
	v_fmac_f32_e32 v19, v38, v42
	v_fmac_f32_e32 v1, v39, v42
	s_delay_alu instid0(VALU_DEP_2) | instskip(NEXT) | instid1(VALU_DEP_2)
	v_fma_f32 v19, -v39, v43, v19
	v_fmac_f32_e32 v1, v38, v43
	ds_load_b128 v[36:39], v4 offset:48
	ds_load_b128 v[40:43], v27 offset:48
	v_add_nc_u32_e32 v4, 64, v4
	v_add_nc_u32_e32 v27, 64, v27
	s_waitcnt lgkmcnt(2)
	v_fmac_f32_e32 v19, v32, v28
	v_fmac_f32_e32 v1, v33, v28
	s_delay_alu instid0(VALU_DEP_2) | instskip(NEXT) | instid1(VALU_DEP_2)
	v_fma_f32 v19, -v33, v29, v19
	v_fmac_f32_e32 v1, v32, v29
	s_delay_alu instid0(VALU_DEP_2) | instskip(NEXT) | instid1(VALU_DEP_2)
	v_fmac_f32_e32 v19, v34, v30
	v_fmac_f32_e32 v1, v35, v30
	s_delay_alu instid0(VALU_DEP_2) | instskip(NEXT) | instid1(VALU_DEP_2)
	v_fma_f32 v19, -v35, v31, v19
	v_fmac_f32_e32 v1, v34, v31
	s_waitcnt lgkmcnt(0)
	s_delay_alu instid0(VALU_DEP_2) | instskip(NEXT) | instid1(VALU_DEP_2)
	v_fmac_f32_e32 v19, v36, v40
	v_fmac_f32_e32 v1, v37, v40
	s_delay_alu instid0(VALU_DEP_2) | instskip(NEXT) | instid1(VALU_DEP_2)
	v_fma_f32 v19, -v37, v41, v19
	v_fmac_f32_e32 v1, v36, v41
	s_delay_alu instid0(VALU_DEP_2) | instskip(NEXT) | instid1(VALU_DEP_2)
	v_fmac_f32_e32 v19, v38, v42
	v_fmac_f32_e32 v1, v39, v42
	s_delay_alu instid0(VALU_DEP_2) | instskip(NEXT) | instid1(VALU_DEP_2)
	v_fma_f32 v19, -v39, v43, v19
	v_fmac_f32_e32 v1, v38, v43
	s_cbranch_scc1 .LBB29_27
; %bb.28:                               ;   in Loop: Header=BB29_16 Depth=1
	s_mov_b32 s33, s22
	s_and_not1_b32 vcc_lo, exec_lo, s29
	s_cbranch_vccz .LBB29_30
	s_branch .LBB29_32
.LBB29_29:                              ;   in Loop: Header=BB29_16 Depth=1
	s_mov_b32 s33, 0
	s_and_not1_b32 vcc_lo, exec_lo, s29
	s_cbranch_vccnz .LBB29_32
.LBB29_30:                              ;   in Loop: Header=BB29_16 Depth=1
	s_lshl_b32 s33, s33, 3
	s_delay_alu instid0(SALU_CYCLE_1)
	v_add_nc_u32_e32 v4, s33, v23
	v_add_nc_u32_e32 v27, s33, v25
	s_mov_b32 s33, s8
.LBB29_31:                              ;   Parent Loop BB29_16 Depth=1
                                        ; =>  This Inner Loop Header: Depth=2
	ds_load_b64 v[28:29], v27
	ds_load_b64 v[30:31], v4
	v_add_nc_u32_e32 v27, 8, v27
	s_add_i32 s33, s33, -1
	v_add_nc_u32_e32 v4, 8, v4
	s_cmp_lg_u32 s33, 0
	s_waitcnt lgkmcnt(0)
	v_fmac_f32_e32 v19, v28, v30
	v_fmac_f32_e32 v1, v29, v30
	s_delay_alu instid0(VALU_DEP_2) | instskip(NEXT) | instid1(VALU_DEP_2)
	v_fma_f32 v19, -v29, v31, v19
	v_fmac_f32_e32 v1, v28, v31
	s_cbranch_scc1 .LBB29_31
.LBB29_32:                              ;   in Loop: Header=BB29_16 Depth=1
	s_or_b32 exec_lo, exec_lo, s31
	s_and_saveexec_b32 s31, s4
	s_cbranch_execz .LBB29_14
; %bb.33:                               ;   in Loop: Header=BB29_16 Depth=1
	s_and_not1_b32 vcc_lo, exec_lo, s9
	s_cbranch_vccnz .LBB29_37
; %bb.34:                               ;   in Loop: Header=BB29_16 Depth=1
	v_dual_mov_b32 v4, v25 :: v_dual_mov_b32 v27, v26
	s_mov_b32 s33, 0
.LBB29_35:                              ;   Parent Loop BB29_16 Depth=1
                                        ; =>  This Inner Loop Header: Depth=2
	ds_load_b128 v[28:31], v27
	ds_load_b128 v[32:35], v4
	ds_load_b128 v[36:39], v4 offset:16
	ds_load_b128 v[40:43], v27 offset:16
	s_add_i32 s33, s33, 8
	s_delay_alu instid0(SALU_CYCLE_1) | instskip(SKIP_3) | instid1(VALU_DEP_2)
	s_cmp_lg_u32 s22, s33
	s_waitcnt lgkmcnt(2)
	v_fmac_f32_e32 v18, v32, v28
	v_fmac_f32_e32 v2, v33, v28
	v_fma_f32 v18, -v33, v29, v18
	s_delay_alu instid0(VALU_DEP_2) | instskip(NEXT) | instid1(VALU_DEP_2)
	v_fmac_f32_e32 v2, v32, v29
	v_fmac_f32_e32 v18, v34, v30
	s_delay_alu instid0(VALU_DEP_2) | instskip(NEXT) | instid1(VALU_DEP_2)
	v_fmac_f32_e32 v2, v35, v30
	v_fma_f32 v18, -v35, v31, v18
	s_delay_alu instid0(VALU_DEP_2)
	v_fmac_f32_e32 v2, v34, v31
	ds_load_b128 v[28:31], v27 offset:32
	ds_load_b128 v[32:35], v4 offset:32
	s_waitcnt lgkmcnt(2)
	v_fmac_f32_e32 v18, v36, v40
	v_fmac_f32_e32 v2, v37, v40
	s_delay_alu instid0(VALU_DEP_2) | instskip(NEXT) | instid1(VALU_DEP_2)
	v_fma_f32 v18, -v37, v41, v18
	v_fmac_f32_e32 v2, v36, v41
	s_delay_alu instid0(VALU_DEP_2) | instskip(NEXT) | instid1(VALU_DEP_2)
	v_fmac_f32_e32 v18, v38, v42
	v_fmac_f32_e32 v2, v39, v42
	s_delay_alu instid0(VALU_DEP_2) | instskip(NEXT) | instid1(VALU_DEP_2)
	v_fma_f32 v18, -v39, v43, v18
	v_fmac_f32_e32 v2, v38, v43
	ds_load_b128 v[36:39], v4 offset:48
	ds_load_b128 v[40:43], v27 offset:48
	v_add_nc_u32_e32 v27, 64, v27
	v_add_nc_u32_e32 v4, 64, v4
	s_waitcnt lgkmcnt(2)
	v_fmac_f32_e32 v18, v32, v28
	v_fmac_f32_e32 v2, v33, v28
	s_delay_alu instid0(VALU_DEP_2) | instskip(NEXT) | instid1(VALU_DEP_2)
	v_fma_f32 v18, -v33, v29, v18
	v_fmac_f32_e32 v2, v32, v29
	s_delay_alu instid0(VALU_DEP_2) | instskip(NEXT) | instid1(VALU_DEP_2)
	v_fmac_f32_e32 v18, v34, v30
	v_fmac_f32_e32 v2, v35, v30
	s_delay_alu instid0(VALU_DEP_2) | instskip(NEXT) | instid1(VALU_DEP_2)
	v_fma_f32 v18, -v35, v31, v18
	v_fmac_f32_e32 v2, v34, v31
	s_waitcnt lgkmcnt(0)
	s_delay_alu instid0(VALU_DEP_2) | instskip(NEXT) | instid1(VALU_DEP_2)
	v_fmac_f32_e32 v18, v36, v40
	v_fmac_f32_e32 v2, v37, v40
	s_delay_alu instid0(VALU_DEP_2) | instskip(NEXT) | instid1(VALU_DEP_2)
	v_fma_f32 v18, -v37, v41, v18
	v_fmac_f32_e32 v2, v36, v41
	s_delay_alu instid0(VALU_DEP_2) | instskip(NEXT) | instid1(VALU_DEP_2)
	v_fmac_f32_e32 v18, v38, v42
	v_fmac_f32_e32 v2, v39, v42
	s_delay_alu instid0(VALU_DEP_2) | instskip(NEXT) | instid1(VALU_DEP_2)
	v_fma_f32 v18, -v39, v43, v18
	v_fmac_f32_e32 v2, v38, v43
	s_cbranch_scc1 .LBB29_35
; %bb.36:                               ;   in Loop: Header=BB29_16 Depth=1
	s_mov_b32 s33, s22
	s_and_not1_b32 vcc_lo, exec_lo, s29
	s_cbranch_vccz .LBB29_38
	s_branch .LBB29_14
.LBB29_37:                              ;   in Loop: Header=BB29_16 Depth=1
	s_mov_b32 s33, 0
	s_and_not1_b32 vcc_lo, exec_lo, s29
	s_cbranch_vccnz .LBB29_14
.LBB29_38:                              ;   in Loop: Header=BB29_16 Depth=1
	s_lshl_b32 s33, s33, 3
	s_delay_alu instid0(SALU_CYCLE_1)
	v_add_nc_u32_e32 v4, s33, v26
	v_add_nc_u32_e32 v27, s33, v25
	s_mov_b32 s33, s8
.LBB29_39:                              ;   Parent Loop BB29_16 Depth=1
                                        ; =>  This Inner Loop Header: Depth=2
	ds_load_b64 v[28:29], v27
	ds_load_b64 v[30:31], v4
	v_add_nc_u32_e32 v4, 8, v4
	s_add_i32 s33, s33, -1
	v_add_nc_u32_e32 v27, 8, v27
	s_cmp_lg_u32 s33, 0
	s_waitcnt lgkmcnt(0)
	v_fmac_f32_e32 v18, v28, v30
	v_fmac_f32_e32 v2, v29, v30
	s_delay_alu instid0(VALU_DEP_2) | instskip(NEXT) | instid1(VALU_DEP_2)
	v_fma_f32 v18, -v29, v31, v18
	v_fmac_f32_e32 v2, v28, v31
	s_cbranch_scc1 .LBB29_39
	s_branch .LBB29_14
.LBB29_40:
	v_dual_mov_b32 v1, s6 :: v_dual_mov_b32 v2, s7
	flat_load_b32 v14, v[1:2]
	v_cndmask_b32_e64 v1, 0, 1, s3
	v_mov_b32_e32 v15, s7
	s_and_not1_b32 vcc_lo, exec_lo, s3
	s_cbranch_vccnz .LBB29_2
.LBB29_41:
	v_dual_mov_b32 v2, s6 :: v_dual_mov_b32 v3, s7
	flat_load_b32 v15, v[2:3] offset:4
	v_cmp_ne_u32_e32 vcc_lo, 1, v1
	v_mov_b32_e32 v16, s4
	s_cbranch_vccnz .LBB29_3
.LBB29_42:
	v_dual_mov_b32 v2, s4 :: v_dual_mov_b32 v3, s5
	flat_load_b32 v16, v[2:3]
	v_cmp_ne_u32_e32 vcc_lo, 1, v1
	v_mov_b32_e32 v17, s5
	s_cbranch_vccz .LBB29_4
	s_branch .LBB29_5
.LBB29_43:
	s_delay_alu instid0(VALU_DEP_1) | instskip(NEXT) | instid1(SALU_CYCLE_1)
	s_and_b32 s2, s28, s2
	s_and_b32 exec_lo, exec_lo, s2
	s_cbranch_execz .LBB29_66
; %bb.44:
	s_load_b64 s[2:3], s[0:1], 0x70
	v_mad_u64_u32 v[6:7], null, s14, s10, v[5:6]
	v_cmp_neq_f32_e32 vcc_lo, 0, v16
	v_cmp_neq_f32_e64 s0, 0, v17
	s_mov_b32 s4, exec_lo
	s_delay_alu instid0(VALU_DEP_1) | instskip(NEXT) | instid1(VALU_DEP_3)
	s_or_b32 s1, vcc_lo, s0
	v_ashrrev_i32_e32 v7, 31, v6
	s_cmp_lg_u32 s16, 1
	s_cselect_b32 s0, -1, 0
	s_waitcnt lgkmcnt(0)
	s_delay_alu instid0(VALU_DEP_1) | instskip(SKIP_2) | instid1(VALU_DEP_1)
	v_mul_lo_u32 v8, v7, s2
	v_mul_lo_u32 v9, v6, s3
	v_mad_u64_u32 v[4:5], null, v6, s2, 0
	v_add3_u32 v5, v5, v9, v8
	v_lshlrev_b64 v[7:8], 3, v[6:7]
	s_delay_alu instid0(VALU_DEP_2) | instskip(NEXT) | instid1(VALU_DEP_2)
	v_lshlrev_b64 v[4:5], 3, v[4:5]
	v_add_co_u32 v7, vcc_lo, s6, v7
	s_delay_alu instid0(VALU_DEP_3) | instskip(NEXT) | instid1(VALU_DEP_3)
	v_add_co_ci_u32_e32 v8, vcc_lo, s7, v8, vcc_lo
	v_add_co_u32 v9, vcc_lo, s6, v4
	s_delay_alu instid0(VALU_DEP_4)
	v_add_co_ci_u32_e32 v10, vcc_lo, s7, v5, vcc_lo
	v_cmpx_gt_i32_e64 s11, v3
	s_cbranch_execz .LBB29_55
; %bb.45:
	s_and_saveexec_b32 s5, s1
	s_delay_alu instid0(SALU_CYCLE_1)
	s_xor_b32 s5, exec_lo, s5
	s_cbranch_execz .LBB29_50
; %bb.46:
	v_ashrrev_i32_e32 v4, 31, v3
	s_and_b32 vcc_lo, exec_lo, s0
	s_mov_b32 s6, -1
	s_cbranch_vccz .LBB29_48
; %bb.47:
	s_delay_alu instid0(VALU_DEP_1) | instskip(SKIP_3) | instid1(VALU_DEP_2)
	v_lshlrev_b64 v[5:6], 3, v[3:4]
	v_mul_f32_e64 v13, v1, -v15
	v_mul_f32_e32 v21, v1, v14
	s_mov_b32 s6, 0
	v_fmac_f32_e32 v13, v14, v19
	s_delay_alu instid0(VALU_DEP_4)
	v_add_co_u32 v5, vcc_lo, v9, v5
	v_add_co_ci_u32_e32 v6, vcc_lo, v10, v6, vcc_lo
	v_fmac_f32_e32 v21, v15, v19
	global_load_b64 v[11:12], v[5:6], off
	s_waitcnt vmcnt(0)
	v_fmac_f32_e32 v13, v16, v11
	v_fmac_f32_e32 v21, v17, v11
	s_delay_alu instid0(VALU_DEP_2) | instskip(NEXT) | instid1(VALU_DEP_2)
	v_fma_f32 v20, -v17, v12, v13
	v_fmac_f32_e32 v21, v16, v12
	global_store_b64 v[5:6], v[20:21], off
.LBB29_48:
	s_and_not1_b32 vcc_lo, exec_lo, s6
	s_cbranch_vccnz .LBB29_50
; %bb.49:
	v_mul_lo_u32 v6, v4, s2
	v_mul_lo_u32 v11, v3, s3
	v_mad_u64_u32 v[4:5], null, v3, s2, 0
	s_delay_alu instid0(VALU_DEP_1) | instskip(SKIP_2) | instid1(VALU_DEP_3)
	v_add3_u32 v5, v5, v11, v6
	v_mul_f32_e64 v11, v1, -v15
	v_mul_f32_e32 v12, v1, v14
                                        ; implicit-def: $vgpr1
	v_lshlrev_b64 v[3:4], 3, v[4:5]
	s_delay_alu instid0(VALU_DEP_3) | instskip(NEXT) | instid1(VALU_DEP_2)
	v_fmac_f32_e32 v11, v14, v19
	v_add_co_u32 v3, vcc_lo, v7, v3
	s_delay_alu instid0(VALU_DEP_3) | instskip(SKIP_4) | instid1(VALU_DEP_2)
	v_add_co_ci_u32_e32 v4, vcc_lo, v8, v4, vcc_lo
	global_load_b64 v[5:6], v[3:4], off
	v_fmac_f32_e32 v12, v15, v19
                                        ; implicit-def: $vgpr19
	s_waitcnt vmcnt(0)
	v_fmac_f32_e32 v11, v16, v5
	v_fmac_f32_e32 v12, v17, v5
	s_delay_alu instid0(VALU_DEP_2) | instskip(NEXT) | instid1(VALU_DEP_2)
	v_fma_f32 v11, -v17, v6, v11
	v_fmac_f32_e32 v12, v16, v6
	global_store_b64 v[3:4], v[11:12], off
                                        ; implicit-def: $vgpr3
.LBB29_50:
	s_and_not1_saveexec_b32 s5, s5
	s_cbranch_execz .LBB29_55
; %bb.51:
	v_mul_f32_e64 v5, v1, -v15
	v_mul_f32_e32 v6, v1, v14
	v_ashrrev_i32_e32 v4, 31, v3
	s_and_b32 vcc_lo, exec_lo, s0
	s_mov_b32 s5, -1
	v_fmac_f32_e32 v5, v14, v19
	v_fmac_f32_e32 v6, v15, v19
	s_cbranch_vccz .LBB29_53
; %bb.52:
	v_lshlrev_b64 v[11:12], 3, v[3:4]
	s_mov_b32 s5, 0
	s_delay_alu instid0(VALU_DEP_1) | instskip(NEXT) | instid1(VALU_DEP_2)
	v_add_co_u32 v11, vcc_lo, v9, v11
	v_add_co_ci_u32_e32 v12, vcc_lo, v10, v12, vcc_lo
	global_store_b64 v[11:12], v[5:6], off
.LBB29_53:
	s_and_not1_b32 vcc_lo, exec_lo, s5
	s_cbranch_vccnz .LBB29_55
; %bb.54:
	v_mul_lo_u32 v1, v4, s2
	v_mul_lo_u32 v4, v3, s3
	v_mad_u64_u32 v[11:12], null, v3, s2, 0
	s_delay_alu instid0(VALU_DEP_1) | instskip(NEXT) | instid1(VALU_DEP_1)
	v_add3_u32 v12, v12, v4, v1
	v_lshlrev_b64 v[3:4], 3, v[11:12]
	s_delay_alu instid0(VALU_DEP_1) | instskip(NEXT) | instid1(VALU_DEP_2)
	v_add_co_u32 v3, vcc_lo, v7, v3
	v_add_co_ci_u32_e32 v4, vcc_lo, v8, v4, vcc_lo
	global_store_b64 v[3:4], v[5:6], off
.LBB29_55:
	s_or_b32 exec_lo, exec_lo, s4
	v_cmp_gt_i32_e32 vcc_lo, s11, v0
	s_and_b32 exec_lo, exec_lo, vcc_lo
	s_cbranch_execz .LBB29_66
; %bb.56:
	s_and_saveexec_b32 s4, s1
	s_delay_alu instid0(SALU_CYCLE_1)
	s_xor_b32 s1, exec_lo, s4
	s_cbranch_execz .LBB29_61
; %bb.57:
	v_ashrrev_i32_e32 v1, 31, v0
	s_and_not1_b32 vcc_lo, exec_lo, s0
	s_mov_b32 s4, -1
	s_cbranch_vccnz .LBB29_59
; %bb.58:
	s_delay_alu instid0(VALU_DEP_1) | instskip(SKIP_1) | instid1(VALU_DEP_1)
	v_lshlrev_b64 v[3:4], 3, v[0:1]
	s_mov_b32 s4, 0
	v_add_co_u32 v3, vcc_lo, v9, v3
	s_delay_alu instid0(VALU_DEP_2) | instskip(SKIP_4) | instid1(VALU_DEP_1)
	v_add_co_ci_u32_e32 v4, vcc_lo, v10, v4, vcc_lo
	v_mul_f32_e64 v9, v2, -v15
	global_load_b64 v[5:6], v[3:4], off
	v_fmac_f32_e32 v9, v14, v18
	s_waitcnt vmcnt(0)
	v_dual_mul_f32 v10, v2, v14 :: v_dual_fmac_f32 v9, v16, v5
	s_delay_alu instid0(VALU_DEP_1) | instskip(NEXT) | instid1(VALU_DEP_2)
	v_fmac_f32_e32 v10, v15, v18
	v_fma_f32 v9, -v17, v6, v9
	s_delay_alu instid0(VALU_DEP_2) | instskip(NEXT) | instid1(VALU_DEP_1)
	v_fmac_f32_e32 v10, v17, v5
	v_fmac_f32_e32 v10, v16, v6
	global_store_b64 v[3:4], v[9:10], off
.LBB29_59:
	s_and_not1_b32 vcc_lo, exec_lo, s4
                                        ; implicit-def: $vgpr9
                                        ; implicit-def: $vgpr10
	s_cbranch_vccnz .LBB29_61
; %bb.60:
	v_mul_lo_u32 v1, v1, s2
	v_mul_lo_u32 v5, v0, s3
	v_mad_u64_u32 v[3:4], null, v0, s2, 0
                                        ; implicit-def: $vgpr9
                                        ; implicit-def: $vgpr10
	s_delay_alu instid0(VALU_DEP_1) | instskip(SKIP_1) | instid1(VALU_DEP_2)
	v_add3_u32 v4, v4, v5, v1
	v_mul_f32_e64 v5, v2, -v15
	v_lshlrev_b64 v[0:1], 3, v[3:4]
	s_delay_alu instid0(VALU_DEP_1) | instskip(NEXT) | instid1(VALU_DEP_2)
	v_add_co_u32 v0, vcc_lo, v7, v0
	v_add_co_ci_u32_e32 v1, vcc_lo, v8, v1, vcc_lo
                                        ; implicit-def: $vgpr7
                                        ; implicit-def: $vgpr8
	global_load_b64 v[3:4], v[0:1], off
	v_fmac_f32_e32 v5, v14, v18
	v_mul_f32_e32 v6, v2, v14
                                        ; implicit-def: $vgpr14
                                        ; implicit-def: $vgpr2
	s_waitcnt vmcnt(0)
	s_delay_alu instid0(VALU_DEP_1) | instskip(NEXT) | instid1(VALU_DEP_1)
	v_dual_fmac_f32 v5, v16, v3 :: v_dual_fmac_f32 v6, v15, v18
                                        ; implicit-def: $vgpr15
                                        ; implicit-def: $vgpr18
	v_fma_f32 v5, -v17, v4, v5
	s_delay_alu instid0(VALU_DEP_2) | instskip(NEXT) | instid1(VALU_DEP_1)
	v_fmac_f32_e32 v6, v17, v3
	v_fmac_f32_e32 v6, v16, v4
	global_store_b64 v[0:1], v[5:6], off
                                        ; implicit-def: $vgpr0
.LBB29_61:
	s_and_not1_saveexec_b32 s1, s1
	s_cbranch_execz .LBB29_66
; %bb.62:
	v_mul_f32_e64 v3, v2, -v15
	v_mul_f32_e32 v4, v2, v14
	v_ashrrev_i32_e32 v1, 31, v0
	s_and_not1_b32 vcc_lo, exec_lo, s0
	s_mov_b32 s0, -1
	v_fmac_f32_e32 v3, v14, v18
	v_fmac_f32_e32 v4, v15, v18
	s_cbranch_vccnz .LBB29_64
; %bb.63:
	v_lshlrev_b64 v[5:6], 3, v[0:1]
	s_mov_b32 s0, 0
	s_delay_alu instid0(VALU_DEP_1) | instskip(NEXT) | instid1(VALU_DEP_2)
	v_add_co_u32 v5, vcc_lo, v9, v5
	v_add_co_ci_u32_e32 v6, vcc_lo, v10, v6, vcc_lo
	global_store_b64 v[5:6], v[3:4], off
.LBB29_64:
	s_and_not1_b32 vcc_lo, exec_lo, s0
	s_cbranch_vccnz .LBB29_66
; %bb.65:
	v_mul_lo_u32 v5, v1, s2
	v_mul_lo_u32 v6, v0, s3
	v_mad_u64_u32 v[1:2], null, v0, s2, 0
	s_delay_alu instid0(VALU_DEP_1) | instskip(NEXT) | instid1(VALU_DEP_1)
	v_add3_u32 v2, v2, v6, v5
	v_lshlrev_b64 v[0:1], 3, v[1:2]
	s_delay_alu instid0(VALU_DEP_1) | instskip(NEXT) | instid1(VALU_DEP_2)
	v_add_co_u32 v0, vcc_lo, v7, v0
	v_add_co_ci_u32_e32 v1, vcc_lo, v8, v1, vcc_lo
	global_store_b64 v[0:1], v[3:4], off
.LBB29_66:
	s_nop 0
	s_sendmsg sendmsg(MSG_DEALLOC_VGPRS)
	s_endpgm
	.section	.rodata,"a",@progbits
	.p2align	6, 0x0
	.amdhsa_kernel _ZN9rocsparseL31bsrmm_large_blockdim_kernel_extILj4ELj16ELj2Eli21rocsparse_complex_numIfES2_S2_S2_EEvb20rocsparse_direction_T3_S4_llNS_24const_host_device_scalarIT7_EEPKT2_PKS4_PKT4_S4_PKT5_llS7_PT6_ll16rocsparse_order_21rocsparse_index_base_b
		.amdhsa_group_segment_fixed_size 1152
		.amdhsa_private_segment_fixed_size 0
		.amdhsa_kernarg_size 140
		.amdhsa_user_sgpr_count 14
		.amdhsa_user_sgpr_dispatch_ptr 0
		.amdhsa_user_sgpr_queue_ptr 0
		.amdhsa_user_sgpr_kernarg_segment_ptr 1
		.amdhsa_user_sgpr_dispatch_id 0
		.amdhsa_user_sgpr_private_segment_size 0
		.amdhsa_wavefront_size32 1
		.amdhsa_uses_dynamic_stack 0
		.amdhsa_enable_private_segment 0
		.amdhsa_system_sgpr_workgroup_id_x 1
		.amdhsa_system_sgpr_workgroup_id_y 1
		.amdhsa_system_sgpr_workgroup_id_z 0
		.amdhsa_system_sgpr_workgroup_info 0
		.amdhsa_system_vgpr_workitem_id 1
		.amdhsa_next_free_vgpr 44
		.amdhsa_next_free_sgpr 36
		.amdhsa_reserve_vcc 1
		.amdhsa_float_round_mode_32 0
		.amdhsa_float_round_mode_16_64 0
		.amdhsa_float_denorm_mode_32 3
		.amdhsa_float_denorm_mode_16_64 3
		.amdhsa_dx10_clamp 1
		.amdhsa_ieee_mode 1
		.amdhsa_fp16_overflow 0
		.amdhsa_workgroup_processor_mode 1
		.amdhsa_memory_ordered 1
		.amdhsa_forward_progress 0
		.amdhsa_shared_vgpr_count 0
		.amdhsa_exception_fp_ieee_invalid_op 0
		.amdhsa_exception_fp_denorm_src 0
		.amdhsa_exception_fp_ieee_div_zero 0
		.amdhsa_exception_fp_ieee_overflow 0
		.amdhsa_exception_fp_ieee_underflow 0
		.amdhsa_exception_fp_ieee_inexact 0
		.amdhsa_exception_int_div_zero 0
	.end_amdhsa_kernel
	.section	.text._ZN9rocsparseL31bsrmm_large_blockdim_kernel_extILj4ELj16ELj2Eli21rocsparse_complex_numIfES2_S2_S2_EEvb20rocsparse_direction_T3_S4_llNS_24const_host_device_scalarIT7_EEPKT2_PKS4_PKT4_S4_PKT5_llS7_PT6_ll16rocsparse_order_21rocsparse_index_base_b,"axG",@progbits,_ZN9rocsparseL31bsrmm_large_blockdim_kernel_extILj4ELj16ELj2Eli21rocsparse_complex_numIfES2_S2_S2_EEvb20rocsparse_direction_T3_S4_llNS_24const_host_device_scalarIT7_EEPKT2_PKS4_PKT4_S4_PKT5_llS7_PT6_ll16rocsparse_order_21rocsparse_index_base_b,comdat
.Lfunc_end29:
	.size	_ZN9rocsparseL31bsrmm_large_blockdim_kernel_extILj4ELj16ELj2Eli21rocsparse_complex_numIfES2_S2_S2_EEvb20rocsparse_direction_T3_S4_llNS_24const_host_device_scalarIT7_EEPKT2_PKS4_PKT4_S4_PKT5_llS7_PT6_ll16rocsparse_order_21rocsparse_index_base_b, .Lfunc_end29-_ZN9rocsparseL31bsrmm_large_blockdim_kernel_extILj4ELj16ELj2Eli21rocsparse_complex_numIfES2_S2_S2_EEvb20rocsparse_direction_T3_S4_llNS_24const_host_device_scalarIT7_EEPKT2_PKS4_PKT4_S4_PKT5_llS7_PT6_ll16rocsparse_order_21rocsparse_index_base_b
                                        ; -- End function
	.section	.AMDGPU.csdata,"",@progbits
; Kernel info:
; codeLenInByte = 3316
; NumSgprs: 38
; NumVgprs: 44
; ScratchSize: 0
; MemoryBound: 0
; FloatMode: 240
; IeeeMode: 1
; LDSByteSize: 1152 bytes/workgroup (compile time only)
; SGPRBlocks: 4
; VGPRBlocks: 5
; NumSGPRsForWavesPerEU: 38
; NumVGPRsForWavesPerEU: 44
; Occupancy: 16
; WaveLimiterHint : 1
; COMPUTE_PGM_RSRC2:SCRATCH_EN: 0
; COMPUTE_PGM_RSRC2:USER_SGPR: 14
; COMPUTE_PGM_RSRC2:TRAP_HANDLER: 0
; COMPUTE_PGM_RSRC2:TGID_X_EN: 1
; COMPUTE_PGM_RSRC2:TGID_Y_EN: 1
; COMPUTE_PGM_RSRC2:TGID_Z_EN: 0
; COMPUTE_PGM_RSRC2:TIDIG_COMP_CNT: 1
	.section	.text._ZN9rocsparseL31bsrmm_large_blockdim_kernel_extILj16ELj16ELj2Eli21rocsparse_complex_numIfES2_S2_S2_EEvb20rocsparse_direction_T3_S4_llNS_24const_host_device_scalarIT7_EEPKT2_PKS4_PKT4_S4_PKT5_llS7_PT6_ll16rocsparse_order_21rocsparse_index_base_b,"axG",@progbits,_ZN9rocsparseL31bsrmm_large_blockdim_kernel_extILj16ELj16ELj2Eli21rocsparse_complex_numIfES2_S2_S2_EEvb20rocsparse_direction_T3_S4_llNS_24const_host_device_scalarIT7_EEPKT2_PKS4_PKT4_S4_PKT5_llS7_PT6_ll16rocsparse_order_21rocsparse_index_base_b,comdat
	.globl	_ZN9rocsparseL31bsrmm_large_blockdim_kernel_extILj16ELj16ELj2Eli21rocsparse_complex_numIfES2_S2_S2_EEvb20rocsparse_direction_T3_S4_llNS_24const_host_device_scalarIT7_EEPKT2_PKS4_PKT4_S4_PKT5_llS7_PT6_ll16rocsparse_order_21rocsparse_index_base_b ; -- Begin function _ZN9rocsparseL31bsrmm_large_blockdim_kernel_extILj16ELj16ELj2Eli21rocsparse_complex_numIfES2_S2_S2_EEvb20rocsparse_direction_T3_S4_llNS_24const_host_device_scalarIT7_EEPKT2_PKS4_PKT4_S4_PKT5_llS7_PT6_ll16rocsparse_order_21rocsparse_index_base_b
	.p2align	8
	.type	_ZN9rocsparseL31bsrmm_large_blockdim_kernel_extILj16ELj16ELj2Eli21rocsparse_complex_numIfES2_S2_S2_EEvb20rocsparse_direction_T3_S4_llNS_24const_host_device_scalarIT7_EEPKT2_PKS4_PKT4_S4_PKT5_llS7_PT6_ll16rocsparse_order_21rocsparse_index_base_b,@function
_ZN9rocsparseL31bsrmm_large_blockdim_kernel_extILj16ELj16ELj2Eli21rocsparse_complex_numIfES2_S2_S2_EEvb20rocsparse_direction_T3_S4_llNS_24const_host_device_scalarIT7_EEPKT2_PKS4_PKT4_S4_PKT5_llS7_PT6_ll16rocsparse_order_21rocsparse_index_base_b: ; @_ZN9rocsparseL31bsrmm_large_blockdim_kernel_extILj16ELj16ELj2Eli21rocsparse_complex_numIfES2_S2_S2_EEvb20rocsparse_direction_T3_S4_llNS_24const_host_device_scalarIT7_EEPKT2_PKS4_PKT4_S4_PKT5_llS7_PT6_ll16rocsparse_order_21rocsparse_index_base_b
; %bb.0:
	s_clause 0x2
	s_load_b128 s[16:19], s[0:1], 0x80
	s_load_b64 s[6:7], s[0:1], 0x20
	s_load_b64 s[4:5], s[0:1], 0x60
	s_mov_b32 s2, s15
	s_waitcnt lgkmcnt(0)
	s_bitcmp1_b32 s18, 0
	v_mov_b32_e32 v14, s6
	s_cselect_b32 s3, -1, 0
	s_delay_alu instid0(SALU_CYCLE_1)
	s_and_b32 vcc_lo, exec_lo, s3
	s_xor_b32 s3, s3, -1
	s_cbranch_vccz .LBB30_40
; %bb.1:
	v_cndmask_b32_e64 v1, 0, 1, s3
	v_mov_b32_e32 v15, s7
	s_and_not1_b32 vcc_lo, exec_lo, s3
	s_cbranch_vccz .LBB30_41
.LBB30_2:
	s_delay_alu instid0(VALU_DEP_2)
	v_cmp_ne_u32_e32 vcc_lo, 1, v1
	v_mov_b32_e32 v16, s4
	s_cbranch_vccz .LBB30_42
.LBB30_3:
	v_cmp_ne_u32_e32 vcc_lo, 1, v1
	v_mov_b32_e32 v17, s5
	s_cbranch_vccnz .LBB30_5
.LBB30_4:
	v_dual_mov_b32 v1, s4 :: v_dual_mov_b32 v2, s5
	flat_load_b32 v17, v[1:2] offset:4
.LBB30_5:
	s_waitcnt vmcnt(0) lgkmcnt(0)
	v_cmp_eq_f32_e32 vcc_lo, 0, v14
	v_cmp_eq_f32_e64 s3, 0, v15
	s_delay_alu instid0(VALU_DEP_1)
	s_and_b32 s5, vcc_lo, s3
	s_mov_b32 s3, -1
	s_and_saveexec_b32 s4, s5
; %bb.6:
	v_cmp_neq_f32_e32 vcc_lo, 1.0, v16
	v_cmp_neq_f32_e64 s3, 0, v17
	s_delay_alu instid0(VALU_DEP_1) | instskip(NEXT) | instid1(SALU_CYCLE_1)
	s_or_b32 s3, vcc_lo, s3
	s_or_not1_b32 s3, s3, exec_lo
; %bb.7:
	s_or_b32 exec_lo, exec_lo, s4
	s_and_saveexec_b32 s4, s3
	s_cbranch_execz .LBB30_66
; %bb.8:
	s_clause 0x1
	s_load_b128 s[8:11], s[0:1], 0x0
	s_load_b64 s[4:5], s[0:1], 0x28
	s_mov_b64 s[12:13], 0
	s_mov_b64 s[18:19], 0
	s_waitcnt lgkmcnt(0)
	s_cmp_lt_i32 s14, s10
	s_cselect_b32 s28, -1, 0
	s_cmp_ge_i32 s14, s10
	s_cbranch_scc1 .LBB30_10
; %bb.9:
	s_ashr_i32 s15, s14, 31
	s_delay_alu instid0(SALU_CYCLE_1) | instskip(NEXT) | instid1(SALU_CYCLE_1)
	s_lshl_b64 s[6:7], s[14:15], 3
	s_add_u32 s6, s4, s6
	s_addc_u32 s7, s5, s7
	s_load_b64 s[6:7], s[6:7], 0x0
	s_waitcnt lgkmcnt(0)
	s_sub_u32 s18, s6, s17
	s_subb_u32 s19, s7, 0
.LBB30_10:
	s_and_not1_b32 vcc_lo, exec_lo, s28
	s_cbranch_vccnz .LBB30_12
; %bb.11:
	s_ashr_i32 s15, s14, 31
	s_delay_alu instid0(SALU_CYCLE_1) | instskip(NEXT) | instid1(SALU_CYCLE_1)
	s_lshl_b64 s[6:7], s[14:15], 3
	s_add_u32 s4, s4, s6
	s_addc_u32 s5, s5, s7
	s_load_b64 s[4:5], s[4:5], 0x8
	s_waitcnt lgkmcnt(0)
	s_sub_u32 s12, s4, s17
	s_subb_u32 s13, s5, 0
.LBB30_12:
	s_clause 0x1
	s_load_b32 s10, s[0:1], 0x40
	s_load_b64 s[6:7], s[0:1], 0x68
	v_bfe_u32 v6, v0, 10, 10
	v_dual_mov_b32 v18, 0 :: v_dual_and_b32 v5, 0x3ff, v0
	v_dual_mov_b32 v1, 0 :: v_dual_mov_b32 v2, 0
	s_delay_alu instid0(VALU_DEP_3) | instskip(SKIP_1) | instid1(VALU_DEP_2)
	v_lshl_add_u32 v3, s2, 5, v6
	v_cmp_ge_i64_e64 s2, s[18:19], s[12:13]
	v_dual_mov_b32 v19, 0 :: v_dual_add_nc_u32 v0, 16, v3
	v_cmp_gt_i32_e64 s3, s11, v3
	s_delay_alu instid0(VALU_DEP_3) | instskip(NEXT) | instid1(VALU_DEP_2)
	s_and_b32 vcc_lo, exec_lo, s2
	v_cmp_gt_i32_e64 s4, s11, v0
	s_waitcnt lgkmcnt(0)
	v_cmp_gt_i32_e64 s2, s10, v5
	s_cbranch_vccnz .LBB30_43
; %bb.13:
	s_clause 0x1
	s_load_b128 s[20:23], s[0:1], 0x30
	s_load_b128 s[24:27], s[0:1], 0x48
	v_mul_lo_u32 v1, v6, s10
	v_dual_mov_b32 v2, 0 :: v_dual_lshlrev_b32 v9, 4, v6
	v_cmp_gt_i32_e32 vcc_lo, s10, v6
	v_lshlrev_b32_e32 v10, 3, v5
	v_ashrrev_i32_e32 v4, 31, v3
	v_lshl_add_u32 v12, v5, 4, v6
	v_lshlrev_b32_e32 v22, 3, v6
	v_lshlrev_b64 v[7:8], 3, v[1:2]
	v_mul_lo_u32 v1, v5, s10
	s_and_b32 s15, s2, vcc_lo
	v_lshl_add_u32 v20, v12, 3, 0x1000
	s_bitcmp1_b32 s8, 0
	s_cselect_b32 s5, -1, 0
	s_cmp_eq_u32 s9, 0
	s_waitcnt lgkmcnt(0)
	v_add_co_u32 v11, vcc_lo, s22, v7
	v_add_co_ci_u32_e32 v13, vcc_lo, s23, v8, vcc_lo
	v_lshlrev_b64 v[7:8], 3, v[1:2]
	s_delay_alu instid0(VALU_DEP_3) | instskip(SKIP_1) | instid1(VALU_DEP_4)
	v_add_co_u32 v18, vcc_lo, v11, v10
	v_ashrrev_i32_e32 v1, 31, v0
	v_add_co_ci_u32_e32 v13, vcc_lo, 0, v13, vcc_lo
	s_delay_alu instid0(VALU_DEP_4)
	v_add_co_u32 v19, vcc_lo, s22, v7
	v_add_co_ci_u32_e32 v21, vcc_lo, s23, v8, vcc_lo
	v_mul_lo_u32 v23, v3, s27
	v_mul_lo_u32 v24, v4, s26
	v_mad_u64_u32 v[7:8], null, v3, s26, 0
	v_mul_lo_u32 v25, v0, s27
	v_mul_lo_u32 v26, v1, s26
	v_mad_u64_u32 v[10:11], null, v0, s26, 0
	v_add_co_u32 v12, vcc_lo, v19, v22
	v_add_co_ci_u32_e32 v19, vcc_lo, 0, v21, vcc_lo
	s_cselect_b32 vcc_lo, -1, 0
	v_add3_u32 v8, v8, v23, v24
	s_delay_alu instid0(VALU_DEP_4) | instskip(NEXT) | instid1(VALU_DEP_3)
	v_add3_u32 v11, v11, v25, v26
	v_dual_cndmask_b32 v22, v13, v19 :: v_dual_lshlrev_b32 v23, 7, v6
	s_add_i32 s9, s10, -1
	s_and_b32 s8, s10, 7
	s_cmp_gt_u32 s9, 6
	v_add_lshl_u32 v21, v9, v5, 3
	v_cndmask_b32_e32 v24, v18, v12, vcc_lo
	v_lshlrev_b64 v[6:7], 3, v[7:8]
	v_lshlrev_b64 v[8:9], 3, v[3:4]
	;; [unrolled: 1-line block ×4, first 2 shown]
	s_cselect_b32 s9, -1, 0
	s_and_b32 s22, s10, -8
	v_lshl_add_u32 v25, v5, 7, 0x1000
	v_add_nc_u32_e32 v26, 0x800, v23
	v_mov_b32_e32 v18, v2
	v_mov_b32_e32 v1, v2
	;; [unrolled: 1-line block ×3, first 2 shown]
	s_cmp_lg_u32 s8, 0
	s_mul_i32 s23, s10, s10
	s_cselect_b32 s29, -1, 0
	s_branch .LBB30_16
.LBB30_14:                              ;   in Loop: Header=BB30_16 Depth=1
	s_or_b32 exec_lo, exec_lo, s31
.LBB30_15:                              ;   in Loop: Header=BB30_16 Depth=1
	s_delay_alu instid0(SALU_CYCLE_1) | instskip(SKIP_2) | instid1(SALU_CYCLE_1)
	s_or_b32 exec_lo, exec_lo, s30
	s_add_u32 s18, s18, 1
	s_addc_u32 s19, s19, 0
	v_cmp_ge_i64_e64 s30, s[18:19], s[12:13]
	s_barrier
	buffer_gl0_inv
	s_and_b32 vcc_lo, exec_lo, s30
	s_cbranch_vccnz .LBB30_43
.LBB30_16:                              ; =>This Loop Header: Depth=1
                                        ;     Child Loop BB30_27 Depth 2
                                        ;     Child Loop BB30_31 Depth 2
	;; [unrolled: 1-line block ×4, first 2 shown]
	s_and_saveexec_b32 s30, s2
	s_cbranch_execz .LBB30_21
; %bb.17:                               ;   in Loop: Header=BB30_16 Depth=1
	s_lshl_b64 s[34:35], s[18:19], 2
	s_delay_alu instid0(SALU_CYCLE_1) | instskip(SKIP_4) | instid1(SALU_CYCLE_1)
	s_add_u32 s34, s20, s34
	s_addc_u32 s35, s21, s35
	s_load_b32 s31, s[34:35], 0x0
	s_waitcnt lgkmcnt(0)
	s_sub_i32 s31, s31, s17
	v_mad_u64_u32 v[27:28], null, s31, s10, v[5:6]
	s_delay_alu instid0(VALU_DEP_1) | instskip(SKIP_2) | instid1(VALU_DEP_3)
	v_ashrrev_i32_e32 v28, 31, v27
	v_mul_lo_u32 v4, v27, s27
	v_mad_u64_u32 v[29:30], null, v27, s26, 0
	v_mul_lo_u32 v31, v28, s26
	s_delay_alu instid0(VALU_DEP_1) | instskip(SKIP_1) | instid1(VALU_DEP_2)
	v_add3_u32 v30, v30, v4, v31
	v_lshlrev_b64 v[31:32], 3, v[27:28]
	v_lshlrev_b64 v[29:30], 3, v[29:30]
	s_delay_alu instid0(VALU_DEP_1) | instskip(NEXT) | instid1(VALU_DEP_2)
	v_add_co_u32 v4, vcc_lo, s24, v29
	v_add_co_ci_u32_e32 v27, vcc_lo, s25, v30, vcc_lo
	s_delay_alu instid0(VALU_DEP_4)
	v_add_co_u32 v28, vcc_lo, s24, v31
	v_add_co_ci_u32_e32 v29, vcc_lo, s25, v32, vcc_lo
	s_and_saveexec_b32 s31, s3
	s_cbranch_execz .LBB30_19
; %bb.18:                               ;   in Loop: Header=BB30_16 Depth=1
	s_delay_alu instid0(VALU_DEP_2) | instskip(NEXT) | instid1(VALU_DEP_2)
	v_add_co_u32 v30, vcc_lo, v28, v6
	v_add_co_ci_u32_e32 v31, vcc_lo, v29, v7, vcc_lo
	v_add_co_u32 v32, vcc_lo, v4, v8
	v_add_co_ci_u32_e32 v33, vcc_lo, v27, v9, vcc_lo
	s_delay_alu instid0(VALU_DEP_2) | instskip(NEXT) | instid1(VALU_DEP_2)
	v_cndmask_b32_e64 v30, v32, v30, s5
	v_cndmask_b32_e64 v31, v33, v31, s5
	global_load_b64 v[30:31], v[30:31], off
	s_waitcnt vmcnt(0)
	ds_store_b64 v21, v[30:31]
.LBB30_19:                              ;   in Loop: Header=BB30_16 Depth=1
	s_or_b32 exec_lo, exec_lo, s31
	s_delay_alu instid0(SALU_CYCLE_1)
	s_and_b32 exec_lo, exec_lo, s4
	s_cbranch_execz .LBB30_21
; %bb.20:                               ;   in Loop: Header=BB30_16 Depth=1
	v_add_co_u32 v30, vcc_lo, v28, v10
	v_add_co_ci_u32_e32 v28, vcc_lo, v29, v11, vcc_lo
	v_add_co_u32 v4, vcc_lo, v4, v12
	v_add_co_ci_u32_e32 v27, vcc_lo, v27, v13, vcc_lo
	s_delay_alu instid0(VALU_DEP_1) | instskip(NEXT) | instid1(VALU_DEP_3)
	v_cndmask_b32_e64 v28, v27, v28, s5
	v_cndmask_b32_e64 v27, v4, v30, s5
	global_load_b64 v[27:28], v[27:28], off
	s_waitcnt vmcnt(0)
	ds_store_b64 v21, v[27:28] offset:2048
.LBB30_21:                              ;   in Loop: Header=BB30_16 Depth=1
	s_or_b32 exec_lo, exec_lo, s30
	s_and_saveexec_b32 s30, s15
	s_cbranch_execz .LBB30_23
; %bb.22:                               ;   in Loop: Header=BB30_16 Depth=1
	s_mul_i32 s31, s19, s23
	s_mul_hi_u32 s33, s18, s23
	s_mul_i32 s34, s18, s23
	s_add_i32 s35, s33, s31
	s_delay_alu instid0(SALU_CYCLE_1) | instskip(NEXT) | instid1(SALU_CYCLE_1)
	s_lshl_b64 s[34:35], s[34:35], 3
	v_add_co_u32 v27, vcc_lo, v24, s34
	v_add_co_ci_u32_e32 v28, vcc_lo, s35, v22, vcc_lo
	global_load_b64 v[27:28], v[27:28], off
	s_waitcnt vmcnt(0)
	ds_store_b64 v20, v[27:28]
.LBB30_23:                              ;   in Loop: Header=BB30_16 Depth=1
	s_or_b32 exec_lo, exec_lo, s30
	s_waitcnt lgkmcnt(0)
	s_barrier
	buffer_gl0_inv
	s_and_saveexec_b32 s30, s2
	s_cbranch_execz .LBB30_15
; %bb.24:                               ;   in Loop: Header=BB30_16 Depth=1
	s_and_saveexec_b32 s31, s3
	s_cbranch_execz .LBB30_32
; %bb.25:                               ;   in Loop: Header=BB30_16 Depth=1
	s_and_not1_b32 vcc_lo, exec_lo, s9
	s_cbranch_vccnz .LBB30_29
; %bb.26:                               ;   in Loop: Header=BB30_16 Depth=1
	v_dual_mov_b32 v4, v25 :: v_dual_mov_b32 v27, v23
	s_mov_b32 s33, 0
.LBB30_27:                              ;   Parent Loop BB30_16 Depth=1
                                        ; =>  This Inner Loop Header: Depth=2
	ds_load_b128 v[28:31], v27
	ds_load_b128 v[32:35], v4
	ds_load_b128 v[36:39], v4 offset:16
	ds_load_b128 v[40:43], v27 offset:16
	s_add_i32 s33, s33, 8
	s_delay_alu instid0(SALU_CYCLE_1) | instskip(SKIP_3) | instid1(VALU_DEP_2)
	s_cmp_lg_u32 s22, s33
	s_waitcnt lgkmcnt(2)
	v_fmac_f32_e32 v19, v32, v28
	v_fmac_f32_e32 v1, v33, v28
	v_fma_f32 v19, -v33, v29, v19
	s_delay_alu instid0(VALU_DEP_2) | instskip(NEXT) | instid1(VALU_DEP_2)
	v_fmac_f32_e32 v1, v32, v29
	v_fmac_f32_e32 v19, v34, v30
	s_delay_alu instid0(VALU_DEP_2) | instskip(NEXT) | instid1(VALU_DEP_2)
	v_fmac_f32_e32 v1, v35, v30
	v_fma_f32 v19, -v35, v31, v19
	s_delay_alu instid0(VALU_DEP_2)
	v_fmac_f32_e32 v1, v34, v31
	ds_load_b128 v[28:31], v27 offset:32
	ds_load_b128 v[32:35], v4 offset:32
	s_waitcnt lgkmcnt(2)
	v_fmac_f32_e32 v19, v36, v40
	v_fmac_f32_e32 v1, v37, v40
	s_delay_alu instid0(VALU_DEP_2) | instskip(NEXT) | instid1(VALU_DEP_2)
	v_fma_f32 v19, -v37, v41, v19
	v_fmac_f32_e32 v1, v36, v41
	s_delay_alu instid0(VALU_DEP_2) | instskip(NEXT) | instid1(VALU_DEP_2)
	v_fmac_f32_e32 v19, v38, v42
	v_fmac_f32_e32 v1, v39, v42
	s_delay_alu instid0(VALU_DEP_2) | instskip(NEXT) | instid1(VALU_DEP_2)
	v_fma_f32 v19, -v39, v43, v19
	v_fmac_f32_e32 v1, v38, v43
	ds_load_b128 v[36:39], v4 offset:48
	ds_load_b128 v[40:43], v27 offset:48
	v_add_nc_u32_e32 v4, 64, v4
	v_add_nc_u32_e32 v27, 64, v27
	s_waitcnt lgkmcnt(2)
	v_fmac_f32_e32 v19, v32, v28
	v_fmac_f32_e32 v1, v33, v28
	s_delay_alu instid0(VALU_DEP_2) | instskip(NEXT) | instid1(VALU_DEP_2)
	v_fma_f32 v19, -v33, v29, v19
	v_fmac_f32_e32 v1, v32, v29
	s_delay_alu instid0(VALU_DEP_2) | instskip(NEXT) | instid1(VALU_DEP_2)
	v_fmac_f32_e32 v19, v34, v30
	v_fmac_f32_e32 v1, v35, v30
	s_delay_alu instid0(VALU_DEP_2) | instskip(NEXT) | instid1(VALU_DEP_2)
	v_fma_f32 v19, -v35, v31, v19
	v_fmac_f32_e32 v1, v34, v31
	s_waitcnt lgkmcnt(0)
	s_delay_alu instid0(VALU_DEP_2) | instskip(NEXT) | instid1(VALU_DEP_2)
	v_fmac_f32_e32 v19, v36, v40
	v_fmac_f32_e32 v1, v37, v40
	s_delay_alu instid0(VALU_DEP_2) | instskip(NEXT) | instid1(VALU_DEP_2)
	v_fma_f32 v19, -v37, v41, v19
	v_fmac_f32_e32 v1, v36, v41
	s_delay_alu instid0(VALU_DEP_2) | instskip(NEXT) | instid1(VALU_DEP_2)
	v_fmac_f32_e32 v19, v38, v42
	v_fmac_f32_e32 v1, v39, v42
	s_delay_alu instid0(VALU_DEP_2) | instskip(NEXT) | instid1(VALU_DEP_2)
	v_fma_f32 v19, -v39, v43, v19
	v_fmac_f32_e32 v1, v38, v43
	s_cbranch_scc1 .LBB30_27
; %bb.28:                               ;   in Loop: Header=BB30_16 Depth=1
	s_mov_b32 s33, s22
	s_and_not1_b32 vcc_lo, exec_lo, s29
	s_cbranch_vccz .LBB30_30
	s_branch .LBB30_32
.LBB30_29:                              ;   in Loop: Header=BB30_16 Depth=1
	s_mov_b32 s33, 0
	s_and_not1_b32 vcc_lo, exec_lo, s29
	s_cbranch_vccnz .LBB30_32
.LBB30_30:                              ;   in Loop: Header=BB30_16 Depth=1
	s_lshl_b32 s33, s33, 3
	s_delay_alu instid0(SALU_CYCLE_1)
	v_add_nc_u32_e32 v4, s33, v23
	v_add_nc_u32_e32 v27, s33, v25
	s_mov_b32 s33, s8
.LBB30_31:                              ;   Parent Loop BB30_16 Depth=1
                                        ; =>  This Inner Loop Header: Depth=2
	ds_load_b64 v[28:29], v27
	ds_load_b64 v[30:31], v4
	v_add_nc_u32_e32 v27, 8, v27
	s_add_i32 s33, s33, -1
	v_add_nc_u32_e32 v4, 8, v4
	s_cmp_lg_u32 s33, 0
	s_waitcnt lgkmcnt(0)
	v_fmac_f32_e32 v19, v28, v30
	v_fmac_f32_e32 v1, v29, v30
	s_delay_alu instid0(VALU_DEP_2) | instskip(NEXT) | instid1(VALU_DEP_2)
	v_fma_f32 v19, -v29, v31, v19
	v_fmac_f32_e32 v1, v28, v31
	s_cbranch_scc1 .LBB30_31
.LBB30_32:                              ;   in Loop: Header=BB30_16 Depth=1
	s_or_b32 exec_lo, exec_lo, s31
	s_and_saveexec_b32 s31, s4
	s_cbranch_execz .LBB30_14
; %bb.33:                               ;   in Loop: Header=BB30_16 Depth=1
	s_and_not1_b32 vcc_lo, exec_lo, s9
	s_cbranch_vccnz .LBB30_37
; %bb.34:                               ;   in Loop: Header=BB30_16 Depth=1
	v_dual_mov_b32 v4, v25 :: v_dual_mov_b32 v27, v26
	s_mov_b32 s33, 0
.LBB30_35:                              ;   Parent Loop BB30_16 Depth=1
                                        ; =>  This Inner Loop Header: Depth=2
	ds_load_b128 v[28:31], v27
	ds_load_b128 v[32:35], v4
	ds_load_b128 v[36:39], v4 offset:16
	ds_load_b128 v[40:43], v27 offset:16
	s_add_i32 s33, s33, 8
	s_delay_alu instid0(SALU_CYCLE_1) | instskip(SKIP_3) | instid1(VALU_DEP_2)
	s_cmp_lg_u32 s22, s33
	s_waitcnt lgkmcnt(2)
	v_fmac_f32_e32 v18, v32, v28
	v_fmac_f32_e32 v2, v33, v28
	v_fma_f32 v18, -v33, v29, v18
	s_delay_alu instid0(VALU_DEP_2) | instskip(NEXT) | instid1(VALU_DEP_2)
	v_fmac_f32_e32 v2, v32, v29
	v_fmac_f32_e32 v18, v34, v30
	s_delay_alu instid0(VALU_DEP_2) | instskip(NEXT) | instid1(VALU_DEP_2)
	v_fmac_f32_e32 v2, v35, v30
	v_fma_f32 v18, -v35, v31, v18
	s_delay_alu instid0(VALU_DEP_2)
	v_fmac_f32_e32 v2, v34, v31
	ds_load_b128 v[28:31], v27 offset:32
	ds_load_b128 v[32:35], v4 offset:32
	s_waitcnt lgkmcnt(2)
	v_fmac_f32_e32 v18, v36, v40
	v_fmac_f32_e32 v2, v37, v40
	s_delay_alu instid0(VALU_DEP_2) | instskip(NEXT) | instid1(VALU_DEP_2)
	v_fma_f32 v18, -v37, v41, v18
	v_fmac_f32_e32 v2, v36, v41
	s_delay_alu instid0(VALU_DEP_2) | instskip(NEXT) | instid1(VALU_DEP_2)
	v_fmac_f32_e32 v18, v38, v42
	v_fmac_f32_e32 v2, v39, v42
	s_delay_alu instid0(VALU_DEP_2) | instskip(NEXT) | instid1(VALU_DEP_2)
	v_fma_f32 v18, -v39, v43, v18
	v_fmac_f32_e32 v2, v38, v43
	ds_load_b128 v[36:39], v4 offset:48
	ds_load_b128 v[40:43], v27 offset:48
	v_add_nc_u32_e32 v27, 64, v27
	v_add_nc_u32_e32 v4, 64, v4
	s_waitcnt lgkmcnt(2)
	v_fmac_f32_e32 v18, v32, v28
	v_fmac_f32_e32 v2, v33, v28
	s_delay_alu instid0(VALU_DEP_2) | instskip(NEXT) | instid1(VALU_DEP_2)
	v_fma_f32 v18, -v33, v29, v18
	v_fmac_f32_e32 v2, v32, v29
	s_delay_alu instid0(VALU_DEP_2) | instskip(NEXT) | instid1(VALU_DEP_2)
	v_fmac_f32_e32 v18, v34, v30
	v_fmac_f32_e32 v2, v35, v30
	s_delay_alu instid0(VALU_DEP_2) | instskip(NEXT) | instid1(VALU_DEP_2)
	v_fma_f32 v18, -v35, v31, v18
	v_fmac_f32_e32 v2, v34, v31
	s_waitcnt lgkmcnt(0)
	s_delay_alu instid0(VALU_DEP_2) | instskip(NEXT) | instid1(VALU_DEP_2)
	v_fmac_f32_e32 v18, v36, v40
	v_fmac_f32_e32 v2, v37, v40
	s_delay_alu instid0(VALU_DEP_2) | instskip(NEXT) | instid1(VALU_DEP_2)
	v_fma_f32 v18, -v37, v41, v18
	v_fmac_f32_e32 v2, v36, v41
	s_delay_alu instid0(VALU_DEP_2) | instskip(NEXT) | instid1(VALU_DEP_2)
	v_fmac_f32_e32 v18, v38, v42
	v_fmac_f32_e32 v2, v39, v42
	s_delay_alu instid0(VALU_DEP_2) | instskip(NEXT) | instid1(VALU_DEP_2)
	v_fma_f32 v18, -v39, v43, v18
	v_fmac_f32_e32 v2, v38, v43
	s_cbranch_scc1 .LBB30_35
; %bb.36:                               ;   in Loop: Header=BB30_16 Depth=1
	s_mov_b32 s33, s22
	s_and_not1_b32 vcc_lo, exec_lo, s29
	s_cbranch_vccz .LBB30_38
	s_branch .LBB30_14
.LBB30_37:                              ;   in Loop: Header=BB30_16 Depth=1
	s_mov_b32 s33, 0
	s_and_not1_b32 vcc_lo, exec_lo, s29
	s_cbranch_vccnz .LBB30_14
.LBB30_38:                              ;   in Loop: Header=BB30_16 Depth=1
	s_lshl_b32 s33, s33, 3
	s_delay_alu instid0(SALU_CYCLE_1)
	v_add_nc_u32_e32 v4, s33, v26
	v_add_nc_u32_e32 v27, s33, v25
	s_mov_b32 s33, s8
.LBB30_39:                              ;   Parent Loop BB30_16 Depth=1
                                        ; =>  This Inner Loop Header: Depth=2
	ds_load_b64 v[28:29], v27
	ds_load_b64 v[30:31], v4
	v_add_nc_u32_e32 v4, 8, v4
	s_add_i32 s33, s33, -1
	v_add_nc_u32_e32 v27, 8, v27
	s_cmp_lg_u32 s33, 0
	s_waitcnt lgkmcnt(0)
	v_fmac_f32_e32 v18, v28, v30
	v_fmac_f32_e32 v2, v29, v30
	s_delay_alu instid0(VALU_DEP_2) | instskip(NEXT) | instid1(VALU_DEP_2)
	v_fma_f32 v18, -v29, v31, v18
	v_fmac_f32_e32 v2, v28, v31
	s_cbranch_scc1 .LBB30_39
	s_branch .LBB30_14
.LBB30_40:
	v_dual_mov_b32 v1, s6 :: v_dual_mov_b32 v2, s7
	flat_load_b32 v14, v[1:2]
	v_cndmask_b32_e64 v1, 0, 1, s3
	v_mov_b32_e32 v15, s7
	s_and_not1_b32 vcc_lo, exec_lo, s3
	s_cbranch_vccnz .LBB30_2
.LBB30_41:
	v_dual_mov_b32 v2, s6 :: v_dual_mov_b32 v3, s7
	flat_load_b32 v15, v[2:3] offset:4
	v_cmp_ne_u32_e32 vcc_lo, 1, v1
	v_mov_b32_e32 v16, s4
	s_cbranch_vccnz .LBB30_3
.LBB30_42:
	v_dual_mov_b32 v2, s4 :: v_dual_mov_b32 v3, s5
	flat_load_b32 v16, v[2:3]
	v_cmp_ne_u32_e32 vcc_lo, 1, v1
	v_mov_b32_e32 v17, s5
	s_cbranch_vccz .LBB30_4
	s_branch .LBB30_5
.LBB30_43:
	s_delay_alu instid0(VALU_DEP_1) | instskip(NEXT) | instid1(SALU_CYCLE_1)
	s_and_b32 s2, s28, s2
	s_and_b32 exec_lo, exec_lo, s2
	s_cbranch_execz .LBB30_66
; %bb.44:
	s_load_b64 s[2:3], s[0:1], 0x70
	v_mad_u64_u32 v[6:7], null, s14, s10, v[5:6]
	v_cmp_neq_f32_e32 vcc_lo, 0, v16
	v_cmp_neq_f32_e64 s0, 0, v17
	s_mov_b32 s4, exec_lo
	s_delay_alu instid0(VALU_DEP_1) | instskip(NEXT) | instid1(VALU_DEP_3)
	s_or_b32 s1, vcc_lo, s0
	v_ashrrev_i32_e32 v7, 31, v6
	s_cmp_lg_u32 s16, 1
	s_cselect_b32 s0, -1, 0
	s_waitcnt lgkmcnt(0)
	s_delay_alu instid0(VALU_DEP_1) | instskip(SKIP_2) | instid1(VALU_DEP_1)
	v_mul_lo_u32 v8, v7, s2
	v_mul_lo_u32 v9, v6, s3
	v_mad_u64_u32 v[4:5], null, v6, s2, 0
	v_add3_u32 v5, v5, v9, v8
	v_lshlrev_b64 v[7:8], 3, v[6:7]
	s_delay_alu instid0(VALU_DEP_2) | instskip(NEXT) | instid1(VALU_DEP_2)
	v_lshlrev_b64 v[4:5], 3, v[4:5]
	v_add_co_u32 v7, vcc_lo, s6, v7
	s_delay_alu instid0(VALU_DEP_3) | instskip(NEXT) | instid1(VALU_DEP_3)
	v_add_co_ci_u32_e32 v8, vcc_lo, s7, v8, vcc_lo
	v_add_co_u32 v9, vcc_lo, s6, v4
	s_delay_alu instid0(VALU_DEP_4)
	v_add_co_ci_u32_e32 v10, vcc_lo, s7, v5, vcc_lo
	v_cmpx_gt_i32_e64 s11, v3
	s_cbranch_execz .LBB30_55
; %bb.45:
	s_and_saveexec_b32 s5, s1
	s_delay_alu instid0(SALU_CYCLE_1)
	s_xor_b32 s5, exec_lo, s5
	s_cbranch_execz .LBB30_50
; %bb.46:
	v_ashrrev_i32_e32 v4, 31, v3
	s_and_b32 vcc_lo, exec_lo, s0
	s_mov_b32 s6, -1
	s_cbranch_vccz .LBB30_48
; %bb.47:
	s_delay_alu instid0(VALU_DEP_1) | instskip(SKIP_3) | instid1(VALU_DEP_2)
	v_lshlrev_b64 v[5:6], 3, v[3:4]
	v_mul_f32_e64 v13, v1, -v15
	v_mul_f32_e32 v21, v1, v14
	s_mov_b32 s6, 0
	v_fmac_f32_e32 v13, v14, v19
	s_delay_alu instid0(VALU_DEP_4)
	v_add_co_u32 v5, vcc_lo, v9, v5
	v_add_co_ci_u32_e32 v6, vcc_lo, v10, v6, vcc_lo
	v_fmac_f32_e32 v21, v15, v19
	global_load_b64 v[11:12], v[5:6], off
	s_waitcnt vmcnt(0)
	v_fmac_f32_e32 v13, v16, v11
	v_fmac_f32_e32 v21, v17, v11
	s_delay_alu instid0(VALU_DEP_2) | instskip(NEXT) | instid1(VALU_DEP_2)
	v_fma_f32 v20, -v17, v12, v13
	v_fmac_f32_e32 v21, v16, v12
	global_store_b64 v[5:6], v[20:21], off
.LBB30_48:
	s_and_not1_b32 vcc_lo, exec_lo, s6
	s_cbranch_vccnz .LBB30_50
; %bb.49:
	v_mul_lo_u32 v6, v4, s2
	v_mul_lo_u32 v11, v3, s3
	v_mad_u64_u32 v[4:5], null, v3, s2, 0
	s_delay_alu instid0(VALU_DEP_1) | instskip(SKIP_2) | instid1(VALU_DEP_3)
	v_add3_u32 v5, v5, v11, v6
	v_mul_f32_e64 v11, v1, -v15
	v_mul_f32_e32 v12, v1, v14
                                        ; implicit-def: $vgpr1
	v_lshlrev_b64 v[3:4], 3, v[4:5]
	s_delay_alu instid0(VALU_DEP_3) | instskip(NEXT) | instid1(VALU_DEP_2)
	v_fmac_f32_e32 v11, v14, v19
	v_add_co_u32 v3, vcc_lo, v7, v3
	s_delay_alu instid0(VALU_DEP_3) | instskip(SKIP_4) | instid1(VALU_DEP_2)
	v_add_co_ci_u32_e32 v4, vcc_lo, v8, v4, vcc_lo
	global_load_b64 v[5:6], v[3:4], off
	v_fmac_f32_e32 v12, v15, v19
                                        ; implicit-def: $vgpr19
	s_waitcnt vmcnt(0)
	v_fmac_f32_e32 v11, v16, v5
	v_fmac_f32_e32 v12, v17, v5
	s_delay_alu instid0(VALU_DEP_2) | instskip(NEXT) | instid1(VALU_DEP_2)
	v_fma_f32 v11, -v17, v6, v11
	v_fmac_f32_e32 v12, v16, v6
	global_store_b64 v[3:4], v[11:12], off
                                        ; implicit-def: $vgpr3
.LBB30_50:
	s_and_not1_saveexec_b32 s5, s5
	s_cbranch_execz .LBB30_55
; %bb.51:
	v_mul_f32_e64 v5, v1, -v15
	v_mul_f32_e32 v6, v1, v14
	v_ashrrev_i32_e32 v4, 31, v3
	s_and_b32 vcc_lo, exec_lo, s0
	s_mov_b32 s5, -1
	v_fmac_f32_e32 v5, v14, v19
	v_fmac_f32_e32 v6, v15, v19
	s_cbranch_vccz .LBB30_53
; %bb.52:
	v_lshlrev_b64 v[11:12], 3, v[3:4]
	s_mov_b32 s5, 0
	s_delay_alu instid0(VALU_DEP_1) | instskip(NEXT) | instid1(VALU_DEP_2)
	v_add_co_u32 v11, vcc_lo, v9, v11
	v_add_co_ci_u32_e32 v12, vcc_lo, v10, v12, vcc_lo
	global_store_b64 v[11:12], v[5:6], off
.LBB30_53:
	s_and_not1_b32 vcc_lo, exec_lo, s5
	s_cbranch_vccnz .LBB30_55
; %bb.54:
	v_mul_lo_u32 v1, v4, s2
	v_mul_lo_u32 v4, v3, s3
	v_mad_u64_u32 v[11:12], null, v3, s2, 0
	s_delay_alu instid0(VALU_DEP_1) | instskip(NEXT) | instid1(VALU_DEP_1)
	v_add3_u32 v12, v12, v4, v1
	v_lshlrev_b64 v[3:4], 3, v[11:12]
	s_delay_alu instid0(VALU_DEP_1) | instskip(NEXT) | instid1(VALU_DEP_2)
	v_add_co_u32 v3, vcc_lo, v7, v3
	v_add_co_ci_u32_e32 v4, vcc_lo, v8, v4, vcc_lo
	global_store_b64 v[3:4], v[5:6], off
.LBB30_55:
	s_or_b32 exec_lo, exec_lo, s4
	v_cmp_gt_i32_e32 vcc_lo, s11, v0
	s_and_b32 exec_lo, exec_lo, vcc_lo
	s_cbranch_execz .LBB30_66
; %bb.56:
	s_and_saveexec_b32 s4, s1
	s_delay_alu instid0(SALU_CYCLE_1)
	s_xor_b32 s1, exec_lo, s4
	s_cbranch_execz .LBB30_61
; %bb.57:
	v_ashrrev_i32_e32 v1, 31, v0
	s_and_not1_b32 vcc_lo, exec_lo, s0
	s_mov_b32 s4, -1
	s_cbranch_vccnz .LBB30_59
; %bb.58:
	s_delay_alu instid0(VALU_DEP_1) | instskip(SKIP_1) | instid1(VALU_DEP_1)
	v_lshlrev_b64 v[3:4], 3, v[0:1]
	s_mov_b32 s4, 0
	v_add_co_u32 v3, vcc_lo, v9, v3
	s_delay_alu instid0(VALU_DEP_2) | instskip(SKIP_4) | instid1(VALU_DEP_1)
	v_add_co_ci_u32_e32 v4, vcc_lo, v10, v4, vcc_lo
	v_mul_f32_e64 v9, v2, -v15
	global_load_b64 v[5:6], v[3:4], off
	v_fmac_f32_e32 v9, v14, v18
	s_waitcnt vmcnt(0)
	v_dual_mul_f32 v10, v2, v14 :: v_dual_fmac_f32 v9, v16, v5
	s_delay_alu instid0(VALU_DEP_1) | instskip(NEXT) | instid1(VALU_DEP_2)
	v_fmac_f32_e32 v10, v15, v18
	v_fma_f32 v9, -v17, v6, v9
	s_delay_alu instid0(VALU_DEP_2) | instskip(NEXT) | instid1(VALU_DEP_1)
	v_fmac_f32_e32 v10, v17, v5
	v_fmac_f32_e32 v10, v16, v6
	global_store_b64 v[3:4], v[9:10], off
.LBB30_59:
	s_and_not1_b32 vcc_lo, exec_lo, s4
                                        ; implicit-def: $vgpr9
                                        ; implicit-def: $vgpr10
	s_cbranch_vccnz .LBB30_61
; %bb.60:
	v_mul_lo_u32 v1, v1, s2
	v_mul_lo_u32 v5, v0, s3
	v_mad_u64_u32 v[3:4], null, v0, s2, 0
                                        ; implicit-def: $vgpr9
                                        ; implicit-def: $vgpr10
	s_delay_alu instid0(VALU_DEP_1) | instskip(SKIP_1) | instid1(VALU_DEP_2)
	v_add3_u32 v4, v4, v5, v1
	v_mul_f32_e64 v5, v2, -v15
	v_lshlrev_b64 v[0:1], 3, v[3:4]
	s_delay_alu instid0(VALU_DEP_1) | instskip(NEXT) | instid1(VALU_DEP_2)
	v_add_co_u32 v0, vcc_lo, v7, v0
	v_add_co_ci_u32_e32 v1, vcc_lo, v8, v1, vcc_lo
                                        ; implicit-def: $vgpr7
                                        ; implicit-def: $vgpr8
	global_load_b64 v[3:4], v[0:1], off
	v_fmac_f32_e32 v5, v14, v18
	v_mul_f32_e32 v6, v2, v14
                                        ; implicit-def: $vgpr14
                                        ; implicit-def: $vgpr2
	s_waitcnt vmcnt(0)
	s_delay_alu instid0(VALU_DEP_1) | instskip(NEXT) | instid1(VALU_DEP_1)
	v_dual_fmac_f32 v5, v16, v3 :: v_dual_fmac_f32 v6, v15, v18
                                        ; implicit-def: $vgpr15
                                        ; implicit-def: $vgpr18
	v_fma_f32 v5, -v17, v4, v5
	s_delay_alu instid0(VALU_DEP_2) | instskip(NEXT) | instid1(VALU_DEP_1)
	v_fmac_f32_e32 v6, v17, v3
	v_fmac_f32_e32 v6, v16, v4
	global_store_b64 v[0:1], v[5:6], off
                                        ; implicit-def: $vgpr0
.LBB30_61:
	s_and_not1_saveexec_b32 s1, s1
	s_cbranch_execz .LBB30_66
; %bb.62:
	v_mul_f32_e64 v3, v2, -v15
	v_mul_f32_e32 v4, v2, v14
	v_ashrrev_i32_e32 v1, 31, v0
	s_and_not1_b32 vcc_lo, exec_lo, s0
	s_mov_b32 s0, -1
	v_fmac_f32_e32 v3, v14, v18
	v_fmac_f32_e32 v4, v15, v18
	s_cbranch_vccnz .LBB30_64
; %bb.63:
	v_lshlrev_b64 v[5:6], 3, v[0:1]
	s_mov_b32 s0, 0
	s_delay_alu instid0(VALU_DEP_1) | instskip(NEXT) | instid1(VALU_DEP_2)
	v_add_co_u32 v5, vcc_lo, v9, v5
	v_add_co_ci_u32_e32 v6, vcc_lo, v10, v6, vcc_lo
	global_store_b64 v[5:6], v[3:4], off
.LBB30_64:
	s_and_not1_b32 vcc_lo, exec_lo, s0
	s_cbranch_vccnz .LBB30_66
; %bb.65:
	v_mul_lo_u32 v5, v1, s2
	v_mul_lo_u32 v6, v0, s3
	v_mad_u64_u32 v[1:2], null, v0, s2, 0
	s_delay_alu instid0(VALU_DEP_1) | instskip(NEXT) | instid1(VALU_DEP_1)
	v_add3_u32 v2, v2, v6, v5
	v_lshlrev_b64 v[0:1], 3, v[1:2]
	s_delay_alu instid0(VALU_DEP_1) | instskip(NEXT) | instid1(VALU_DEP_2)
	v_add_co_u32 v0, vcc_lo, v7, v0
	v_add_co_ci_u32_e32 v1, vcc_lo, v8, v1, vcc_lo
	global_store_b64 v[0:1], v[3:4], off
.LBB30_66:
	s_nop 0
	s_sendmsg sendmsg(MSG_DEALLOC_VGPRS)
	s_endpgm
	.section	.rodata,"a",@progbits
	.p2align	6, 0x0
	.amdhsa_kernel _ZN9rocsparseL31bsrmm_large_blockdim_kernel_extILj16ELj16ELj2Eli21rocsparse_complex_numIfES2_S2_S2_EEvb20rocsparse_direction_T3_S4_llNS_24const_host_device_scalarIT7_EEPKT2_PKS4_PKT4_S4_PKT5_llS7_PT6_ll16rocsparse_order_21rocsparse_index_base_b
		.amdhsa_group_segment_fixed_size 6144
		.amdhsa_private_segment_fixed_size 0
		.amdhsa_kernarg_size 140
		.amdhsa_user_sgpr_count 14
		.amdhsa_user_sgpr_dispatch_ptr 0
		.amdhsa_user_sgpr_queue_ptr 0
		.amdhsa_user_sgpr_kernarg_segment_ptr 1
		.amdhsa_user_sgpr_dispatch_id 0
		.amdhsa_user_sgpr_private_segment_size 0
		.amdhsa_wavefront_size32 1
		.amdhsa_uses_dynamic_stack 0
		.amdhsa_enable_private_segment 0
		.amdhsa_system_sgpr_workgroup_id_x 1
		.amdhsa_system_sgpr_workgroup_id_y 1
		.amdhsa_system_sgpr_workgroup_id_z 0
		.amdhsa_system_sgpr_workgroup_info 0
		.amdhsa_system_vgpr_workitem_id 1
		.amdhsa_next_free_vgpr 44
		.amdhsa_next_free_sgpr 36
		.amdhsa_reserve_vcc 1
		.amdhsa_float_round_mode_32 0
		.amdhsa_float_round_mode_16_64 0
		.amdhsa_float_denorm_mode_32 3
		.amdhsa_float_denorm_mode_16_64 3
		.amdhsa_dx10_clamp 1
		.amdhsa_ieee_mode 1
		.amdhsa_fp16_overflow 0
		.amdhsa_workgroup_processor_mode 1
		.amdhsa_memory_ordered 1
		.amdhsa_forward_progress 0
		.amdhsa_shared_vgpr_count 0
		.amdhsa_exception_fp_ieee_invalid_op 0
		.amdhsa_exception_fp_denorm_src 0
		.amdhsa_exception_fp_ieee_div_zero 0
		.amdhsa_exception_fp_ieee_overflow 0
		.amdhsa_exception_fp_ieee_underflow 0
		.amdhsa_exception_fp_ieee_inexact 0
		.amdhsa_exception_int_div_zero 0
	.end_amdhsa_kernel
	.section	.text._ZN9rocsparseL31bsrmm_large_blockdim_kernel_extILj16ELj16ELj2Eli21rocsparse_complex_numIfES2_S2_S2_EEvb20rocsparse_direction_T3_S4_llNS_24const_host_device_scalarIT7_EEPKT2_PKS4_PKT4_S4_PKT5_llS7_PT6_ll16rocsparse_order_21rocsparse_index_base_b,"axG",@progbits,_ZN9rocsparseL31bsrmm_large_blockdim_kernel_extILj16ELj16ELj2Eli21rocsparse_complex_numIfES2_S2_S2_EEvb20rocsparse_direction_T3_S4_llNS_24const_host_device_scalarIT7_EEPKT2_PKS4_PKT4_S4_PKT5_llS7_PT6_ll16rocsparse_order_21rocsparse_index_base_b,comdat
.Lfunc_end30:
	.size	_ZN9rocsparseL31bsrmm_large_blockdim_kernel_extILj16ELj16ELj2Eli21rocsparse_complex_numIfES2_S2_S2_EEvb20rocsparse_direction_T3_S4_llNS_24const_host_device_scalarIT7_EEPKT2_PKS4_PKT4_S4_PKT5_llS7_PT6_ll16rocsparse_order_21rocsparse_index_base_b, .Lfunc_end30-_ZN9rocsparseL31bsrmm_large_blockdim_kernel_extILj16ELj16ELj2Eli21rocsparse_complex_numIfES2_S2_S2_EEvb20rocsparse_direction_T3_S4_llNS_24const_host_device_scalarIT7_EEPKT2_PKS4_PKT4_S4_PKT5_llS7_PT6_ll16rocsparse_order_21rocsparse_index_base_b
                                        ; -- End function
	.section	.AMDGPU.csdata,"",@progbits
; Kernel info:
; codeLenInByte = 3316
; NumSgprs: 38
; NumVgprs: 44
; ScratchSize: 0
; MemoryBound: 0
; FloatMode: 240
; IeeeMode: 1
; LDSByteSize: 6144 bytes/workgroup (compile time only)
; SGPRBlocks: 4
; VGPRBlocks: 5
; NumSGPRsForWavesPerEU: 38
; NumVGPRsForWavesPerEU: 44
; Occupancy: 16
; WaveLimiterHint : 1
; COMPUTE_PGM_RSRC2:SCRATCH_EN: 0
; COMPUTE_PGM_RSRC2:USER_SGPR: 14
; COMPUTE_PGM_RSRC2:TRAP_HANDLER: 0
; COMPUTE_PGM_RSRC2:TGID_X_EN: 1
; COMPUTE_PGM_RSRC2:TGID_Y_EN: 1
; COMPUTE_PGM_RSRC2:TGID_Z_EN: 0
; COMPUTE_PGM_RSRC2:TIDIG_COMP_CNT: 1
	.section	.text._ZN9rocsparseL31bsrmm_large_blockdim_kernel_extILj32ELj32ELj2Eli21rocsparse_complex_numIfES2_S2_S2_EEvb20rocsparse_direction_T3_S4_llNS_24const_host_device_scalarIT7_EEPKT2_PKS4_PKT4_S4_PKT5_llS7_PT6_ll16rocsparse_order_21rocsparse_index_base_b,"axG",@progbits,_ZN9rocsparseL31bsrmm_large_blockdim_kernel_extILj32ELj32ELj2Eli21rocsparse_complex_numIfES2_S2_S2_EEvb20rocsparse_direction_T3_S4_llNS_24const_host_device_scalarIT7_EEPKT2_PKS4_PKT4_S4_PKT5_llS7_PT6_ll16rocsparse_order_21rocsparse_index_base_b,comdat
	.globl	_ZN9rocsparseL31bsrmm_large_blockdim_kernel_extILj32ELj32ELj2Eli21rocsparse_complex_numIfES2_S2_S2_EEvb20rocsparse_direction_T3_S4_llNS_24const_host_device_scalarIT7_EEPKT2_PKS4_PKT4_S4_PKT5_llS7_PT6_ll16rocsparse_order_21rocsparse_index_base_b ; -- Begin function _ZN9rocsparseL31bsrmm_large_blockdim_kernel_extILj32ELj32ELj2Eli21rocsparse_complex_numIfES2_S2_S2_EEvb20rocsparse_direction_T3_S4_llNS_24const_host_device_scalarIT7_EEPKT2_PKS4_PKT4_S4_PKT5_llS7_PT6_ll16rocsparse_order_21rocsparse_index_base_b
	.p2align	8
	.type	_ZN9rocsparseL31bsrmm_large_blockdim_kernel_extILj32ELj32ELj2Eli21rocsparse_complex_numIfES2_S2_S2_EEvb20rocsparse_direction_T3_S4_llNS_24const_host_device_scalarIT7_EEPKT2_PKS4_PKT4_S4_PKT5_llS7_PT6_ll16rocsparse_order_21rocsparse_index_base_b,@function
_ZN9rocsparseL31bsrmm_large_blockdim_kernel_extILj32ELj32ELj2Eli21rocsparse_complex_numIfES2_S2_S2_EEvb20rocsparse_direction_T3_S4_llNS_24const_host_device_scalarIT7_EEPKT2_PKS4_PKT4_S4_PKT5_llS7_PT6_ll16rocsparse_order_21rocsparse_index_base_b: ; @_ZN9rocsparseL31bsrmm_large_blockdim_kernel_extILj32ELj32ELj2Eli21rocsparse_complex_numIfES2_S2_S2_EEvb20rocsparse_direction_T3_S4_llNS_24const_host_device_scalarIT7_EEPKT2_PKS4_PKT4_S4_PKT5_llS7_PT6_ll16rocsparse_order_21rocsparse_index_base_b
; %bb.0:
	s_clause 0x2
	s_load_b128 s[16:19], s[0:1], 0x80
	s_load_b64 s[6:7], s[0:1], 0x20
	s_load_b64 s[4:5], s[0:1], 0x60
	s_mov_b32 s2, s15
	s_waitcnt lgkmcnt(0)
	s_bitcmp1_b32 s18, 0
	v_mov_b32_e32 v14, s6
	s_cselect_b32 s3, -1, 0
	s_delay_alu instid0(SALU_CYCLE_1)
	s_and_b32 vcc_lo, exec_lo, s3
	s_xor_b32 s3, s3, -1
	s_cbranch_vccz .LBB31_40
; %bb.1:
	v_cndmask_b32_e64 v1, 0, 1, s3
	v_mov_b32_e32 v15, s7
	s_and_not1_b32 vcc_lo, exec_lo, s3
	s_cbranch_vccz .LBB31_41
.LBB31_2:
	s_delay_alu instid0(VALU_DEP_2)
	v_cmp_ne_u32_e32 vcc_lo, 1, v1
	v_mov_b32_e32 v16, s4
	s_cbranch_vccz .LBB31_42
.LBB31_3:
	v_cmp_ne_u32_e32 vcc_lo, 1, v1
	v_mov_b32_e32 v17, s5
	s_cbranch_vccnz .LBB31_5
.LBB31_4:
	v_dual_mov_b32 v1, s4 :: v_dual_mov_b32 v2, s5
	flat_load_b32 v17, v[1:2] offset:4
.LBB31_5:
	s_waitcnt vmcnt(0) lgkmcnt(0)
	v_cmp_eq_f32_e32 vcc_lo, 0, v14
	v_cmp_eq_f32_e64 s3, 0, v15
	s_delay_alu instid0(VALU_DEP_1)
	s_and_b32 s5, vcc_lo, s3
	s_mov_b32 s3, -1
	s_and_saveexec_b32 s4, s5
; %bb.6:
	v_cmp_neq_f32_e32 vcc_lo, 1.0, v16
	v_cmp_neq_f32_e64 s3, 0, v17
	s_delay_alu instid0(VALU_DEP_1) | instskip(NEXT) | instid1(SALU_CYCLE_1)
	s_or_b32 s3, vcc_lo, s3
	s_or_not1_b32 s3, s3, exec_lo
; %bb.7:
	s_or_b32 exec_lo, exec_lo, s4
	s_and_saveexec_b32 s4, s3
	s_cbranch_execz .LBB31_66
; %bb.8:
	s_clause 0x1
	s_load_b128 s[8:11], s[0:1], 0x0
	s_load_b64 s[4:5], s[0:1], 0x28
	s_mov_b64 s[12:13], 0
	s_mov_b64 s[18:19], 0
	s_waitcnt lgkmcnt(0)
	s_cmp_lt_i32 s14, s10
	s_cselect_b32 s28, -1, 0
	s_cmp_ge_i32 s14, s10
	s_cbranch_scc1 .LBB31_10
; %bb.9:
	s_ashr_i32 s15, s14, 31
	s_delay_alu instid0(SALU_CYCLE_1) | instskip(NEXT) | instid1(SALU_CYCLE_1)
	s_lshl_b64 s[6:7], s[14:15], 3
	s_add_u32 s6, s4, s6
	s_addc_u32 s7, s5, s7
	s_load_b64 s[6:7], s[6:7], 0x0
	s_waitcnt lgkmcnt(0)
	s_sub_u32 s18, s6, s17
	s_subb_u32 s19, s7, 0
.LBB31_10:
	s_and_not1_b32 vcc_lo, exec_lo, s28
	s_cbranch_vccnz .LBB31_12
; %bb.11:
	s_ashr_i32 s15, s14, 31
	s_delay_alu instid0(SALU_CYCLE_1) | instskip(NEXT) | instid1(SALU_CYCLE_1)
	s_lshl_b64 s[6:7], s[14:15], 3
	s_add_u32 s4, s4, s6
	s_addc_u32 s5, s5, s7
	s_load_b64 s[4:5], s[4:5], 0x8
	s_waitcnt lgkmcnt(0)
	s_sub_u32 s12, s4, s17
	s_subb_u32 s13, s5, 0
.LBB31_12:
	s_clause 0x1
	s_load_b32 s10, s[0:1], 0x40
	s_load_b64 s[6:7], s[0:1], 0x68
	v_bfe_u32 v6, v0, 10, 10
	v_dual_mov_b32 v18, 0 :: v_dual_and_b32 v5, 0x3ff, v0
	v_dual_mov_b32 v1, 0 :: v_dual_mov_b32 v2, 0
	s_delay_alu instid0(VALU_DEP_3) | instskip(SKIP_1) | instid1(VALU_DEP_2)
	v_lshl_add_u32 v3, s2, 6, v6
	v_cmp_ge_i64_e64 s2, s[18:19], s[12:13]
	v_dual_mov_b32 v19, 0 :: v_dual_add_nc_u32 v0, 32, v3
	v_cmp_gt_i32_e64 s3, s11, v3
	s_delay_alu instid0(VALU_DEP_3) | instskip(NEXT) | instid1(VALU_DEP_2)
	s_and_b32 vcc_lo, exec_lo, s2
	v_cmp_gt_i32_e64 s4, s11, v0
	s_waitcnt lgkmcnt(0)
	v_cmp_gt_i32_e64 s2, s10, v5
	s_cbranch_vccnz .LBB31_43
; %bb.13:
	s_clause 0x1
	s_load_b128 s[20:23], s[0:1], 0x30
	s_load_b128 s[24:27], s[0:1], 0x48
	v_mul_lo_u32 v1, v6, s10
	v_dual_mov_b32 v2, 0 :: v_dual_lshlrev_b32 v9, 5, v6
	v_cmp_gt_i32_e32 vcc_lo, s10, v6
	v_lshlrev_b32_e32 v10, 3, v5
	v_ashrrev_i32_e32 v4, 31, v3
	v_lshl_add_u32 v12, v5, 5, v6
	v_lshlrev_b32_e32 v22, 3, v6
	v_lshlrev_b64 v[7:8], 3, v[1:2]
	v_mul_lo_u32 v1, v5, s10
	s_and_b32 s15, s2, vcc_lo
	v_lshl_add_u32 v20, v12, 3, 0x4000
	s_bitcmp1_b32 s8, 0
	s_cselect_b32 s5, -1, 0
	s_cmp_eq_u32 s9, 0
	s_waitcnt lgkmcnt(0)
	v_add_co_u32 v11, vcc_lo, s22, v7
	v_add_co_ci_u32_e32 v13, vcc_lo, s23, v8, vcc_lo
	v_lshlrev_b64 v[7:8], 3, v[1:2]
	s_delay_alu instid0(VALU_DEP_3) | instskip(SKIP_1) | instid1(VALU_DEP_4)
	v_add_co_u32 v18, vcc_lo, v11, v10
	v_ashrrev_i32_e32 v1, 31, v0
	v_add_co_ci_u32_e32 v13, vcc_lo, 0, v13, vcc_lo
	s_delay_alu instid0(VALU_DEP_4)
	v_add_co_u32 v19, vcc_lo, s22, v7
	v_add_co_ci_u32_e32 v21, vcc_lo, s23, v8, vcc_lo
	v_mul_lo_u32 v23, v3, s27
	v_mul_lo_u32 v24, v4, s26
	v_mad_u64_u32 v[7:8], null, v3, s26, 0
	v_mul_lo_u32 v25, v0, s27
	v_mul_lo_u32 v26, v1, s26
	v_mad_u64_u32 v[10:11], null, v0, s26, 0
	v_add_co_u32 v12, vcc_lo, v19, v22
	v_add_co_ci_u32_e32 v19, vcc_lo, 0, v21, vcc_lo
	s_cselect_b32 vcc_lo, -1, 0
	v_add3_u32 v8, v8, v23, v24
	s_delay_alu instid0(VALU_DEP_4) | instskip(NEXT) | instid1(VALU_DEP_3)
	v_add3_u32 v11, v11, v25, v26
	v_dual_cndmask_b32 v22, v13, v19 :: v_dual_lshlrev_b32 v23, 8, v6
	s_add_i32 s9, s10, -1
	s_and_b32 s8, s10, 7
	s_cmp_gt_u32 s9, 6
	v_add_lshl_u32 v21, v9, v5, 3
	v_cndmask_b32_e32 v24, v18, v12, vcc_lo
	v_lshlrev_b64 v[6:7], 3, v[7:8]
	v_lshlrev_b64 v[8:9], 3, v[3:4]
	;; [unrolled: 1-line block ×4, first 2 shown]
	s_cselect_b32 s9, -1, 0
	s_and_b32 s22, s10, -8
	v_lshl_add_u32 v25, v5, 8, 0x4000
	v_add_nc_u32_e32 v26, 0x2000, v23
	v_mov_b32_e32 v18, v2
	v_mov_b32_e32 v1, v2
	;; [unrolled: 1-line block ×3, first 2 shown]
	s_cmp_lg_u32 s8, 0
	s_mul_i32 s23, s10, s10
	s_cselect_b32 s29, -1, 0
	s_branch .LBB31_16
.LBB31_14:                              ;   in Loop: Header=BB31_16 Depth=1
	s_or_b32 exec_lo, exec_lo, s31
.LBB31_15:                              ;   in Loop: Header=BB31_16 Depth=1
	s_delay_alu instid0(SALU_CYCLE_1) | instskip(SKIP_2) | instid1(SALU_CYCLE_1)
	s_or_b32 exec_lo, exec_lo, s30
	s_add_u32 s18, s18, 1
	s_addc_u32 s19, s19, 0
	v_cmp_ge_i64_e64 s30, s[18:19], s[12:13]
	s_barrier
	buffer_gl0_inv
	s_and_b32 vcc_lo, exec_lo, s30
	s_cbranch_vccnz .LBB31_43
.LBB31_16:                              ; =>This Loop Header: Depth=1
                                        ;     Child Loop BB31_27 Depth 2
                                        ;     Child Loop BB31_31 Depth 2
	;; [unrolled: 1-line block ×4, first 2 shown]
	s_and_saveexec_b32 s30, s2
	s_cbranch_execz .LBB31_21
; %bb.17:                               ;   in Loop: Header=BB31_16 Depth=1
	s_lshl_b64 s[34:35], s[18:19], 2
	s_delay_alu instid0(SALU_CYCLE_1) | instskip(SKIP_4) | instid1(SALU_CYCLE_1)
	s_add_u32 s34, s20, s34
	s_addc_u32 s35, s21, s35
	s_load_b32 s31, s[34:35], 0x0
	s_waitcnt lgkmcnt(0)
	s_sub_i32 s31, s31, s17
	v_mad_u64_u32 v[27:28], null, s31, s10, v[5:6]
	s_delay_alu instid0(VALU_DEP_1) | instskip(SKIP_2) | instid1(VALU_DEP_3)
	v_ashrrev_i32_e32 v28, 31, v27
	v_mul_lo_u32 v4, v27, s27
	v_mad_u64_u32 v[29:30], null, v27, s26, 0
	v_mul_lo_u32 v31, v28, s26
	s_delay_alu instid0(VALU_DEP_1) | instskip(SKIP_1) | instid1(VALU_DEP_2)
	v_add3_u32 v30, v30, v4, v31
	v_lshlrev_b64 v[31:32], 3, v[27:28]
	v_lshlrev_b64 v[29:30], 3, v[29:30]
	s_delay_alu instid0(VALU_DEP_1) | instskip(NEXT) | instid1(VALU_DEP_2)
	v_add_co_u32 v4, vcc_lo, s24, v29
	v_add_co_ci_u32_e32 v27, vcc_lo, s25, v30, vcc_lo
	s_delay_alu instid0(VALU_DEP_4)
	v_add_co_u32 v28, vcc_lo, s24, v31
	v_add_co_ci_u32_e32 v29, vcc_lo, s25, v32, vcc_lo
	s_and_saveexec_b32 s31, s3
	s_cbranch_execz .LBB31_19
; %bb.18:                               ;   in Loop: Header=BB31_16 Depth=1
	s_delay_alu instid0(VALU_DEP_2) | instskip(NEXT) | instid1(VALU_DEP_2)
	v_add_co_u32 v30, vcc_lo, v28, v6
	v_add_co_ci_u32_e32 v31, vcc_lo, v29, v7, vcc_lo
	v_add_co_u32 v32, vcc_lo, v4, v8
	v_add_co_ci_u32_e32 v33, vcc_lo, v27, v9, vcc_lo
	s_delay_alu instid0(VALU_DEP_2) | instskip(NEXT) | instid1(VALU_DEP_2)
	v_cndmask_b32_e64 v30, v32, v30, s5
	v_cndmask_b32_e64 v31, v33, v31, s5
	global_load_b64 v[30:31], v[30:31], off
	s_waitcnt vmcnt(0)
	ds_store_b64 v21, v[30:31]
.LBB31_19:                              ;   in Loop: Header=BB31_16 Depth=1
	s_or_b32 exec_lo, exec_lo, s31
	s_delay_alu instid0(SALU_CYCLE_1)
	s_and_b32 exec_lo, exec_lo, s4
	s_cbranch_execz .LBB31_21
; %bb.20:                               ;   in Loop: Header=BB31_16 Depth=1
	v_add_co_u32 v30, vcc_lo, v28, v10
	v_add_co_ci_u32_e32 v28, vcc_lo, v29, v11, vcc_lo
	v_add_co_u32 v4, vcc_lo, v4, v12
	v_add_co_ci_u32_e32 v27, vcc_lo, v27, v13, vcc_lo
	s_delay_alu instid0(VALU_DEP_1) | instskip(NEXT) | instid1(VALU_DEP_3)
	v_cndmask_b32_e64 v28, v27, v28, s5
	v_cndmask_b32_e64 v27, v4, v30, s5
	global_load_b64 v[27:28], v[27:28], off
	s_waitcnt vmcnt(0)
	ds_store_b64 v21, v[27:28] offset:8192
.LBB31_21:                              ;   in Loop: Header=BB31_16 Depth=1
	s_or_b32 exec_lo, exec_lo, s30
	s_and_saveexec_b32 s30, s15
	s_cbranch_execz .LBB31_23
; %bb.22:                               ;   in Loop: Header=BB31_16 Depth=1
	s_mul_i32 s31, s19, s23
	s_mul_hi_u32 s33, s18, s23
	s_mul_i32 s34, s18, s23
	s_add_i32 s35, s33, s31
	s_delay_alu instid0(SALU_CYCLE_1) | instskip(NEXT) | instid1(SALU_CYCLE_1)
	s_lshl_b64 s[34:35], s[34:35], 3
	v_add_co_u32 v27, vcc_lo, v24, s34
	v_add_co_ci_u32_e32 v28, vcc_lo, s35, v22, vcc_lo
	global_load_b64 v[27:28], v[27:28], off
	s_waitcnt vmcnt(0)
	ds_store_b64 v20, v[27:28]
.LBB31_23:                              ;   in Loop: Header=BB31_16 Depth=1
	s_or_b32 exec_lo, exec_lo, s30
	s_waitcnt lgkmcnt(0)
	s_barrier
	buffer_gl0_inv
	s_and_saveexec_b32 s30, s2
	s_cbranch_execz .LBB31_15
; %bb.24:                               ;   in Loop: Header=BB31_16 Depth=1
	s_and_saveexec_b32 s31, s3
	s_cbranch_execz .LBB31_32
; %bb.25:                               ;   in Loop: Header=BB31_16 Depth=1
	s_and_not1_b32 vcc_lo, exec_lo, s9
	s_cbranch_vccnz .LBB31_29
; %bb.26:                               ;   in Loop: Header=BB31_16 Depth=1
	v_dual_mov_b32 v4, v25 :: v_dual_mov_b32 v27, v23
	s_mov_b32 s33, 0
.LBB31_27:                              ;   Parent Loop BB31_16 Depth=1
                                        ; =>  This Inner Loop Header: Depth=2
	ds_load_b128 v[28:31], v27
	ds_load_b128 v[32:35], v4
	ds_load_b128 v[36:39], v4 offset:16
	ds_load_b128 v[40:43], v27 offset:16
	s_add_i32 s33, s33, 8
	s_delay_alu instid0(SALU_CYCLE_1) | instskip(SKIP_3) | instid1(VALU_DEP_2)
	s_cmp_lg_u32 s22, s33
	s_waitcnt lgkmcnt(2)
	v_fmac_f32_e32 v19, v32, v28
	v_fmac_f32_e32 v1, v33, v28
	v_fma_f32 v19, -v33, v29, v19
	s_delay_alu instid0(VALU_DEP_2) | instskip(NEXT) | instid1(VALU_DEP_2)
	v_fmac_f32_e32 v1, v32, v29
	v_fmac_f32_e32 v19, v34, v30
	s_delay_alu instid0(VALU_DEP_2) | instskip(NEXT) | instid1(VALU_DEP_2)
	v_fmac_f32_e32 v1, v35, v30
	v_fma_f32 v19, -v35, v31, v19
	s_delay_alu instid0(VALU_DEP_2)
	v_fmac_f32_e32 v1, v34, v31
	ds_load_b128 v[28:31], v27 offset:32
	ds_load_b128 v[32:35], v4 offset:32
	s_waitcnt lgkmcnt(2)
	v_fmac_f32_e32 v19, v36, v40
	v_fmac_f32_e32 v1, v37, v40
	s_delay_alu instid0(VALU_DEP_2) | instskip(NEXT) | instid1(VALU_DEP_2)
	v_fma_f32 v19, -v37, v41, v19
	v_fmac_f32_e32 v1, v36, v41
	s_delay_alu instid0(VALU_DEP_2) | instskip(NEXT) | instid1(VALU_DEP_2)
	v_fmac_f32_e32 v19, v38, v42
	v_fmac_f32_e32 v1, v39, v42
	s_delay_alu instid0(VALU_DEP_2) | instskip(NEXT) | instid1(VALU_DEP_2)
	v_fma_f32 v19, -v39, v43, v19
	v_fmac_f32_e32 v1, v38, v43
	ds_load_b128 v[36:39], v4 offset:48
	ds_load_b128 v[40:43], v27 offset:48
	v_add_nc_u32_e32 v4, 64, v4
	v_add_nc_u32_e32 v27, 64, v27
	s_waitcnt lgkmcnt(2)
	v_fmac_f32_e32 v19, v32, v28
	v_fmac_f32_e32 v1, v33, v28
	s_delay_alu instid0(VALU_DEP_2) | instskip(NEXT) | instid1(VALU_DEP_2)
	v_fma_f32 v19, -v33, v29, v19
	v_fmac_f32_e32 v1, v32, v29
	s_delay_alu instid0(VALU_DEP_2) | instskip(NEXT) | instid1(VALU_DEP_2)
	v_fmac_f32_e32 v19, v34, v30
	v_fmac_f32_e32 v1, v35, v30
	s_delay_alu instid0(VALU_DEP_2) | instskip(NEXT) | instid1(VALU_DEP_2)
	v_fma_f32 v19, -v35, v31, v19
	v_fmac_f32_e32 v1, v34, v31
	s_waitcnt lgkmcnt(0)
	s_delay_alu instid0(VALU_DEP_2) | instskip(NEXT) | instid1(VALU_DEP_2)
	v_fmac_f32_e32 v19, v36, v40
	v_fmac_f32_e32 v1, v37, v40
	s_delay_alu instid0(VALU_DEP_2) | instskip(NEXT) | instid1(VALU_DEP_2)
	v_fma_f32 v19, -v37, v41, v19
	v_fmac_f32_e32 v1, v36, v41
	s_delay_alu instid0(VALU_DEP_2) | instskip(NEXT) | instid1(VALU_DEP_2)
	v_fmac_f32_e32 v19, v38, v42
	v_fmac_f32_e32 v1, v39, v42
	s_delay_alu instid0(VALU_DEP_2) | instskip(NEXT) | instid1(VALU_DEP_2)
	v_fma_f32 v19, -v39, v43, v19
	v_fmac_f32_e32 v1, v38, v43
	s_cbranch_scc1 .LBB31_27
; %bb.28:                               ;   in Loop: Header=BB31_16 Depth=1
	s_mov_b32 s33, s22
	s_and_not1_b32 vcc_lo, exec_lo, s29
	s_cbranch_vccz .LBB31_30
	s_branch .LBB31_32
.LBB31_29:                              ;   in Loop: Header=BB31_16 Depth=1
	s_mov_b32 s33, 0
	s_and_not1_b32 vcc_lo, exec_lo, s29
	s_cbranch_vccnz .LBB31_32
.LBB31_30:                              ;   in Loop: Header=BB31_16 Depth=1
	s_lshl_b32 s33, s33, 3
	s_delay_alu instid0(SALU_CYCLE_1)
	v_add_nc_u32_e32 v4, s33, v23
	v_add_nc_u32_e32 v27, s33, v25
	s_mov_b32 s33, s8
.LBB31_31:                              ;   Parent Loop BB31_16 Depth=1
                                        ; =>  This Inner Loop Header: Depth=2
	ds_load_b64 v[28:29], v27
	ds_load_b64 v[30:31], v4
	v_add_nc_u32_e32 v27, 8, v27
	s_add_i32 s33, s33, -1
	v_add_nc_u32_e32 v4, 8, v4
	s_cmp_lg_u32 s33, 0
	s_waitcnt lgkmcnt(0)
	v_fmac_f32_e32 v19, v28, v30
	v_fmac_f32_e32 v1, v29, v30
	s_delay_alu instid0(VALU_DEP_2) | instskip(NEXT) | instid1(VALU_DEP_2)
	v_fma_f32 v19, -v29, v31, v19
	v_fmac_f32_e32 v1, v28, v31
	s_cbranch_scc1 .LBB31_31
.LBB31_32:                              ;   in Loop: Header=BB31_16 Depth=1
	s_or_b32 exec_lo, exec_lo, s31
	s_and_saveexec_b32 s31, s4
	s_cbranch_execz .LBB31_14
; %bb.33:                               ;   in Loop: Header=BB31_16 Depth=1
	s_and_not1_b32 vcc_lo, exec_lo, s9
	s_cbranch_vccnz .LBB31_37
; %bb.34:                               ;   in Loop: Header=BB31_16 Depth=1
	v_dual_mov_b32 v4, v25 :: v_dual_mov_b32 v27, v26
	s_mov_b32 s33, 0
.LBB31_35:                              ;   Parent Loop BB31_16 Depth=1
                                        ; =>  This Inner Loop Header: Depth=2
	ds_load_b128 v[28:31], v27
	ds_load_b128 v[32:35], v4
	ds_load_b128 v[36:39], v4 offset:16
	ds_load_b128 v[40:43], v27 offset:16
	s_add_i32 s33, s33, 8
	s_delay_alu instid0(SALU_CYCLE_1) | instskip(SKIP_3) | instid1(VALU_DEP_2)
	s_cmp_lg_u32 s22, s33
	s_waitcnt lgkmcnt(2)
	v_fmac_f32_e32 v18, v32, v28
	v_fmac_f32_e32 v2, v33, v28
	v_fma_f32 v18, -v33, v29, v18
	s_delay_alu instid0(VALU_DEP_2) | instskip(NEXT) | instid1(VALU_DEP_2)
	v_fmac_f32_e32 v2, v32, v29
	v_fmac_f32_e32 v18, v34, v30
	s_delay_alu instid0(VALU_DEP_2) | instskip(NEXT) | instid1(VALU_DEP_2)
	v_fmac_f32_e32 v2, v35, v30
	v_fma_f32 v18, -v35, v31, v18
	s_delay_alu instid0(VALU_DEP_2)
	v_fmac_f32_e32 v2, v34, v31
	ds_load_b128 v[28:31], v27 offset:32
	ds_load_b128 v[32:35], v4 offset:32
	s_waitcnt lgkmcnt(2)
	v_fmac_f32_e32 v18, v36, v40
	v_fmac_f32_e32 v2, v37, v40
	s_delay_alu instid0(VALU_DEP_2) | instskip(NEXT) | instid1(VALU_DEP_2)
	v_fma_f32 v18, -v37, v41, v18
	v_fmac_f32_e32 v2, v36, v41
	s_delay_alu instid0(VALU_DEP_2) | instskip(NEXT) | instid1(VALU_DEP_2)
	v_fmac_f32_e32 v18, v38, v42
	v_fmac_f32_e32 v2, v39, v42
	s_delay_alu instid0(VALU_DEP_2) | instskip(NEXT) | instid1(VALU_DEP_2)
	v_fma_f32 v18, -v39, v43, v18
	v_fmac_f32_e32 v2, v38, v43
	ds_load_b128 v[36:39], v4 offset:48
	ds_load_b128 v[40:43], v27 offset:48
	v_add_nc_u32_e32 v27, 64, v27
	v_add_nc_u32_e32 v4, 64, v4
	s_waitcnt lgkmcnt(2)
	v_fmac_f32_e32 v18, v32, v28
	v_fmac_f32_e32 v2, v33, v28
	s_delay_alu instid0(VALU_DEP_2) | instskip(NEXT) | instid1(VALU_DEP_2)
	v_fma_f32 v18, -v33, v29, v18
	v_fmac_f32_e32 v2, v32, v29
	s_delay_alu instid0(VALU_DEP_2) | instskip(NEXT) | instid1(VALU_DEP_2)
	v_fmac_f32_e32 v18, v34, v30
	v_fmac_f32_e32 v2, v35, v30
	s_delay_alu instid0(VALU_DEP_2) | instskip(NEXT) | instid1(VALU_DEP_2)
	v_fma_f32 v18, -v35, v31, v18
	v_fmac_f32_e32 v2, v34, v31
	s_waitcnt lgkmcnt(0)
	s_delay_alu instid0(VALU_DEP_2) | instskip(NEXT) | instid1(VALU_DEP_2)
	v_fmac_f32_e32 v18, v36, v40
	v_fmac_f32_e32 v2, v37, v40
	s_delay_alu instid0(VALU_DEP_2) | instskip(NEXT) | instid1(VALU_DEP_2)
	v_fma_f32 v18, -v37, v41, v18
	v_fmac_f32_e32 v2, v36, v41
	s_delay_alu instid0(VALU_DEP_2) | instskip(NEXT) | instid1(VALU_DEP_2)
	v_fmac_f32_e32 v18, v38, v42
	v_fmac_f32_e32 v2, v39, v42
	s_delay_alu instid0(VALU_DEP_2) | instskip(NEXT) | instid1(VALU_DEP_2)
	v_fma_f32 v18, -v39, v43, v18
	v_fmac_f32_e32 v2, v38, v43
	s_cbranch_scc1 .LBB31_35
; %bb.36:                               ;   in Loop: Header=BB31_16 Depth=1
	s_mov_b32 s33, s22
	s_and_not1_b32 vcc_lo, exec_lo, s29
	s_cbranch_vccz .LBB31_38
	s_branch .LBB31_14
.LBB31_37:                              ;   in Loop: Header=BB31_16 Depth=1
	s_mov_b32 s33, 0
	s_and_not1_b32 vcc_lo, exec_lo, s29
	s_cbranch_vccnz .LBB31_14
.LBB31_38:                              ;   in Loop: Header=BB31_16 Depth=1
	s_lshl_b32 s33, s33, 3
	s_delay_alu instid0(SALU_CYCLE_1)
	v_add_nc_u32_e32 v4, s33, v26
	v_add_nc_u32_e32 v27, s33, v25
	s_mov_b32 s33, s8
.LBB31_39:                              ;   Parent Loop BB31_16 Depth=1
                                        ; =>  This Inner Loop Header: Depth=2
	ds_load_b64 v[28:29], v27
	ds_load_b64 v[30:31], v4
	v_add_nc_u32_e32 v4, 8, v4
	s_add_i32 s33, s33, -1
	v_add_nc_u32_e32 v27, 8, v27
	s_cmp_lg_u32 s33, 0
	s_waitcnt lgkmcnt(0)
	v_fmac_f32_e32 v18, v28, v30
	v_fmac_f32_e32 v2, v29, v30
	s_delay_alu instid0(VALU_DEP_2) | instskip(NEXT) | instid1(VALU_DEP_2)
	v_fma_f32 v18, -v29, v31, v18
	v_fmac_f32_e32 v2, v28, v31
	s_cbranch_scc1 .LBB31_39
	s_branch .LBB31_14
.LBB31_40:
	v_dual_mov_b32 v1, s6 :: v_dual_mov_b32 v2, s7
	flat_load_b32 v14, v[1:2]
	v_cndmask_b32_e64 v1, 0, 1, s3
	v_mov_b32_e32 v15, s7
	s_and_not1_b32 vcc_lo, exec_lo, s3
	s_cbranch_vccnz .LBB31_2
.LBB31_41:
	v_dual_mov_b32 v2, s6 :: v_dual_mov_b32 v3, s7
	flat_load_b32 v15, v[2:3] offset:4
	v_cmp_ne_u32_e32 vcc_lo, 1, v1
	v_mov_b32_e32 v16, s4
	s_cbranch_vccnz .LBB31_3
.LBB31_42:
	v_dual_mov_b32 v2, s4 :: v_dual_mov_b32 v3, s5
	flat_load_b32 v16, v[2:3]
	v_cmp_ne_u32_e32 vcc_lo, 1, v1
	v_mov_b32_e32 v17, s5
	s_cbranch_vccz .LBB31_4
	s_branch .LBB31_5
.LBB31_43:
	s_delay_alu instid0(VALU_DEP_1) | instskip(NEXT) | instid1(SALU_CYCLE_1)
	s_and_b32 s2, s28, s2
	s_and_b32 exec_lo, exec_lo, s2
	s_cbranch_execz .LBB31_66
; %bb.44:
	s_load_b64 s[2:3], s[0:1], 0x70
	v_mad_u64_u32 v[6:7], null, s14, s10, v[5:6]
	v_cmp_neq_f32_e32 vcc_lo, 0, v16
	v_cmp_neq_f32_e64 s0, 0, v17
	s_mov_b32 s4, exec_lo
	s_delay_alu instid0(VALU_DEP_1) | instskip(NEXT) | instid1(VALU_DEP_3)
	s_or_b32 s1, vcc_lo, s0
	v_ashrrev_i32_e32 v7, 31, v6
	s_cmp_lg_u32 s16, 1
	s_cselect_b32 s0, -1, 0
	s_waitcnt lgkmcnt(0)
	s_delay_alu instid0(VALU_DEP_1) | instskip(SKIP_2) | instid1(VALU_DEP_1)
	v_mul_lo_u32 v8, v7, s2
	v_mul_lo_u32 v9, v6, s3
	v_mad_u64_u32 v[4:5], null, v6, s2, 0
	v_add3_u32 v5, v5, v9, v8
	v_lshlrev_b64 v[7:8], 3, v[6:7]
	s_delay_alu instid0(VALU_DEP_2) | instskip(NEXT) | instid1(VALU_DEP_2)
	v_lshlrev_b64 v[4:5], 3, v[4:5]
	v_add_co_u32 v7, vcc_lo, s6, v7
	s_delay_alu instid0(VALU_DEP_3) | instskip(NEXT) | instid1(VALU_DEP_3)
	v_add_co_ci_u32_e32 v8, vcc_lo, s7, v8, vcc_lo
	v_add_co_u32 v9, vcc_lo, s6, v4
	s_delay_alu instid0(VALU_DEP_4)
	v_add_co_ci_u32_e32 v10, vcc_lo, s7, v5, vcc_lo
	v_cmpx_gt_i32_e64 s11, v3
	s_cbranch_execz .LBB31_55
; %bb.45:
	s_and_saveexec_b32 s5, s1
	s_delay_alu instid0(SALU_CYCLE_1)
	s_xor_b32 s5, exec_lo, s5
	s_cbranch_execz .LBB31_50
; %bb.46:
	v_ashrrev_i32_e32 v4, 31, v3
	s_and_b32 vcc_lo, exec_lo, s0
	s_mov_b32 s6, -1
	s_cbranch_vccz .LBB31_48
; %bb.47:
	s_delay_alu instid0(VALU_DEP_1) | instskip(SKIP_3) | instid1(VALU_DEP_2)
	v_lshlrev_b64 v[5:6], 3, v[3:4]
	v_mul_f32_e64 v13, v1, -v15
	v_mul_f32_e32 v21, v1, v14
	s_mov_b32 s6, 0
	v_fmac_f32_e32 v13, v14, v19
	s_delay_alu instid0(VALU_DEP_4)
	v_add_co_u32 v5, vcc_lo, v9, v5
	v_add_co_ci_u32_e32 v6, vcc_lo, v10, v6, vcc_lo
	v_fmac_f32_e32 v21, v15, v19
	global_load_b64 v[11:12], v[5:6], off
	s_waitcnt vmcnt(0)
	v_fmac_f32_e32 v13, v16, v11
	v_fmac_f32_e32 v21, v17, v11
	s_delay_alu instid0(VALU_DEP_2) | instskip(NEXT) | instid1(VALU_DEP_2)
	v_fma_f32 v20, -v17, v12, v13
	v_fmac_f32_e32 v21, v16, v12
	global_store_b64 v[5:6], v[20:21], off
.LBB31_48:
	s_and_not1_b32 vcc_lo, exec_lo, s6
	s_cbranch_vccnz .LBB31_50
; %bb.49:
	v_mul_lo_u32 v6, v4, s2
	v_mul_lo_u32 v11, v3, s3
	v_mad_u64_u32 v[4:5], null, v3, s2, 0
	s_delay_alu instid0(VALU_DEP_1) | instskip(SKIP_2) | instid1(VALU_DEP_3)
	v_add3_u32 v5, v5, v11, v6
	v_mul_f32_e64 v11, v1, -v15
	v_mul_f32_e32 v12, v1, v14
                                        ; implicit-def: $vgpr1
	v_lshlrev_b64 v[3:4], 3, v[4:5]
	s_delay_alu instid0(VALU_DEP_3) | instskip(NEXT) | instid1(VALU_DEP_2)
	v_fmac_f32_e32 v11, v14, v19
	v_add_co_u32 v3, vcc_lo, v7, v3
	s_delay_alu instid0(VALU_DEP_3) | instskip(SKIP_4) | instid1(VALU_DEP_2)
	v_add_co_ci_u32_e32 v4, vcc_lo, v8, v4, vcc_lo
	global_load_b64 v[5:6], v[3:4], off
	v_fmac_f32_e32 v12, v15, v19
                                        ; implicit-def: $vgpr19
	s_waitcnt vmcnt(0)
	v_fmac_f32_e32 v11, v16, v5
	v_fmac_f32_e32 v12, v17, v5
	s_delay_alu instid0(VALU_DEP_2) | instskip(NEXT) | instid1(VALU_DEP_2)
	v_fma_f32 v11, -v17, v6, v11
	v_fmac_f32_e32 v12, v16, v6
	global_store_b64 v[3:4], v[11:12], off
                                        ; implicit-def: $vgpr3
.LBB31_50:
	s_and_not1_saveexec_b32 s5, s5
	s_cbranch_execz .LBB31_55
; %bb.51:
	v_mul_f32_e64 v5, v1, -v15
	v_mul_f32_e32 v6, v1, v14
	v_ashrrev_i32_e32 v4, 31, v3
	s_and_b32 vcc_lo, exec_lo, s0
	s_mov_b32 s5, -1
	v_fmac_f32_e32 v5, v14, v19
	v_fmac_f32_e32 v6, v15, v19
	s_cbranch_vccz .LBB31_53
; %bb.52:
	v_lshlrev_b64 v[11:12], 3, v[3:4]
	s_mov_b32 s5, 0
	s_delay_alu instid0(VALU_DEP_1) | instskip(NEXT) | instid1(VALU_DEP_2)
	v_add_co_u32 v11, vcc_lo, v9, v11
	v_add_co_ci_u32_e32 v12, vcc_lo, v10, v12, vcc_lo
	global_store_b64 v[11:12], v[5:6], off
.LBB31_53:
	s_and_not1_b32 vcc_lo, exec_lo, s5
	s_cbranch_vccnz .LBB31_55
; %bb.54:
	v_mul_lo_u32 v1, v4, s2
	v_mul_lo_u32 v4, v3, s3
	v_mad_u64_u32 v[11:12], null, v3, s2, 0
	s_delay_alu instid0(VALU_DEP_1) | instskip(NEXT) | instid1(VALU_DEP_1)
	v_add3_u32 v12, v12, v4, v1
	v_lshlrev_b64 v[3:4], 3, v[11:12]
	s_delay_alu instid0(VALU_DEP_1) | instskip(NEXT) | instid1(VALU_DEP_2)
	v_add_co_u32 v3, vcc_lo, v7, v3
	v_add_co_ci_u32_e32 v4, vcc_lo, v8, v4, vcc_lo
	global_store_b64 v[3:4], v[5:6], off
.LBB31_55:
	s_or_b32 exec_lo, exec_lo, s4
	v_cmp_gt_i32_e32 vcc_lo, s11, v0
	s_and_b32 exec_lo, exec_lo, vcc_lo
	s_cbranch_execz .LBB31_66
; %bb.56:
	s_and_saveexec_b32 s4, s1
	s_delay_alu instid0(SALU_CYCLE_1)
	s_xor_b32 s1, exec_lo, s4
	s_cbranch_execz .LBB31_61
; %bb.57:
	v_ashrrev_i32_e32 v1, 31, v0
	s_and_not1_b32 vcc_lo, exec_lo, s0
	s_mov_b32 s4, -1
	s_cbranch_vccnz .LBB31_59
; %bb.58:
	s_delay_alu instid0(VALU_DEP_1) | instskip(SKIP_1) | instid1(VALU_DEP_1)
	v_lshlrev_b64 v[3:4], 3, v[0:1]
	s_mov_b32 s4, 0
	v_add_co_u32 v3, vcc_lo, v9, v3
	s_delay_alu instid0(VALU_DEP_2) | instskip(SKIP_4) | instid1(VALU_DEP_1)
	v_add_co_ci_u32_e32 v4, vcc_lo, v10, v4, vcc_lo
	v_mul_f32_e64 v9, v2, -v15
	global_load_b64 v[5:6], v[3:4], off
	v_fmac_f32_e32 v9, v14, v18
	s_waitcnt vmcnt(0)
	v_dual_mul_f32 v10, v2, v14 :: v_dual_fmac_f32 v9, v16, v5
	s_delay_alu instid0(VALU_DEP_1) | instskip(NEXT) | instid1(VALU_DEP_2)
	v_fmac_f32_e32 v10, v15, v18
	v_fma_f32 v9, -v17, v6, v9
	s_delay_alu instid0(VALU_DEP_2) | instskip(NEXT) | instid1(VALU_DEP_1)
	v_fmac_f32_e32 v10, v17, v5
	v_fmac_f32_e32 v10, v16, v6
	global_store_b64 v[3:4], v[9:10], off
.LBB31_59:
	s_and_not1_b32 vcc_lo, exec_lo, s4
                                        ; implicit-def: $vgpr9
                                        ; implicit-def: $vgpr10
	s_cbranch_vccnz .LBB31_61
; %bb.60:
	v_mul_lo_u32 v1, v1, s2
	v_mul_lo_u32 v5, v0, s3
	v_mad_u64_u32 v[3:4], null, v0, s2, 0
                                        ; implicit-def: $vgpr9
                                        ; implicit-def: $vgpr10
	s_delay_alu instid0(VALU_DEP_1) | instskip(SKIP_1) | instid1(VALU_DEP_2)
	v_add3_u32 v4, v4, v5, v1
	v_mul_f32_e64 v5, v2, -v15
	v_lshlrev_b64 v[0:1], 3, v[3:4]
	s_delay_alu instid0(VALU_DEP_1) | instskip(NEXT) | instid1(VALU_DEP_2)
	v_add_co_u32 v0, vcc_lo, v7, v0
	v_add_co_ci_u32_e32 v1, vcc_lo, v8, v1, vcc_lo
                                        ; implicit-def: $vgpr7
                                        ; implicit-def: $vgpr8
	global_load_b64 v[3:4], v[0:1], off
	v_fmac_f32_e32 v5, v14, v18
	v_mul_f32_e32 v6, v2, v14
                                        ; implicit-def: $vgpr14
                                        ; implicit-def: $vgpr2
	s_waitcnt vmcnt(0)
	s_delay_alu instid0(VALU_DEP_1) | instskip(NEXT) | instid1(VALU_DEP_1)
	v_dual_fmac_f32 v5, v16, v3 :: v_dual_fmac_f32 v6, v15, v18
                                        ; implicit-def: $vgpr15
                                        ; implicit-def: $vgpr18
	v_fma_f32 v5, -v17, v4, v5
	s_delay_alu instid0(VALU_DEP_2) | instskip(NEXT) | instid1(VALU_DEP_1)
	v_fmac_f32_e32 v6, v17, v3
	v_fmac_f32_e32 v6, v16, v4
	global_store_b64 v[0:1], v[5:6], off
                                        ; implicit-def: $vgpr0
.LBB31_61:
	s_and_not1_saveexec_b32 s1, s1
	s_cbranch_execz .LBB31_66
; %bb.62:
	v_mul_f32_e64 v3, v2, -v15
	v_mul_f32_e32 v4, v2, v14
	v_ashrrev_i32_e32 v1, 31, v0
	s_and_not1_b32 vcc_lo, exec_lo, s0
	s_mov_b32 s0, -1
	v_fmac_f32_e32 v3, v14, v18
	v_fmac_f32_e32 v4, v15, v18
	s_cbranch_vccnz .LBB31_64
; %bb.63:
	v_lshlrev_b64 v[5:6], 3, v[0:1]
	s_mov_b32 s0, 0
	s_delay_alu instid0(VALU_DEP_1) | instskip(NEXT) | instid1(VALU_DEP_2)
	v_add_co_u32 v5, vcc_lo, v9, v5
	v_add_co_ci_u32_e32 v6, vcc_lo, v10, v6, vcc_lo
	global_store_b64 v[5:6], v[3:4], off
.LBB31_64:
	s_and_not1_b32 vcc_lo, exec_lo, s0
	s_cbranch_vccnz .LBB31_66
; %bb.65:
	v_mul_lo_u32 v5, v1, s2
	v_mul_lo_u32 v6, v0, s3
	v_mad_u64_u32 v[1:2], null, v0, s2, 0
	s_delay_alu instid0(VALU_DEP_1) | instskip(NEXT) | instid1(VALU_DEP_1)
	v_add3_u32 v2, v2, v6, v5
	v_lshlrev_b64 v[0:1], 3, v[1:2]
	s_delay_alu instid0(VALU_DEP_1) | instskip(NEXT) | instid1(VALU_DEP_2)
	v_add_co_u32 v0, vcc_lo, v7, v0
	v_add_co_ci_u32_e32 v1, vcc_lo, v8, v1, vcc_lo
	global_store_b64 v[0:1], v[3:4], off
.LBB31_66:
	s_nop 0
	s_sendmsg sendmsg(MSG_DEALLOC_VGPRS)
	s_endpgm
	.section	.rodata,"a",@progbits
	.p2align	6, 0x0
	.amdhsa_kernel _ZN9rocsparseL31bsrmm_large_blockdim_kernel_extILj32ELj32ELj2Eli21rocsparse_complex_numIfES2_S2_S2_EEvb20rocsparse_direction_T3_S4_llNS_24const_host_device_scalarIT7_EEPKT2_PKS4_PKT4_S4_PKT5_llS7_PT6_ll16rocsparse_order_21rocsparse_index_base_b
		.amdhsa_group_segment_fixed_size 24576
		.amdhsa_private_segment_fixed_size 0
		.amdhsa_kernarg_size 140
		.amdhsa_user_sgpr_count 14
		.amdhsa_user_sgpr_dispatch_ptr 0
		.amdhsa_user_sgpr_queue_ptr 0
		.amdhsa_user_sgpr_kernarg_segment_ptr 1
		.amdhsa_user_sgpr_dispatch_id 0
		.amdhsa_user_sgpr_private_segment_size 0
		.amdhsa_wavefront_size32 1
		.amdhsa_uses_dynamic_stack 0
		.amdhsa_enable_private_segment 0
		.amdhsa_system_sgpr_workgroup_id_x 1
		.amdhsa_system_sgpr_workgroup_id_y 1
		.amdhsa_system_sgpr_workgroup_id_z 0
		.amdhsa_system_sgpr_workgroup_info 0
		.amdhsa_system_vgpr_workitem_id 1
		.amdhsa_next_free_vgpr 44
		.amdhsa_next_free_sgpr 36
		.amdhsa_reserve_vcc 1
		.amdhsa_float_round_mode_32 0
		.amdhsa_float_round_mode_16_64 0
		.amdhsa_float_denorm_mode_32 3
		.amdhsa_float_denorm_mode_16_64 3
		.amdhsa_dx10_clamp 1
		.amdhsa_ieee_mode 1
		.amdhsa_fp16_overflow 0
		.amdhsa_workgroup_processor_mode 1
		.amdhsa_memory_ordered 1
		.amdhsa_forward_progress 0
		.amdhsa_shared_vgpr_count 0
		.amdhsa_exception_fp_ieee_invalid_op 0
		.amdhsa_exception_fp_denorm_src 0
		.amdhsa_exception_fp_ieee_div_zero 0
		.amdhsa_exception_fp_ieee_overflow 0
		.amdhsa_exception_fp_ieee_underflow 0
		.amdhsa_exception_fp_ieee_inexact 0
		.amdhsa_exception_int_div_zero 0
	.end_amdhsa_kernel
	.section	.text._ZN9rocsparseL31bsrmm_large_blockdim_kernel_extILj32ELj32ELj2Eli21rocsparse_complex_numIfES2_S2_S2_EEvb20rocsparse_direction_T3_S4_llNS_24const_host_device_scalarIT7_EEPKT2_PKS4_PKT4_S4_PKT5_llS7_PT6_ll16rocsparse_order_21rocsparse_index_base_b,"axG",@progbits,_ZN9rocsparseL31bsrmm_large_blockdim_kernel_extILj32ELj32ELj2Eli21rocsparse_complex_numIfES2_S2_S2_EEvb20rocsparse_direction_T3_S4_llNS_24const_host_device_scalarIT7_EEPKT2_PKS4_PKT4_S4_PKT5_llS7_PT6_ll16rocsparse_order_21rocsparse_index_base_b,comdat
.Lfunc_end31:
	.size	_ZN9rocsparseL31bsrmm_large_blockdim_kernel_extILj32ELj32ELj2Eli21rocsparse_complex_numIfES2_S2_S2_EEvb20rocsparse_direction_T3_S4_llNS_24const_host_device_scalarIT7_EEPKT2_PKS4_PKT4_S4_PKT5_llS7_PT6_ll16rocsparse_order_21rocsparse_index_base_b, .Lfunc_end31-_ZN9rocsparseL31bsrmm_large_blockdim_kernel_extILj32ELj32ELj2Eli21rocsparse_complex_numIfES2_S2_S2_EEvb20rocsparse_direction_T3_S4_llNS_24const_host_device_scalarIT7_EEPKT2_PKS4_PKT4_S4_PKT5_llS7_PT6_ll16rocsparse_order_21rocsparse_index_base_b
                                        ; -- End function
	.section	.AMDGPU.csdata,"",@progbits
; Kernel info:
; codeLenInByte = 3316
; NumSgprs: 38
; NumVgprs: 44
; ScratchSize: 0
; MemoryBound: 0
; FloatMode: 240
; IeeeMode: 1
; LDSByteSize: 24576 bytes/workgroup (compile time only)
; SGPRBlocks: 4
; VGPRBlocks: 5
; NumSGPRsForWavesPerEU: 38
; NumVGPRsForWavesPerEU: 44
; Occupancy: 16
; WaveLimiterHint : 1
; COMPUTE_PGM_RSRC2:SCRATCH_EN: 0
; COMPUTE_PGM_RSRC2:USER_SGPR: 14
; COMPUTE_PGM_RSRC2:TRAP_HANDLER: 0
; COMPUTE_PGM_RSRC2:TGID_X_EN: 1
; COMPUTE_PGM_RSRC2:TGID_Y_EN: 1
; COMPUTE_PGM_RSRC2:TGID_Z_EN: 0
; COMPUTE_PGM_RSRC2:TIDIG_COMP_CNT: 1
	.section	.text._ZN9rocsparseL31bsrmm_large_blockdim_kernel_extILj8ELj8ELj2Ell21rocsparse_complex_numIfES2_S2_S2_EEvb20rocsparse_direction_T3_S4_llNS_24const_host_device_scalarIT7_EEPKT2_PKS4_PKT4_S4_PKT5_llS7_PT6_ll16rocsparse_order_21rocsparse_index_base_b,"axG",@progbits,_ZN9rocsparseL31bsrmm_large_blockdim_kernel_extILj8ELj8ELj2Ell21rocsparse_complex_numIfES2_S2_S2_EEvb20rocsparse_direction_T3_S4_llNS_24const_host_device_scalarIT7_EEPKT2_PKS4_PKT4_S4_PKT5_llS7_PT6_ll16rocsparse_order_21rocsparse_index_base_b,comdat
	.globl	_ZN9rocsparseL31bsrmm_large_blockdim_kernel_extILj8ELj8ELj2Ell21rocsparse_complex_numIfES2_S2_S2_EEvb20rocsparse_direction_T3_S4_llNS_24const_host_device_scalarIT7_EEPKT2_PKS4_PKT4_S4_PKT5_llS7_PT6_ll16rocsparse_order_21rocsparse_index_base_b ; -- Begin function _ZN9rocsparseL31bsrmm_large_blockdim_kernel_extILj8ELj8ELj2Ell21rocsparse_complex_numIfES2_S2_S2_EEvb20rocsparse_direction_T3_S4_llNS_24const_host_device_scalarIT7_EEPKT2_PKS4_PKT4_S4_PKT5_llS7_PT6_ll16rocsparse_order_21rocsparse_index_base_b
	.p2align	8
	.type	_ZN9rocsparseL31bsrmm_large_blockdim_kernel_extILj8ELj8ELj2Ell21rocsparse_complex_numIfES2_S2_S2_EEvb20rocsparse_direction_T3_S4_llNS_24const_host_device_scalarIT7_EEPKT2_PKS4_PKT4_S4_PKT5_llS7_PT6_ll16rocsparse_order_21rocsparse_index_base_b,@function
_ZN9rocsparseL31bsrmm_large_blockdim_kernel_extILj8ELj8ELj2Ell21rocsparse_complex_numIfES2_S2_S2_EEvb20rocsparse_direction_T3_S4_llNS_24const_host_device_scalarIT7_EEPKT2_PKS4_PKT4_S4_PKT5_llS7_PT6_ll16rocsparse_order_21rocsparse_index_base_b: ; @_ZN9rocsparseL31bsrmm_large_blockdim_kernel_extILj8ELj8ELj2Ell21rocsparse_complex_numIfES2_S2_S2_EEvb20rocsparse_direction_T3_S4_llNS_24const_host_device_scalarIT7_EEPKT2_PKS4_PKT4_S4_PKT5_llS7_PT6_ll16rocsparse_order_21rocsparse_index_base_b
; %bb.0:
	s_clause 0x2
	s_load_b128 s[8:11], s[0:1], 0x88
	s_load_b64 s[6:7], s[0:1], 0x28
	s_load_b64 s[4:5], s[0:1], 0x68
	s_mov_b32 s2, s15
	s_waitcnt lgkmcnt(0)
	s_bitcmp1_b32 s10, 0
	v_mov_b32_e32 v15, s6
	s_cselect_b32 s3, -1, 0
	s_delay_alu instid0(SALU_CYCLE_1)
	s_and_b32 vcc_lo, exec_lo, s3
	s_xor_b32 s3, s3, -1
	s_cbranch_vccz .LBB32_40
; %bb.1:
	v_cndmask_b32_e64 v1, 0, 1, s3
	v_mov_b32_e32 v16, s7
	s_and_not1_b32 vcc_lo, exec_lo, s3
	s_cbranch_vccz .LBB32_41
.LBB32_2:
	s_delay_alu instid0(VALU_DEP_2)
	v_cmp_ne_u32_e32 vcc_lo, 1, v1
	v_mov_b32_e32 v17, s4
	s_cbranch_vccz .LBB32_42
.LBB32_3:
	v_cmp_ne_u32_e32 vcc_lo, 1, v1
	v_mov_b32_e32 v18, s5
	s_cbranch_vccnz .LBB32_5
.LBB32_4:
	v_dual_mov_b32 v1, s4 :: v_dual_mov_b32 v2, s5
	flat_load_b32 v18, v[1:2] offset:4
.LBB32_5:
	s_waitcnt vmcnt(0) lgkmcnt(0)
	v_cmp_eq_f32_e32 vcc_lo, 0, v15
	v_cmp_eq_f32_e64 s3, 0, v16
	s_delay_alu instid0(VALU_DEP_1)
	s_and_b32 s5, vcc_lo, s3
	s_mov_b32 s3, -1
	s_and_saveexec_b32 s4, s5
; %bb.6:
	v_cmp_neq_f32_e32 vcc_lo, 1.0, v17
	v_cmp_neq_f32_e64 s3, 0, v18
	s_delay_alu instid0(VALU_DEP_1) | instskip(NEXT) | instid1(SALU_CYCLE_1)
	s_or_b32 s3, vcc_lo, s3
	s_or_not1_b32 s3, s3, exec_lo
; %bb.7:
	s_or_b32 exec_lo, exec_lo, s4
	s_and_saveexec_b32 s4, s3
	s_cbranch_execz .LBB32_66
; %bb.8:
	s_clause 0x1
	s_load_b128 s[4:7], s[0:1], 0x8
	s_load_b64 s[10:11], s[0:1], 0x30
	s_ashr_i32 s15, s14, 31
	s_mov_b64 s[12:13], 0
	s_mov_b64 s[24:25], 0
	s_waitcnt lgkmcnt(0)
	v_cmp_ge_i64_e64 s3, s[14:15], s[4:5]
	v_cmp_lt_i64_e64 s33, s[14:15], s[4:5]
	s_delay_alu instid0(VALU_DEP_2)
	s_and_b32 vcc_lo, exec_lo, s3
	s_cbranch_vccnz .LBB32_10
; %bb.9:
	s_lshl_b64 s[4:5], s[14:15], 3
	s_delay_alu instid0(SALU_CYCLE_1)
	s_add_u32 s4, s10, s4
	s_addc_u32 s5, s11, s5
	s_load_b64 s[4:5], s[4:5], 0x0
	s_waitcnt lgkmcnt(0)
	s_sub_u32 s24, s4, s9
	s_subb_u32 s25, s5, 0
.LBB32_10:
	s_delay_alu instid0(VALU_DEP_1)
	s_and_not1_b32 vcc_lo, exec_lo, s33
	s_cbranch_vccnz .LBB32_12
; %bb.11:
	s_lshl_b64 s[4:5], s[14:15], 3
	s_delay_alu instid0(SALU_CYCLE_1)
	s_add_u32 s4, s10, s4
	s_addc_u32 s5, s11, s5
	s_load_b64 s[4:5], s[4:5], 0x8
	s_waitcnt lgkmcnt(0)
	s_sub_u32 s12, s4, s9
	s_subb_u32 s13, s5, 0
.LBB32_12:
	s_clause 0x1
	s_load_b64 s[26:27], s[0:1], 0x48
	s_load_b64 s[10:11], s[0:1], 0x70
	v_bfe_u32 v1, v0, 10, 10
	v_dual_mov_b32 v6, 0 :: v_dual_and_b32 v7, 0x3ff, v0
	s_mov_b32 s29, 0
	s_delay_alu instid0(VALU_DEP_2) | instskip(SKIP_1) | instid1(VALU_DEP_3)
	v_lshl_add_u32 v5, s2, 4, v1
	v_cmp_ge_i64_e64 s2, s[24:25], s[12:13]
	v_mov_b32_e32 v4, v6
	v_mov_b32_e32 v8, v6
	;; [unrolled: 1-line block ×3, first 2 shown]
	v_add_nc_u32_e32 v3, 8, v5
	v_cmp_gt_i64_e64 s3, s[6:7], v[5:6]
	s_and_b32 vcc_lo, exec_lo, s2
	v_mov_b32_e32 v20, v6
	v_mov_b32_e32 v19, v6
	v_cmp_gt_i64_e64 s4, s[6:7], v[3:4]
	v_mov_b32_e32 v2, v6
	s_waitcnt lgkmcnt(0)
	v_cmp_gt_i64_e64 s2, s[26:27], v[7:8]
	s_cbranch_vccnz .LBB32_43
; %bb.13:
	v_mad_u64_u32 v[9:10], null, v1, s26, 0
	s_clause 0x1
	s_load_b128 s[16:19], s[0:1], 0x38
	s_load_b128 s[20:23], s[0:1], 0x50
	v_mad_u64_u32 v[11:12], null, v7, s26, 0
	v_dual_mov_b32 v2, 0 :: v_dual_lshlrev_b32 v19, 3, v7
	s_load_b64 s[30:31], s[0:1], 0x0
	s_delay_alu instid0(VALU_DEP_3) | instskip(NEXT) | instid1(VALU_DEP_2)
	v_dual_mov_b32 v0, v10 :: v_dual_lshlrev_b32 v21, 3, v1
	v_cmp_gt_i64_e32 vcc_lo, s[26:27], v[1:2]
	s_mul_i32 s5, s26, s27
	s_mul_hi_u32 s28, s26, s26
	s_delay_alu instid0(VALU_DEP_2)
	v_mad_u64_u32 v[13:14], null, v1, s27, v[0:1]
	v_mov_b32_e32 v0, v12
	s_and_b32 s35, s2, vcc_lo
	s_add_i32 s28, s28, s5
	v_add_nc_u32_e32 v24, v19, v1
	s_add_i32 s34, s28, s5
	v_lshlrev_b32_e32 v28, 6, v1
	s_delay_alu instid0(VALU_DEP_4) | instskip(SKIP_3) | instid1(VALU_DEP_3)
	v_mov_b32_e32 v10, v13
	v_mad_u64_u32 v[12:13], null, v7, s27, v[0:1]
	s_waitcnt lgkmcnt(0)
	v_mad_u64_u32 v[13:14], null, v3, s22, 0
	v_lshlrev_b64 v[9:10], 3, v[9:10]
	v_add_co_u32 v22, s28, s20, v19
	s_bitcmp1_b32 s30, 0
	s_delay_alu instid0(VALU_DEP_4) | instskip(SKIP_1) | instid1(VALU_DEP_3)
	v_lshlrev_b64 v[11:12], 3, v[11:12]
	s_cselect_b32 s5, -1, 0
	v_add_co_u32 v0, vcc_lo, s18, v9
	v_add_co_ci_u32_e32 v20, vcc_lo, s19, v10, vcc_lo
	v_mad_u64_u32 v[9:10], null, v5, s22, 0
	s_delay_alu instid0(VALU_DEP_3) | instskip(NEXT) | instid1(VALU_DEP_3)
	v_add_co_u32 v27, vcc_lo, v0, v19
	v_add_co_ci_u32_e32 v26, vcc_lo, 0, v20, vcc_lo
	s_cmp_eq_u32 s31, 0
	v_add_co_ci_u32_e64 v23, null, s21, 0, s28
	s_delay_alu instid0(VALU_DEP_4) | instskip(SKIP_3) | instid1(VALU_DEP_4)
	v_mov_b32_e32 v0, v10
	v_mov_b32_e32 v10, v14
	v_add_co_u32 v14, vcc_lo, s18, v11
	v_add_co_ci_u32_e32 v25, vcc_lo, s19, v12, vcc_lo
	v_mad_u64_u32 v[11:12], null, v5, s23, v[0:1]
	v_cmp_gt_i64_e64 s18, s[26:27], 0
	s_delay_alu instid0(VALU_DEP_4) | instskip(NEXT) | instid1(VALU_DEP_4)
	v_add_co_u32 v0, vcc_lo, v14, v21
	v_add_co_ci_u32_e32 v12, vcc_lo, 0, v25, vcc_lo
	s_cselect_b32 vcc_lo, -1, 0
	s_delay_alu instid0(VALU_DEP_4) | instskip(NEXT) | instid1(VALU_DEP_3)
	v_mad_u64_u32 v[19:20], null, v3, s23, v[10:11]
	v_cndmask_b32_e32 v27, v27, v0, vcc_lo
	v_mov_b32_e32 v10, v11
	s_and_b32 s36, s3, s18
	s_and_b32 s37, s4, s18
	s_add_u32 s30, s26, -1
	s_addc_u32 s31, s27, -1
	s_delay_alu instid0(VALU_DEP_3)
	v_mov_b32_e32 v14, v19
	v_cndmask_b32_e32 v26, v26, v12, vcc_lo
	s_and_b32 s28, s26, 3
	v_lshlrev_b64 v[0:1], 3, v[9:10]
	v_lshlrev_b64 v[11:12], 3, v[5:6]
	;; [unrolled: 1-line block ×4, first 2 shown]
	v_cmp_gt_u64_e64 s38, s[30:31], 2
	v_add_lshl_u32 v25, v21, v7, 3
	s_and_b32 s19, s27, 0x7fffffff
	s_and_b32 s18, s26, -4
	v_lshl_add_u32 v29, v7, 6, 0x400
	v_dual_mov_b32 v19, v2 :: v_dual_add_nc_u32 v30, 0x200, v28
	v_mov_b32_e32 v20, v2
	v_mov_b32_e32 v21, v2
	v_lshl_add_u32 v24, v24, 3, 0x400
	s_cmp_lg_u64 s[28:29], 0
	s_mul_i32 s15, s26, s26
	s_cselect_b32 s39, -1, 0
	s_branch .LBB32_16
.LBB32_14:                              ;   in Loop: Header=BB32_16 Depth=1
	s_or_b32 exec_lo, exec_lo, s41
.LBB32_15:                              ;   in Loop: Header=BB32_16 Depth=1
	s_delay_alu instid0(SALU_CYCLE_1) | instskip(SKIP_2) | instid1(SALU_CYCLE_1)
	s_or_b32 exec_lo, exec_lo, s40
	s_add_u32 s24, s24, 1
	s_addc_u32 s25, s25, 0
	v_cmp_ge_i64_e64 s30, s[24:25], s[12:13]
	s_barrier
	buffer_gl0_inv
	s_and_b32 vcc_lo, exec_lo, s30
	s_cbranch_vccnz .LBB32_43
.LBB32_16:                              ; =>This Loop Header: Depth=1
                                        ;     Child Loop BB32_27 Depth 2
                                        ;     Child Loop BB32_31 Depth 2
	;; [unrolled: 1-line block ×4, first 2 shown]
	s_and_saveexec_b32 s30, s2
	s_cbranch_execz .LBB32_21
; %bb.17:                               ;   in Loop: Header=BB32_16 Depth=1
	s_lshl_b64 s[40:41], s[24:25], 3
	s_delay_alu instid0(SALU_CYCLE_1)
	s_add_u32 s40, s16, s40
	s_addc_u32 s41, s17, s41
	s_load_b64 s[40:41], s[40:41], 0x0
	s_waitcnt lgkmcnt(0)
	s_sub_u32 s31, s40, s9
	s_subb_u32 s40, s41, 0
	s_mul_i32 s41, s31, s27
	s_mul_hi_u32 s42, s31, s26
	s_mul_i32 s43, s40, s26
	s_add_i32 s41, s42, s41
	s_mul_i32 s40, s31, s26
	s_add_i32 s41, s41, s43
	v_add_co_u32 v33, s31, s40, v7
	s_delay_alu instid0(VALU_DEP_1) | instskip(SKIP_1) | instid1(VALU_DEP_2)
	v_add_co_ci_u32_e64 v34, null, s41, 0, s31
	s_lshl_b64 s[40:41], s[40:41], 3
	v_mul_lo_u32 v35, v33, s23
	v_mad_u64_u32 v[31:32], null, v33, s22, 0
	s_delay_alu instid0(VALU_DEP_3) | instskip(NEXT) | instid1(VALU_DEP_1)
	v_mul_lo_u32 v33, v34, s22
	v_add3_u32 v32, v32, v35, v33
	s_delay_alu instid0(VALU_DEP_1) | instskip(NEXT) | instid1(VALU_DEP_1)
	v_lshlrev_b64 v[31:32], 3, v[31:32]
	v_add_co_u32 v31, vcc_lo, s20, v31
	s_delay_alu instid0(VALU_DEP_2)
	v_add_co_ci_u32_e32 v32, vcc_lo, s21, v32, vcc_lo
	v_add_co_u32 v33, vcc_lo, v22, s40
	v_add_co_ci_u32_e32 v34, vcc_lo, s41, v23, vcc_lo
	s_and_saveexec_b32 s31, s3
	s_cbranch_execz .LBB32_19
; %bb.18:                               ;   in Loop: Header=BB32_16 Depth=1
	s_delay_alu instid0(VALU_DEP_2) | instskip(NEXT) | instid1(VALU_DEP_2)
	v_add_co_u32 v35, vcc_lo, v33, v0
	v_add_co_ci_u32_e32 v36, vcc_lo, v34, v1, vcc_lo
	v_add_co_u32 v37, vcc_lo, v31, v11
	v_add_co_ci_u32_e32 v38, vcc_lo, v32, v12, vcc_lo
	s_delay_alu instid0(VALU_DEP_2) | instskip(NEXT) | instid1(VALU_DEP_2)
	v_cndmask_b32_e64 v35, v37, v35, s5
	v_cndmask_b32_e64 v36, v38, v36, s5
	global_load_b64 v[35:36], v[35:36], off
	s_waitcnt vmcnt(0)
	ds_store_b64 v25, v[35:36]
.LBB32_19:                              ;   in Loop: Header=BB32_16 Depth=1
	s_or_b32 exec_lo, exec_lo, s31
	s_delay_alu instid0(SALU_CYCLE_1)
	s_and_b32 exec_lo, exec_lo, s4
	s_cbranch_execz .LBB32_21
; %bb.20:                               ;   in Loop: Header=BB32_16 Depth=1
	v_add_co_u32 v33, vcc_lo, v33, v9
	v_add_co_ci_u32_e32 v34, vcc_lo, v34, v10, vcc_lo
	v_add_co_u32 v31, vcc_lo, v31, v13
	v_add_co_ci_u32_e32 v32, vcc_lo, v32, v14, vcc_lo
	s_delay_alu instid0(VALU_DEP_2) | instskip(NEXT) | instid1(VALU_DEP_2)
	v_cndmask_b32_e64 v31, v31, v33, s5
	v_cndmask_b32_e64 v32, v32, v34, s5
	global_load_b64 v[31:32], v[31:32], off
	s_waitcnt vmcnt(0)
	ds_store_b64 v25, v[31:32] offset:512
.LBB32_21:                              ;   in Loop: Header=BB32_16 Depth=1
	s_or_b32 exec_lo, exec_lo, s30
	s_and_saveexec_b32 s30, s35
	s_cbranch_execz .LBB32_23
; %bb.22:                               ;   in Loop: Header=BB32_16 Depth=1
	s_mul_i32 s31, s15, s25
	s_mul_hi_u32 s40, s15, s24
	s_mul_i32 s41, s34, s24
	s_add_i32 s31, s40, s31
	s_mul_i32 s40, s15, s24
	s_add_i32 s41, s31, s41
	s_delay_alu instid0(SALU_CYCLE_1) | instskip(NEXT) | instid1(SALU_CYCLE_1)
	s_lshl_b64 s[40:41], s[40:41], 3
	v_add_co_u32 v31, vcc_lo, v27, s40
	v_add_co_ci_u32_e32 v32, vcc_lo, s41, v26, vcc_lo
	global_load_b64 v[31:32], v[31:32], off
	s_waitcnt vmcnt(0)
	ds_store_b64 v24, v[31:32]
.LBB32_23:                              ;   in Loop: Header=BB32_16 Depth=1
	s_or_b32 exec_lo, exec_lo, s30
	s_waitcnt lgkmcnt(0)
	s_barrier
	buffer_gl0_inv
	s_and_saveexec_b32 s40, s2
	s_cbranch_execz .LBB32_15
; %bb.24:                               ;   in Loop: Header=BB32_16 Depth=1
	s_and_saveexec_b32 s41, s36
	s_cbranch_execz .LBB32_32
; %bb.25:                               ;   in Loop: Header=BB32_16 Depth=1
	s_and_not1_b32 vcc_lo, exec_lo, s38
	s_cbranch_vccnz .LBB32_29
; %bb.26:                               ;   in Loop: Header=BB32_16 Depth=1
	v_dual_mov_b32 v31, v29 :: v_dual_mov_b32 v32, v28
	s_mov_b64 s[30:31], 0
	s_set_inst_prefetch_distance 0x1
	.p2align	6
.LBB32_27:                              ;   Parent Loop BB32_16 Depth=1
                                        ; =>  This Inner Loop Header: Depth=2
	ds_load_b128 v[33:36], v32
	ds_load_b128 v[37:40], v31
	ds_load_b128 v[41:44], v31 offset:16
	ds_load_b128 v[45:48], v32 offset:16
	s_add_u32 s30, s30, 4
	v_add_nc_u32_e32 v32, 32, v32
	s_addc_u32 s31, s31, 0
	v_add_nc_u32_e32 v31, 32, v31
	s_cmp_lg_u64 s[18:19], s[30:31]
	s_waitcnt lgkmcnt(2)
	v_fmac_f32_e32 v20, v38, v33
	s_delay_alu instid0(VALU_DEP_1) | instskip(NEXT) | instid1(VALU_DEP_1)
	v_fmac_f32_e32 v20, v37, v34
	v_dual_fmac_f32 v21, v37, v33 :: v_dual_fmac_f32 v20, v40, v35
	s_delay_alu instid0(VALU_DEP_1) | instskip(NEXT) | instid1(VALU_DEP_1)
	v_fma_f32 v21, -v38, v34, v21
	v_fmac_f32_e32 v21, v39, v35
	s_delay_alu instid0(VALU_DEP_1) | instskip(SKIP_1) | instid1(VALU_DEP_1)
	v_fma_f32 v21, -v40, v36, v21
	s_waitcnt lgkmcnt(0)
	v_dual_fmac_f32 v20, v39, v36 :: v_dual_fmac_f32 v21, v41, v45
	s_delay_alu instid0(VALU_DEP_1) | instskip(NEXT) | instid1(VALU_DEP_2)
	v_fmac_f32_e32 v20, v42, v45
	v_fma_f32 v21, -v42, v46, v21
	s_delay_alu instid0(VALU_DEP_1) | instskip(NEXT) | instid1(VALU_DEP_1)
	v_dual_fmac_f32 v20, v41, v46 :: v_dual_fmac_f32 v21, v43, v47
	v_fmac_f32_e32 v20, v44, v47
	s_delay_alu instid0(VALU_DEP_2) | instskip(NEXT) | instid1(VALU_DEP_2)
	v_fma_f32 v21, -v44, v48, v21
	v_fmac_f32_e32 v20, v43, v48
	s_cbranch_scc1 .LBB32_27
; %bb.28:                               ;   in Loop: Header=BB32_16 Depth=1
	s_set_inst_prefetch_distance 0x2
	s_mov_b64 s[30:31], s[18:19]
	s_and_not1_b32 vcc_lo, exec_lo, s39
	s_cbranch_vccz .LBB32_30
	s_branch .LBB32_32
.LBB32_29:                              ;   in Loop: Header=BB32_16 Depth=1
	s_mov_b64 s[30:31], 0
	s_and_not1_b32 vcc_lo, exec_lo, s39
	s_cbranch_vccnz .LBB32_32
.LBB32_30:                              ;   in Loop: Header=BB32_16 Depth=1
	s_lshl_b32 s30, s30, 3
	s_delay_alu instid0(SALU_CYCLE_1)
	v_add_nc_u32_e32 v31, s30, v28
	v_add_nc_u32_e32 v32, s30, v29
	s_mov_b64 s[30:31], s[28:29]
.LBB32_31:                              ;   Parent Loop BB32_16 Depth=1
                                        ; =>  This Inner Loop Header: Depth=2
	ds_load_b64 v[33:34], v32
	ds_load_b64 v[35:36], v31
	s_add_u32 s30, s30, -1
	s_addc_u32 s31, s31, -1
	v_add_nc_u32_e32 v32, 8, v32
	s_cmp_lg_u64 s[30:31], 0
	s_waitcnt lgkmcnt(0)
	v_fmac_f32_e32 v21, v33, v35
	v_fmac_f32_e32 v20, v34, v35
	v_add_nc_u32_e32 v31, 8, v31
	s_delay_alu instid0(VALU_DEP_3) | instskip(NEXT) | instid1(VALU_DEP_3)
	v_fma_f32 v21, -v34, v36, v21
	v_fmac_f32_e32 v20, v33, v36
	s_cbranch_scc1 .LBB32_31
.LBB32_32:                              ;   in Loop: Header=BB32_16 Depth=1
	s_or_b32 exec_lo, exec_lo, s41
	s_and_saveexec_b32 s41, s37
	s_cbranch_execz .LBB32_14
; %bb.33:                               ;   in Loop: Header=BB32_16 Depth=1
	s_and_not1_b32 vcc_lo, exec_lo, s38
	s_cbranch_vccnz .LBB32_37
; %bb.34:                               ;   in Loop: Header=BB32_16 Depth=1
	v_dual_mov_b32 v31, v29 :: v_dual_mov_b32 v32, v30
	s_mov_b64 s[30:31], 0
	s_set_inst_prefetch_distance 0x1
	.p2align	6
.LBB32_35:                              ;   Parent Loop BB32_16 Depth=1
                                        ; =>  This Inner Loop Header: Depth=2
	ds_load_b128 v[33:36], v32
	ds_load_b128 v[37:40], v31
	ds_load_b128 v[41:44], v31 offset:16
	ds_load_b128 v[45:48], v32 offset:16
	s_add_u32 s30, s30, 4
	v_add_nc_u32_e32 v32, 32, v32
	s_addc_u32 s31, s31, 0
	v_add_nc_u32_e32 v31, 32, v31
	s_cmp_lg_u64 s[18:19], s[30:31]
	s_waitcnt lgkmcnt(2)
	v_fmac_f32_e32 v2, v38, v33
	s_delay_alu instid0(VALU_DEP_1) | instskip(NEXT) | instid1(VALU_DEP_1)
	v_fmac_f32_e32 v2, v37, v34
	v_dual_fmac_f32 v19, v37, v33 :: v_dual_fmac_f32 v2, v40, v35
	s_delay_alu instid0(VALU_DEP_1) | instskip(NEXT) | instid1(VALU_DEP_1)
	v_fma_f32 v19, -v38, v34, v19
	v_fmac_f32_e32 v19, v39, v35
	s_delay_alu instid0(VALU_DEP_1) | instskip(SKIP_1) | instid1(VALU_DEP_1)
	v_fma_f32 v19, -v40, v36, v19
	s_waitcnt lgkmcnt(0)
	v_dual_fmac_f32 v2, v39, v36 :: v_dual_fmac_f32 v19, v41, v45
	s_delay_alu instid0(VALU_DEP_1) | instskip(NEXT) | instid1(VALU_DEP_2)
	v_fmac_f32_e32 v2, v42, v45
	v_fma_f32 v19, -v42, v46, v19
	s_delay_alu instid0(VALU_DEP_1) | instskip(NEXT) | instid1(VALU_DEP_1)
	v_dual_fmac_f32 v2, v41, v46 :: v_dual_fmac_f32 v19, v43, v47
	v_fmac_f32_e32 v2, v44, v47
	s_delay_alu instid0(VALU_DEP_2) | instskip(NEXT) | instid1(VALU_DEP_2)
	v_fma_f32 v19, -v44, v48, v19
	v_fmac_f32_e32 v2, v43, v48
	s_cbranch_scc1 .LBB32_35
; %bb.36:                               ;   in Loop: Header=BB32_16 Depth=1
	s_set_inst_prefetch_distance 0x2
	s_mov_b64 s[30:31], s[18:19]
	s_and_not1_b32 vcc_lo, exec_lo, s39
	s_cbranch_vccz .LBB32_38
	s_branch .LBB32_14
.LBB32_37:                              ;   in Loop: Header=BB32_16 Depth=1
	s_mov_b64 s[30:31], 0
	s_and_not1_b32 vcc_lo, exec_lo, s39
	s_cbranch_vccnz .LBB32_14
.LBB32_38:                              ;   in Loop: Header=BB32_16 Depth=1
	s_lshl_b32 s30, s30, 3
	s_delay_alu instid0(SALU_CYCLE_1)
	v_add_nc_u32_e32 v31, s30, v30
	v_add_nc_u32_e32 v32, s30, v29
	s_mov_b64 s[30:31], s[28:29]
.LBB32_39:                              ;   Parent Loop BB32_16 Depth=1
                                        ; =>  This Inner Loop Header: Depth=2
	ds_load_b64 v[33:34], v32
	ds_load_b64 v[35:36], v31
	s_add_u32 s30, s30, -1
	s_addc_u32 s31, s31, -1
	v_add_nc_u32_e32 v32, 8, v32
	s_cmp_lg_u64 s[30:31], 0
	s_waitcnt lgkmcnt(0)
	v_fmac_f32_e32 v19, v33, v35
	v_fmac_f32_e32 v2, v34, v35
	v_add_nc_u32_e32 v31, 8, v31
	s_delay_alu instid0(VALU_DEP_3) | instskip(NEXT) | instid1(VALU_DEP_3)
	v_fma_f32 v19, -v34, v36, v19
	v_fmac_f32_e32 v2, v33, v36
	s_cbranch_scc1 .LBB32_39
	s_branch .LBB32_14
.LBB32_40:
	v_dual_mov_b32 v1, s6 :: v_dual_mov_b32 v2, s7
	flat_load_b32 v15, v[1:2]
	v_cndmask_b32_e64 v1, 0, 1, s3
	v_mov_b32_e32 v16, s7
	s_and_not1_b32 vcc_lo, exec_lo, s3
	s_cbranch_vccnz .LBB32_2
.LBB32_41:
	v_dual_mov_b32 v2, s6 :: v_dual_mov_b32 v3, s7
	flat_load_b32 v16, v[2:3] offset:4
	v_cmp_ne_u32_e32 vcc_lo, 1, v1
	v_mov_b32_e32 v17, s4
	s_cbranch_vccnz .LBB32_3
.LBB32_42:
	v_dual_mov_b32 v2, s4 :: v_dual_mov_b32 v3, s5
	flat_load_b32 v17, v[2:3]
	v_cmp_ne_u32_e32 vcc_lo, 1, v1
	v_mov_b32_e32 v18, s5
	s_cbranch_vccz .LBB32_4
	s_branch .LBB32_5
.LBB32_43:
	s_delay_alu instid0(VALU_DEP_1) | instskip(NEXT) | instid1(SALU_CYCLE_1)
	s_and_b32 s2, s33, s2
	s_and_b32 exec_lo, exec_lo, s2
	s_cbranch_execz .LBB32_66
; %bb.44:
	s_load_b64 s[2:3], s[0:1], 0x78
	v_mad_u64_u32 v[0:1], null, s14, s26, v[7:8]
	v_cmp_neq_f32_e32 vcc_lo, 0, v17
	v_cmp_neq_f32_e64 s0, 0, v18
	s_mov_b32 s5, exec_lo
	s_delay_alu instid0(VALU_DEP_1) | instskip(NEXT) | instid1(VALU_DEP_3)
	s_or_b32 s4, vcc_lo, s0
	v_mad_u64_u32 v[7:8], null, s14, s27, v[1:2]
	s_cmp_lg_u32 s8, 1
	s_cselect_b32 s0, -1, 0
	s_waitcnt lgkmcnt(0)
	v_mul_lo_u32 v1, v0, s3
	v_mad_u64_u32 v[8:9], null, v0, s2, 0
	s_delay_alu instid0(VALU_DEP_3) | instskip(NEXT) | instid1(VALU_DEP_1)
	v_mul_lo_u32 v10, v7, s2
	v_add3_u32 v9, v9, v1, v10
	v_mov_b32_e32 v1, v7
	s_delay_alu instid0(VALU_DEP_2) | instskip(NEXT) | instid1(VALU_DEP_2)
	v_lshlrev_b64 v[7:8], 3, v[8:9]
	v_lshlrev_b64 v[0:1], 3, v[0:1]
	s_delay_alu instid0(VALU_DEP_2) | instskip(NEXT) | instid1(VALU_DEP_3)
	v_add_co_u32 v9, vcc_lo, s10, v7
	v_add_co_ci_u32_e32 v10, vcc_lo, s11, v8, vcc_lo
	s_delay_alu instid0(VALU_DEP_3) | instskip(NEXT) | instid1(VALU_DEP_4)
	v_add_co_u32 v7, vcc_lo, s10, v0
	v_add_co_ci_u32_e32 v8, vcc_lo, s11, v1, vcc_lo
	v_cmpx_gt_i64_e64 s[6:7], v[5:6]
	s_cbranch_execz .LBB32_55
; %bb.45:
	s_and_saveexec_b32 s1, s4
	s_delay_alu instid0(SALU_CYCLE_1)
	s_xor_b32 s1, exec_lo, s1
	s_cbranch_execz .LBB32_50
; %bb.46:
	s_and_b32 vcc_lo, exec_lo, s0
	s_mov_b32 s8, -1
	s_cbranch_vccz .LBB32_48
; %bb.47:
	v_lshlrev_b64 v[0:1], 3, v[5:6]
	v_mul_f32_e64 v6, v20, -v16
	v_mul_f32_e32 v14, v20, v15
	s_mov_b32 s8, 0
	s_delay_alu instid0(VALU_DEP_2) | instskip(NEXT) | instid1(VALU_DEP_4)
	v_fmac_f32_e32 v6, v15, v21
	v_add_co_u32 v0, vcc_lo, v9, v0
	v_add_co_ci_u32_e32 v1, vcc_lo, v10, v1, vcc_lo
	v_fmac_f32_e32 v14, v16, v21
	global_load_b64 v[11:12], v[0:1], off
	s_waitcnt vmcnt(0)
	v_fmac_f32_e32 v6, v17, v11
	v_fmac_f32_e32 v14, v18, v11
	s_delay_alu instid0(VALU_DEP_2) | instskip(NEXT) | instid1(VALU_DEP_2)
	v_fma_f32 v13, -v18, v12, v6
	v_fmac_f32_e32 v14, v17, v12
	global_store_b64 v[0:1], v[13:14], off
.LBB32_48:
	s_and_not1_b32 vcc_lo, exec_lo, s8
	s_cbranch_vccnz .LBB32_50
; %bb.49:
	v_mad_u64_u32 v[0:1], null, v5, s2, 0
	s_delay_alu instid0(VALU_DEP_1) | instskip(SKIP_1) | instid1(VALU_DEP_1)
	v_mad_u64_u32 v[11:12], null, v5, s3, v[1:2]
	v_mul_f32_e32 v12, v20, v15
	v_dual_fmac_f32 v12, v16, v21 :: v_dual_mov_b32 v1, v11
	v_mul_f32_e64 v11, v20, -v16
                                        ; implicit-def: $vgpr20
	s_delay_alu instid0(VALU_DEP_2) | instskip(NEXT) | instid1(VALU_DEP_1)
	v_lshlrev_b64 v[0:1], 3, v[0:1]
	v_add_co_u32 v0, vcc_lo, v7, v0
	s_delay_alu instid0(VALU_DEP_2) | instskip(SKIP_4) | instid1(VALU_DEP_2)
	v_add_co_ci_u32_e32 v1, vcc_lo, v8, v1, vcc_lo
	global_load_b64 v[5:6], v[0:1], off
	s_waitcnt vmcnt(0)
	v_fmac_f32_e32 v12, v18, v5
	v_fmac_f32_e32 v11, v15, v21
                                        ; implicit-def: $vgpr21
	v_fmac_f32_e32 v12, v17, v6
	s_delay_alu instid0(VALU_DEP_2) | instskip(NEXT) | instid1(VALU_DEP_1)
	v_fmac_f32_e32 v11, v17, v5
	v_fma_f32 v11, -v18, v6, v11
                                        ; implicit-def: $vgpr5_vgpr6
	global_store_b64 v[0:1], v[11:12], off
.LBB32_50:
	s_and_not1_saveexec_b32 s1, s1
	s_cbranch_execz .LBB32_55
; %bb.51:
	v_mul_f32_e64 v0, v20, -v16
	v_mul_f32_e32 v1, v20, v15
	s_and_b32 vcc_lo, exec_lo, s0
	s_mov_b32 s1, -1
	s_delay_alu instid0(VALU_DEP_2) | instskip(NEXT) | instid1(VALU_DEP_2)
	v_fmac_f32_e32 v0, v15, v21
	v_fmac_f32_e32 v1, v16, v21
	s_cbranch_vccz .LBB32_53
; %bb.52:
	v_lshlrev_b64 v[11:12], 3, v[5:6]
	s_mov_b32 s1, 0
	s_delay_alu instid0(VALU_DEP_1) | instskip(NEXT) | instid1(VALU_DEP_2)
	v_add_co_u32 v11, vcc_lo, v9, v11
	v_add_co_ci_u32_e32 v12, vcc_lo, v10, v12, vcc_lo
	global_store_b64 v[11:12], v[0:1], off
.LBB32_53:
	s_and_not1_b32 vcc_lo, exec_lo, s1
	s_cbranch_vccnz .LBB32_55
; %bb.54:
	v_mad_u64_u32 v[11:12], null, v5, s2, 0
	s_delay_alu instid0(VALU_DEP_1) | instskip(NEXT) | instid1(VALU_DEP_1)
	v_mov_b32_e32 v6, v12
	v_mad_u64_u32 v[12:13], null, v5, s3, v[6:7]
	s_delay_alu instid0(VALU_DEP_1) | instskip(NEXT) | instid1(VALU_DEP_1)
	v_lshlrev_b64 v[5:6], 3, v[11:12]
	v_add_co_u32 v5, vcc_lo, v7, v5
	s_delay_alu instid0(VALU_DEP_2)
	v_add_co_ci_u32_e32 v6, vcc_lo, v8, v6, vcc_lo
	global_store_b64 v[5:6], v[0:1], off
.LBB32_55:
	s_or_b32 exec_lo, exec_lo, s5
	v_cmp_gt_i64_e32 vcc_lo, s[6:7], v[3:4]
	s_and_b32 exec_lo, exec_lo, vcc_lo
	s_cbranch_execz .LBB32_66
; %bb.56:
	s_and_saveexec_b32 s1, s4
	s_delay_alu instid0(SALU_CYCLE_1)
	s_xor_b32 s1, exec_lo, s1
	s_cbranch_execz .LBB32_61
; %bb.57:
	s_and_not1_b32 vcc_lo, exec_lo, s0
	s_mov_b32 s4, -1
	s_cbranch_vccnz .LBB32_59
; %bb.58:
	v_lshlrev_b64 v[0:1], 3, v[3:4]
	v_mul_f32_e64 v6, v2, -v16
	s_mov_b32 s4, 0
	s_delay_alu instid0(VALU_DEP_1) | instskip(NEXT) | instid1(VALU_DEP_3)
	v_fmac_f32_e32 v6, v15, v19
	v_add_co_u32 v0, vcc_lo, v9, v0
	s_delay_alu instid0(VALU_DEP_4)
	v_add_co_ci_u32_e32 v1, vcc_lo, v10, v1, vcc_lo
	v_mul_f32_e32 v10, v2, v15
	global_load_b64 v[4:5], v[0:1], off
	v_fmac_f32_e32 v10, v16, v19
	s_waitcnt vmcnt(0)
	v_fmac_f32_e32 v6, v17, v4
	s_delay_alu instid0(VALU_DEP_2) | instskip(NEXT) | instid1(VALU_DEP_2)
	v_fmac_f32_e32 v10, v18, v4
	v_fma_f32 v9, -v18, v5, v6
	s_delay_alu instid0(VALU_DEP_2)
	v_fmac_f32_e32 v10, v17, v5
	global_store_b64 v[0:1], v[9:10], off
.LBB32_59:
	s_and_not1_b32 vcc_lo, exec_lo, s4
                                        ; implicit-def: $vgpr9
                                        ; implicit-def: $vgpr10
	s_cbranch_vccnz .LBB32_61
; %bb.60:
	v_mad_u64_u32 v[0:1], null, v3, s2, 0
                                        ; implicit-def: $vgpr9
                                        ; implicit-def: $vgpr10
	v_mul_f32_e32 v6, v2, v15
	s_delay_alu instid0(VALU_DEP_1) | instskip(NEXT) | instid1(VALU_DEP_3)
	v_fmac_f32_e32 v6, v16, v19
	v_mad_u64_u32 v[4:5], null, v3, s3, v[1:2]
	v_mul_f32_e64 v5, v2, -v16
                                        ; implicit-def: $vgpr16
                                        ; implicit-def: $vgpr2
	s_delay_alu instid0(VALU_DEP_2) | instskip(NEXT) | instid1(VALU_DEP_1)
	v_mov_b32_e32 v1, v4
	v_lshlrev_b64 v[0:1], 3, v[0:1]
	s_delay_alu instid0(VALU_DEP_1) | instskip(NEXT) | instid1(VALU_DEP_2)
	v_add_co_u32 v0, vcc_lo, v7, v0
	v_add_co_ci_u32_e32 v1, vcc_lo, v8, v1, vcc_lo
                                        ; implicit-def: $vgpr7
                                        ; implicit-def: $vgpr8
	global_load_b64 v[3:4], v[0:1], off
	s_waitcnt vmcnt(0)
	v_fmac_f32_e32 v6, v18, v3
	v_fmac_f32_e32 v5, v15, v19
                                        ; implicit-def: $vgpr15
                                        ; implicit-def: $vgpr19
	s_delay_alu instid0(VALU_DEP_2) | instskip(NEXT) | instid1(VALU_DEP_2)
	v_fmac_f32_e32 v6, v17, v4
	v_fmac_f32_e32 v5, v17, v3
	s_delay_alu instid0(VALU_DEP_1)
	v_fma_f32 v5, -v18, v4, v5
                                        ; implicit-def: $vgpr3_vgpr4
	global_store_b64 v[0:1], v[5:6], off
.LBB32_61:
	s_and_not1_saveexec_b32 s1, s1
	s_cbranch_execz .LBB32_66
; %bb.62:
	v_mul_f32_e64 v0, v2, -v16
	v_mul_f32_e32 v1, v2, v15
	s_and_not1_b32 vcc_lo, exec_lo, s0
	s_mov_b32 s0, -1
	s_delay_alu instid0(VALU_DEP_2) | instskip(NEXT) | instid1(VALU_DEP_2)
	v_fmac_f32_e32 v0, v15, v19
	v_fmac_f32_e32 v1, v16, v19
	s_cbranch_vccnz .LBB32_64
; %bb.63:
	v_lshlrev_b64 v[4:5], 3, v[3:4]
	s_mov_b32 s0, 0
	s_delay_alu instid0(VALU_DEP_1) | instskip(NEXT) | instid1(VALU_DEP_2)
	v_add_co_u32 v4, vcc_lo, v9, v4
	v_add_co_ci_u32_e32 v5, vcc_lo, v10, v5, vcc_lo
	global_store_b64 v[4:5], v[0:1], off
.LBB32_64:
	s_and_not1_b32 vcc_lo, exec_lo, s0
	s_cbranch_vccnz .LBB32_66
; %bb.65:
	v_mad_u64_u32 v[4:5], null, v3, s2, 0
	s_delay_alu instid0(VALU_DEP_1) | instskip(NEXT) | instid1(VALU_DEP_1)
	v_mov_b32_e32 v2, v5
	v_mad_u64_u32 v[5:6], null, v3, s3, v[2:3]
	s_delay_alu instid0(VALU_DEP_1) | instskip(NEXT) | instid1(VALU_DEP_1)
	v_lshlrev_b64 v[2:3], 3, v[4:5]
	v_add_co_u32 v2, vcc_lo, v7, v2
	s_delay_alu instid0(VALU_DEP_2)
	v_add_co_ci_u32_e32 v3, vcc_lo, v8, v3, vcc_lo
	global_store_b64 v[2:3], v[0:1], off
.LBB32_66:
	s_nop 0
	s_sendmsg sendmsg(MSG_DEALLOC_VGPRS)
	s_endpgm
	.section	.rodata,"a",@progbits
	.p2align	6, 0x0
	.amdhsa_kernel _ZN9rocsparseL31bsrmm_large_blockdim_kernel_extILj8ELj8ELj2Ell21rocsparse_complex_numIfES2_S2_S2_EEvb20rocsparse_direction_T3_S4_llNS_24const_host_device_scalarIT7_EEPKT2_PKS4_PKT4_S4_PKT5_llS7_PT6_ll16rocsparse_order_21rocsparse_index_base_b
		.amdhsa_group_segment_fixed_size 1536
		.amdhsa_private_segment_fixed_size 0
		.amdhsa_kernarg_size 148
		.amdhsa_user_sgpr_count 14
		.amdhsa_user_sgpr_dispatch_ptr 0
		.amdhsa_user_sgpr_queue_ptr 0
		.amdhsa_user_sgpr_kernarg_segment_ptr 1
		.amdhsa_user_sgpr_dispatch_id 0
		.amdhsa_user_sgpr_private_segment_size 0
		.amdhsa_wavefront_size32 1
		.amdhsa_uses_dynamic_stack 0
		.amdhsa_enable_private_segment 0
		.amdhsa_system_sgpr_workgroup_id_x 1
		.amdhsa_system_sgpr_workgroup_id_y 1
		.amdhsa_system_sgpr_workgroup_id_z 0
		.amdhsa_system_sgpr_workgroup_info 0
		.amdhsa_system_vgpr_workitem_id 1
		.amdhsa_next_free_vgpr 49
		.amdhsa_next_free_sgpr 44
		.amdhsa_reserve_vcc 1
		.amdhsa_float_round_mode_32 0
		.amdhsa_float_round_mode_16_64 0
		.amdhsa_float_denorm_mode_32 3
		.amdhsa_float_denorm_mode_16_64 3
		.amdhsa_dx10_clamp 1
		.amdhsa_ieee_mode 1
		.amdhsa_fp16_overflow 0
		.amdhsa_workgroup_processor_mode 1
		.amdhsa_memory_ordered 1
		.amdhsa_forward_progress 0
		.amdhsa_shared_vgpr_count 0
		.amdhsa_exception_fp_ieee_invalid_op 0
		.amdhsa_exception_fp_denorm_src 0
		.amdhsa_exception_fp_ieee_div_zero 0
		.amdhsa_exception_fp_ieee_overflow 0
		.amdhsa_exception_fp_ieee_underflow 0
		.amdhsa_exception_fp_ieee_inexact 0
		.amdhsa_exception_int_div_zero 0
	.end_amdhsa_kernel
	.section	.text._ZN9rocsparseL31bsrmm_large_blockdim_kernel_extILj8ELj8ELj2Ell21rocsparse_complex_numIfES2_S2_S2_EEvb20rocsparse_direction_T3_S4_llNS_24const_host_device_scalarIT7_EEPKT2_PKS4_PKT4_S4_PKT5_llS7_PT6_ll16rocsparse_order_21rocsparse_index_base_b,"axG",@progbits,_ZN9rocsparseL31bsrmm_large_blockdim_kernel_extILj8ELj8ELj2Ell21rocsparse_complex_numIfES2_S2_S2_EEvb20rocsparse_direction_T3_S4_llNS_24const_host_device_scalarIT7_EEPKT2_PKS4_PKT4_S4_PKT5_llS7_PT6_ll16rocsparse_order_21rocsparse_index_base_b,comdat
.Lfunc_end32:
	.size	_ZN9rocsparseL31bsrmm_large_blockdim_kernel_extILj8ELj8ELj2Ell21rocsparse_complex_numIfES2_S2_S2_EEvb20rocsparse_direction_T3_S4_llNS_24const_host_device_scalarIT7_EEPKT2_PKS4_PKT4_S4_PKT5_llS7_PT6_ll16rocsparse_order_21rocsparse_index_base_b, .Lfunc_end32-_ZN9rocsparseL31bsrmm_large_blockdim_kernel_extILj8ELj8ELj2Ell21rocsparse_complex_numIfES2_S2_S2_EEvb20rocsparse_direction_T3_S4_llNS_24const_host_device_scalarIT7_EEPKT2_PKS4_PKT4_S4_PKT5_llS7_PT6_ll16rocsparse_order_21rocsparse_index_base_b
                                        ; -- End function
	.section	.AMDGPU.csdata,"",@progbits
; Kernel info:
; codeLenInByte = 3152
; NumSgprs: 46
; NumVgprs: 49
; ScratchSize: 0
; MemoryBound: 0
; FloatMode: 240
; IeeeMode: 1
; LDSByteSize: 1536 bytes/workgroup (compile time only)
; SGPRBlocks: 5
; VGPRBlocks: 6
; NumSGPRsForWavesPerEU: 46
; NumVGPRsForWavesPerEU: 49
; Occupancy: 16
; WaveLimiterHint : 1
; COMPUTE_PGM_RSRC2:SCRATCH_EN: 0
; COMPUTE_PGM_RSRC2:USER_SGPR: 14
; COMPUTE_PGM_RSRC2:TRAP_HANDLER: 0
; COMPUTE_PGM_RSRC2:TGID_X_EN: 1
; COMPUTE_PGM_RSRC2:TGID_Y_EN: 1
; COMPUTE_PGM_RSRC2:TGID_Z_EN: 0
; COMPUTE_PGM_RSRC2:TIDIG_COMP_CNT: 1
	.section	.text._ZN9rocsparseL31bsrmm_large_blockdim_kernel_extILj4ELj16ELj2Ell21rocsparse_complex_numIfES2_S2_S2_EEvb20rocsparse_direction_T3_S4_llNS_24const_host_device_scalarIT7_EEPKT2_PKS4_PKT4_S4_PKT5_llS7_PT6_ll16rocsparse_order_21rocsparse_index_base_b,"axG",@progbits,_ZN9rocsparseL31bsrmm_large_blockdim_kernel_extILj4ELj16ELj2Ell21rocsparse_complex_numIfES2_S2_S2_EEvb20rocsparse_direction_T3_S4_llNS_24const_host_device_scalarIT7_EEPKT2_PKS4_PKT4_S4_PKT5_llS7_PT6_ll16rocsparse_order_21rocsparse_index_base_b,comdat
	.globl	_ZN9rocsparseL31bsrmm_large_blockdim_kernel_extILj4ELj16ELj2Ell21rocsparse_complex_numIfES2_S2_S2_EEvb20rocsparse_direction_T3_S4_llNS_24const_host_device_scalarIT7_EEPKT2_PKS4_PKT4_S4_PKT5_llS7_PT6_ll16rocsparse_order_21rocsparse_index_base_b ; -- Begin function _ZN9rocsparseL31bsrmm_large_blockdim_kernel_extILj4ELj16ELj2Ell21rocsparse_complex_numIfES2_S2_S2_EEvb20rocsparse_direction_T3_S4_llNS_24const_host_device_scalarIT7_EEPKT2_PKS4_PKT4_S4_PKT5_llS7_PT6_ll16rocsparse_order_21rocsparse_index_base_b
	.p2align	8
	.type	_ZN9rocsparseL31bsrmm_large_blockdim_kernel_extILj4ELj16ELj2Ell21rocsparse_complex_numIfES2_S2_S2_EEvb20rocsparse_direction_T3_S4_llNS_24const_host_device_scalarIT7_EEPKT2_PKS4_PKT4_S4_PKT5_llS7_PT6_ll16rocsparse_order_21rocsparse_index_base_b,@function
_ZN9rocsparseL31bsrmm_large_blockdim_kernel_extILj4ELj16ELj2Ell21rocsparse_complex_numIfES2_S2_S2_EEvb20rocsparse_direction_T3_S4_llNS_24const_host_device_scalarIT7_EEPKT2_PKS4_PKT4_S4_PKT5_llS7_PT6_ll16rocsparse_order_21rocsparse_index_base_b: ; @_ZN9rocsparseL31bsrmm_large_blockdim_kernel_extILj4ELj16ELj2Ell21rocsparse_complex_numIfES2_S2_S2_EEvb20rocsparse_direction_T3_S4_llNS_24const_host_device_scalarIT7_EEPKT2_PKS4_PKT4_S4_PKT5_llS7_PT6_ll16rocsparse_order_21rocsparse_index_base_b
; %bb.0:
	s_clause 0x2
	s_load_b128 s[8:11], s[0:1], 0x88
	s_load_b64 s[6:7], s[0:1], 0x28
	s_load_b64 s[4:5], s[0:1], 0x68
	s_mov_b32 s2, s15
	s_waitcnt lgkmcnt(0)
	s_bitcmp1_b32 s10, 0
	v_mov_b32_e32 v15, s6
	s_cselect_b32 s3, -1, 0
	s_delay_alu instid0(SALU_CYCLE_1)
	s_and_b32 vcc_lo, exec_lo, s3
	s_xor_b32 s3, s3, -1
	s_cbranch_vccz .LBB33_40
; %bb.1:
	v_cndmask_b32_e64 v1, 0, 1, s3
	v_mov_b32_e32 v16, s7
	s_and_not1_b32 vcc_lo, exec_lo, s3
	s_cbranch_vccz .LBB33_41
.LBB33_2:
	s_delay_alu instid0(VALU_DEP_2)
	v_cmp_ne_u32_e32 vcc_lo, 1, v1
	v_mov_b32_e32 v17, s4
	s_cbranch_vccz .LBB33_42
.LBB33_3:
	v_cmp_ne_u32_e32 vcc_lo, 1, v1
	v_mov_b32_e32 v18, s5
	s_cbranch_vccnz .LBB33_5
.LBB33_4:
	v_dual_mov_b32 v1, s4 :: v_dual_mov_b32 v2, s5
	flat_load_b32 v18, v[1:2] offset:4
.LBB33_5:
	s_waitcnt vmcnt(0) lgkmcnt(0)
	v_cmp_eq_f32_e32 vcc_lo, 0, v15
	v_cmp_eq_f32_e64 s3, 0, v16
	s_delay_alu instid0(VALU_DEP_1)
	s_and_b32 s5, vcc_lo, s3
	s_mov_b32 s3, -1
	s_and_saveexec_b32 s4, s5
; %bb.6:
	v_cmp_neq_f32_e32 vcc_lo, 1.0, v17
	v_cmp_neq_f32_e64 s3, 0, v18
	s_delay_alu instid0(VALU_DEP_1) | instskip(NEXT) | instid1(SALU_CYCLE_1)
	s_or_b32 s3, vcc_lo, s3
	s_or_not1_b32 s3, s3, exec_lo
; %bb.7:
	s_or_b32 exec_lo, exec_lo, s4
	s_and_saveexec_b32 s4, s3
	s_cbranch_execz .LBB33_66
; %bb.8:
	s_clause 0x1
	s_load_b128 s[4:7], s[0:1], 0x8
	s_load_b64 s[10:11], s[0:1], 0x30
	s_ashr_i32 s15, s14, 31
	s_mov_b64 s[12:13], 0
	s_mov_b64 s[24:25], 0
	s_waitcnt lgkmcnt(0)
	v_cmp_ge_i64_e64 s3, s[14:15], s[4:5]
	v_cmp_lt_i64_e64 s33, s[14:15], s[4:5]
	s_delay_alu instid0(VALU_DEP_2)
	s_and_b32 vcc_lo, exec_lo, s3
	s_cbranch_vccnz .LBB33_10
; %bb.9:
	s_lshl_b64 s[4:5], s[14:15], 3
	s_delay_alu instid0(SALU_CYCLE_1)
	s_add_u32 s4, s10, s4
	s_addc_u32 s5, s11, s5
	s_load_b64 s[4:5], s[4:5], 0x0
	s_waitcnt lgkmcnt(0)
	s_sub_u32 s24, s4, s9
	s_subb_u32 s25, s5, 0
.LBB33_10:
	s_delay_alu instid0(VALU_DEP_1)
	s_and_not1_b32 vcc_lo, exec_lo, s33
	s_cbranch_vccnz .LBB33_12
; %bb.11:
	s_lshl_b64 s[4:5], s[14:15], 3
	s_delay_alu instid0(SALU_CYCLE_1)
	s_add_u32 s4, s10, s4
	s_addc_u32 s5, s11, s5
	s_load_b64 s[4:5], s[4:5], 0x8
	s_waitcnt lgkmcnt(0)
	s_sub_u32 s12, s4, s9
	s_subb_u32 s13, s5, 0
.LBB33_12:
	s_clause 0x1
	s_load_b64 s[26:27], s[0:1], 0x48
	s_load_b64 s[10:11], s[0:1], 0x70
	v_bfe_u32 v1, v0, 10, 10
	v_dual_mov_b32 v6, 0 :: v_dual_and_b32 v7, 0x3ff, v0
	s_mov_b32 s29, 0
	s_delay_alu instid0(VALU_DEP_2) | instskip(SKIP_1) | instid1(VALU_DEP_3)
	v_lshl_add_u32 v5, s2, 5, v1
	v_cmp_ge_i64_e64 s2, s[24:25], s[12:13]
	v_mov_b32_e32 v4, v6
	v_mov_b32_e32 v8, v6
	;; [unrolled: 1-line block ×3, first 2 shown]
	v_add_nc_u32_e32 v3, 16, v5
	v_cmp_gt_i64_e64 s3, s[6:7], v[5:6]
	s_and_b32 vcc_lo, exec_lo, s2
	v_mov_b32_e32 v20, v6
	v_mov_b32_e32 v19, v6
	v_cmp_gt_i64_e64 s4, s[6:7], v[3:4]
	v_mov_b32_e32 v2, v6
	s_waitcnt lgkmcnt(0)
	v_cmp_gt_i64_e64 s2, s[26:27], v[7:8]
	s_cbranch_vccnz .LBB33_43
; %bb.13:
	v_mad_u64_u32 v[9:10], null, v1, s26, 0
	s_clause 0x2
	s_load_b64 s[30:31], s[0:1], 0x0
	s_load_b128 s[16:19], s[0:1], 0x38
	s_load_b128 s[20:23], s[0:1], 0x50
	v_mad_u64_u32 v[11:12], null, v7, s26, 0
	v_dual_mov_b32 v2, 0 :: v_dual_lshlrev_b32 v25, 2, v1
	s_mul_i32 s5, s26, s27
	v_dual_mov_b32 v0, v10 :: v_dual_lshlrev_b32 v19, 3, v7
	s_delay_alu instid0(VALU_DEP_2) | instskip(SKIP_2) | instid1(VALU_DEP_3)
	v_cmp_gt_i64_e32 vcc_lo, s[26:27], v[1:2]
	s_mul_hi_u32 s28, s26, s26
	v_lshl_add_u32 v21, v7, 2, v1
	v_mad_u64_u32 v[13:14], null, v1, s27, v[0:1]
	v_mov_b32_e32 v0, v12
	s_and_b32 s35, s2, vcc_lo
	s_add_i32 s28, s28, s5
	v_lshl_add_u32 v24, v21, 3, 0x400
	s_add_i32 s34, s28, s5
	s_waitcnt lgkmcnt(0)
	s_bitcmp1_b32 s30, 0
	v_mov_b32_e32 v10, v13
	v_mad_u64_u32 v[12:13], null, v7, s27, v[0:1]
	v_mad_u64_u32 v[13:14], null, v3, s22, 0
	s_delay_alu instid0(VALU_DEP_3) | instskip(SKIP_4) | instid1(VALU_DEP_3)
	v_lshlrev_b64 v[9:10], 3, v[9:10]
	v_add_co_u32 v22, s28, s20, v19
	s_cselect_b32 s5, -1, 0
	s_cmp_eq_u32 s31, 0
	v_lshlrev_b32_e32 v28, 5, v1
	v_add_co_u32 v0, vcc_lo, s18, v9
	v_add_co_ci_u32_e32 v20, vcc_lo, s19, v10, vcc_lo
	v_lshlrev_b64 v[9:10], 3, v[11:12]
	v_mad_u64_u32 v[11:12], null, v5, s22, 0
	s_delay_alu instid0(VALU_DEP_4) | instskip(NEXT) | instid1(VALU_DEP_4)
	v_add_co_u32 v27, vcc_lo, v0, v19
	v_add_co_ci_u32_e32 v26, vcc_lo, 0, v20, vcc_lo
	v_add_co_ci_u32_e64 v23, null, s21, 0, s28
	s_delay_alu instid0(VALU_DEP_4) | instskip(SKIP_3) | instid1(VALU_DEP_4)
	v_mov_b32_e32 v0, v12
	v_add_co_u32 v12, vcc_lo, s18, v9
	v_add_co_ci_u32_e32 v10, vcc_lo, s19, v10, vcc_lo
	v_mov_b32_e32 v9, v14
	v_mad_u64_u32 v[19:20], null, v5, s23, v[0:1]
	v_lshlrev_b32_e32 v14, 3, v1
	v_cmp_gt_i64_e64 s18, s[26:27], 0
	s_delay_alu instid0(VALU_DEP_4) | instskip(SKIP_1) | instid1(VALU_DEP_4)
	v_mad_u64_u32 v[20:21], null, v3, s23, v[9:10]
	v_mov_b32_e32 v21, v2
	v_add_co_u32 v0, vcc_lo, v12, v14
	v_add_co_ci_u32_e32 v9, vcc_lo, 0, v10, vcc_lo
	v_mov_b32_e32 v12, v19
	v_mov_b32_e32 v14, v20
	s_cselect_b32 vcc_lo, -1, 0
	s_and_b32 s36, s3, s18
	s_and_b32 s37, s4, s18
	s_add_u32 s30, s26, -1
	s_addc_u32 s31, s27, -1
	v_dual_cndmask_b32 v26, v26, v9 :: v_dual_cndmask_b32 v27, v27, v0
	s_and_b32 s28, s26, 3
	v_lshlrev_b64 v[0:1], 3, v[11:12]
	v_lshlrev_b64 v[9:10], 3, v[13:14]
	;; [unrolled: 1-line block ×4, first 2 shown]
	v_cmp_gt_u64_e64 s38, s[30:31], 2
	v_add_lshl_u32 v25, v25, v7, 3
	s_and_b32 s19, s27, 0x7fffffff
	s_and_b32 s18, s26, -4
	v_lshl_add_u32 v29, v7, 5, 0x400
	v_dual_mov_b32 v19, v2 :: v_dual_add_nc_u32 v30, 0x200, v28
	v_mov_b32_e32 v20, v2
	s_cmp_lg_u64 s[28:29], 0
	s_mul_i32 s15, s26, s26
	s_cselect_b32 s39, -1, 0
	s_branch .LBB33_16
.LBB33_14:                              ;   in Loop: Header=BB33_16 Depth=1
	s_or_b32 exec_lo, exec_lo, s41
.LBB33_15:                              ;   in Loop: Header=BB33_16 Depth=1
	s_delay_alu instid0(SALU_CYCLE_1) | instskip(SKIP_2) | instid1(SALU_CYCLE_1)
	s_or_b32 exec_lo, exec_lo, s40
	s_add_u32 s24, s24, 1
	s_addc_u32 s25, s25, 0
	v_cmp_ge_i64_e64 s30, s[24:25], s[12:13]
	s_barrier
	buffer_gl0_inv
	s_and_b32 vcc_lo, exec_lo, s30
	s_cbranch_vccnz .LBB33_43
.LBB33_16:                              ; =>This Loop Header: Depth=1
                                        ;     Child Loop BB33_27 Depth 2
                                        ;     Child Loop BB33_31 Depth 2
	;; [unrolled: 1-line block ×4, first 2 shown]
	s_and_saveexec_b32 s30, s2
	s_cbranch_execz .LBB33_21
; %bb.17:                               ;   in Loop: Header=BB33_16 Depth=1
	s_lshl_b64 s[40:41], s[24:25], 3
	s_delay_alu instid0(SALU_CYCLE_1)
	s_add_u32 s40, s16, s40
	s_addc_u32 s41, s17, s41
	s_load_b64 s[40:41], s[40:41], 0x0
	s_waitcnt lgkmcnt(0)
	s_sub_u32 s31, s40, s9
	s_subb_u32 s40, s41, 0
	s_mul_i32 s41, s31, s27
	s_mul_hi_u32 s42, s31, s26
	s_mul_i32 s43, s40, s26
	s_add_i32 s41, s42, s41
	s_mul_i32 s40, s31, s26
	s_add_i32 s41, s41, s43
	v_add_co_u32 v33, s31, s40, v7
	s_delay_alu instid0(VALU_DEP_1) | instskip(SKIP_1) | instid1(VALU_DEP_2)
	v_add_co_ci_u32_e64 v34, null, s41, 0, s31
	s_lshl_b64 s[40:41], s[40:41], 3
	v_mul_lo_u32 v35, v33, s23
	v_mad_u64_u32 v[31:32], null, v33, s22, 0
	s_delay_alu instid0(VALU_DEP_3) | instskip(NEXT) | instid1(VALU_DEP_1)
	v_mul_lo_u32 v33, v34, s22
	v_add3_u32 v32, v32, v35, v33
	s_delay_alu instid0(VALU_DEP_1) | instskip(NEXT) | instid1(VALU_DEP_1)
	v_lshlrev_b64 v[31:32], 3, v[31:32]
	v_add_co_u32 v31, vcc_lo, s20, v31
	s_delay_alu instid0(VALU_DEP_2)
	v_add_co_ci_u32_e32 v32, vcc_lo, s21, v32, vcc_lo
	v_add_co_u32 v33, vcc_lo, v22, s40
	v_add_co_ci_u32_e32 v34, vcc_lo, s41, v23, vcc_lo
	s_and_saveexec_b32 s31, s3
	s_cbranch_execz .LBB33_19
; %bb.18:                               ;   in Loop: Header=BB33_16 Depth=1
	s_delay_alu instid0(VALU_DEP_2) | instskip(NEXT) | instid1(VALU_DEP_2)
	v_add_co_u32 v35, vcc_lo, v33, v0
	v_add_co_ci_u32_e32 v36, vcc_lo, v34, v1, vcc_lo
	v_add_co_u32 v37, vcc_lo, v31, v11
	v_add_co_ci_u32_e32 v38, vcc_lo, v32, v12, vcc_lo
	s_delay_alu instid0(VALU_DEP_2) | instskip(NEXT) | instid1(VALU_DEP_2)
	v_cndmask_b32_e64 v35, v37, v35, s5
	v_cndmask_b32_e64 v36, v38, v36, s5
	global_load_b64 v[35:36], v[35:36], off
	s_waitcnt vmcnt(0)
	ds_store_b64 v25, v[35:36]
.LBB33_19:                              ;   in Loop: Header=BB33_16 Depth=1
	s_or_b32 exec_lo, exec_lo, s31
	s_delay_alu instid0(SALU_CYCLE_1)
	s_and_b32 exec_lo, exec_lo, s4
	s_cbranch_execz .LBB33_21
; %bb.20:                               ;   in Loop: Header=BB33_16 Depth=1
	v_add_co_u32 v33, vcc_lo, v33, v9
	v_add_co_ci_u32_e32 v34, vcc_lo, v34, v10, vcc_lo
	v_add_co_u32 v31, vcc_lo, v31, v13
	v_add_co_ci_u32_e32 v32, vcc_lo, v32, v14, vcc_lo
	s_delay_alu instid0(VALU_DEP_2) | instskip(NEXT) | instid1(VALU_DEP_2)
	v_cndmask_b32_e64 v31, v31, v33, s5
	v_cndmask_b32_e64 v32, v32, v34, s5
	global_load_b64 v[31:32], v[31:32], off
	s_waitcnt vmcnt(0)
	ds_store_b64 v25, v[31:32] offset:512
.LBB33_21:                              ;   in Loop: Header=BB33_16 Depth=1
	s_or_b32 exec_lo, exec_lo, s30
	s_and_saveexec_b32 s30, s35
	s_cbranch_execz .LBB33_23
; %bb.22:                               ;   in Loop: Header=BB33_16 Depth=1
	s_mul_i32 s31, s15, s25
	s_mul_hi_u32 s40, s15, s24
	s_mul_i32 s41, s34, s24
	s_add_i32 s31, s40, s31
	s_mul_i32 s40, s15, s24
	s_add_i32 s41, s31, s41
	s_delay_alu instid0(SALU_CYCLE_1) | instskip(NEXT) | instid1(SALU_CYCLE_1)
	s_lshl_b64 s[40:41], s[40:41], 3
	v_add_co_u32 v31, vcc_lo, v27, s40
	v_add_co_ci_u32_e32 v32, vcc_lo, s41, v26, vcc_lo
	global_load_b64 v[31:32], v[31:32], off
	s_waitcnt vmcnt(0)
	ds_store_b64 v24, v[31:32]
.LBB33_23:                              ;   in Loop: Header=BB33_16 Depth=1
	s_or_b32 exec_lo, exec_lo, s30
	s_waitcnt lgkmcnt(0)
	s_barrier
	buffer_gl0_inv
	s_and_saveexec_b32 s40, s2
	s_cbranch_execz .LBB33_15
; %bb.24:                               ;   in Loop: Header=BB33_16 Depth=1
	s_and_saveexec_b32 s41, s36
	s_cbranch_execz .LBB33_32
; %bb.25:                               ;   in Loop: Header=BB33_16 Depth=1
	s_and_not1_b32 vcc_lo, exec_lo, s38
	s_cbranch_vccnz .LBB33_29
; %bb.26:                               ;   in Loop: Header=BB33_16 Depth=1
	v_dual_mov_b32 v31, v29 :: v_dual_mov_b32 v32, v28
	s_mov_b64 s[30:31], 0
	s_set_inst_prefetch_distance 0x1
	.p2align	6
.LBB33_27:                              ;   Parent Loop BB33_16 Depth=1
                                        ; =>  This Inner Loop Header: Depth=2
	ds_load_b128 v[33:36], v32
	ds_load_b128 v[37:40], v31
	ds_load_b128 v[41:44], v31 offset:16
	ds_load_b128 v[45:48], v32 offset:16
	s_add_u32 s30, s30, 4
	v_add_nc_u32_e32 v32, 32, v32
	s_addc_u32 s31, s31, 0
	v_add_nc_u32_e32 v31, 32, v31
	s_cmp_lg_u64 s[18:19], s[30:31]
	s_waitcnt lgkmcnt(2)
	v_fmac_f32_e32 v20, v38, v33
	s_delay_alu instid0(VALU_DEP_1) | instskip(NEXT) | instid1(VALU_DEP_1)
	v_fmac_f32_e32 v20, v37, v34
	v_dual_fmac_f32 v21, v37, v33 :: v_dual_fmac_f32 v20, v40, v35
	s_delay_alu instid0(VALU_DEP_1) | instskip(NEXT) | instid1(VALU_DEP_1)
	v_fma_f32 v21, -v38, v34, v21
	v_fmac_f32_e32 v21, v39, v35
	s_delay_alu instid0(VALU_DEP_1) | instskip(SKIP_1) | instid1(VALU_DEP_1)
	v_fma_f32 v21, -v40, v36, v21
	s_waitcnt lgkmcnt(0)
	v_dual_fmac_f32 v20, v39, v36 :: v_dual_fmac_f32 v21, v41, v45
	s_delay_alu instid0(VALU_DEP_1) | instskip(NEXT) | instid1(VALU_DEP_2)
	v_fmac_f32_e32 v20, v42, v45
	v_fma_f32 v21, -v42, v46, v21
	s_delay_alu instid0(VALU_DEP_1) | instskip(NEXT) | instid1(VALU_DEP_1)
	v_dual_fmac_f32 v20, v41, v46 :: v_dual_fmac_f32 v21, v43, v47
	v_fmac_f32_e32 v20, v44, v47
	s_delay_alu instid0(VALU_DEP_2) | instskip(NEXT) | instid1(VALU_DEP_2)
	v_fma_f32 v21, -v44, v48, v21
	v_fmac_f32_e32 v20, v43, v48
	s_cbranch_scc1 .LBB33_27
; %bb.28:                               ;   in Loop: Header=BB33_16 Depth=1
	s_set_inst_prefetch_distance 0x2
	s_mov_b64 s[30:31], s[18:19]
	s_and_not1_b32 vcc_lo, exec_lo, s39
	s_cbranch_vccz .LBB33_30
	s_branch .LBB33_32
.LBB33_29:                              ;   in Loop: Header=BB33_16 Depth=1
	s_mov_b64 s[30:31], 0
	s_and_not1_b32 vcc_lo, exec_lo, s39
	s_cbranch_vccnz .LBB33_32
.LBB33_30:                              ;   in Loop: Header=BB33_16 Depth=1
	s_lshl_b32 s30, s30, 3
	s_delay_alu instid0(SALU_CYCLE_1)
	v_add_nc_u32_e32 v31, s30, v28
	v_add_nc_u32_e32 v32, s30, v29
	s_mov_b64 s[30:31], s[28:29]
.LBB33_31:                              ;   Parent Loop BB33_16 Depth=1
                                        ; =>  This Inner Loop Header: Depth=2
	ds_load_b64 v[33:34], v32
	ds_load_b64 v[35:36], v31
	s_add_u32 s30, s30, -1
	s_addc_u32 s31, s31, -1
	v_add_nc_u32_e32 v32, 8, v32
	s_cmp_lg_u64 s[30:31], 0
	s_waitcnt lgkmcnt(0)
	v_fmac_f32_e32 v21, v33, v35
	v_fmac_f32_e32 v20, v34, v35
	v_add_nc_u32_e32 v31, 8, v31
	s_delay_alu instid0(VALU_DEP_3) | instskip(NEXT) | instid1(VALU_DEP_3)
	v_fma_f32 v21, -v34, v36, v21
	v_fmac_f32_e32 v20, v33, v36
	s_cbranch_scc1 .LBB33_31
.LBB33_32:                              ;   in Loop: Header=BB33_16 Depth=1
	s_or_b32 exec_lo, exec_lo, s41
	s_and_saveexec_b32 s41, s37
	s_cbranch_execz .LBB33_14
; %bb.33:                               ;   in Loop: Header=BB33_16 Depth=1
	s_and_not1_b32 vcc_lo, exec_lo, s38
	s_cbranch_vccnz .LBB33_37
; %bb.34:                               ;   in Loop: Header=BB33_16 Depth=1
	v_dual_mov_b32 v31, v29 :: v_dual_mov_b32 v32, v30
	s_mov_b64 s[30:31], 0
	s_set_inst_prefetch_distance 0x1
	.p2align	6
.LBB33_35:                              ;   Parent Loop BB33_16 Depth=1
                                        ; =>  This Inner Loop Header: Depth=2
	ds_load_b128 v[33:36], v32
	ds_load_b128 v[37:40], v31
	ds_load_b128 v[41:44], v31 offset:16
	ds_load_b128 v[45:48], v32 offset:16
	s_add_u32 s30, s30, 4
	v_add_nc_u32_e32 v32, 32, v32
	s_addc_u32 s31, s31, 0
	v_add_nc_u32_e32 v31, 32, v31
	s_cmp_lg_u64 s[18:19], s[30:31]
	s_waitcnt lgkmcnt(2)
	v_fmac_f32_e32 v2, v38, v33
	s_delay_alu instid0(VALU_DEP_1) | instskip(NEXT) | instid1(VALU_DEP_1)
	v_fmac_f32_e32 v2, v37, v34
	v_dual_fmac_f32 v19, v37, v33 :: v_dual_fmac_f32 v2, v40, v35
	s_delay_alu instid0(VALU_DEP_1) | instskip(NEXT) | instid1(VALU_DEP_1)
	v_fma_f32 v19, -v38, v34, v19
	v_fmac_f32_e32 v19, v39, v35
	s_delay_alu instid0(VALU_DEP_1) | instskip(SKIP_1) | instid1(VALU_DEP_1)
	v_fma_f32 v19, -v40, v36, v19
	s_waitcnt lgkmcnt(0)
	v_dual_fmac_f32 v2, v39, v36 :: v_dual_fmac_f32 v19, v41, v45
	s_delay_alu instid0(VALU_DEP_1) | instskip(NEXT) | instid1(VALU_DEP_2)
	v_fmac_f32_e32 v2, v42, v45
	v_fma_f32 v19, -v42, v46, v19
	s_delay_alu instid0(VALU_DEP_1) | instskip(NEXT) | instid1(VALU_DEP_1)
	v_dual_fmac_f32 v2, v41, v46 :: v_dual_fmac_f32 v19, v43, v47
	v_fmac_f32_e32 v2, v44, v47
	s_delay_alu instid0(VALU_DEP_2) | instskip(NEXT) | instid1(VALU_DEP_2)
	v_fma_f32 v19, -v44, v48, v19
	v_fmac_f32_e32 v2, v43, v48
	s_cbranch_scc1 .LBB33_35
; %bb.36:                               ;   in Loop: Header=BB33_16 Depth=1
	s_set_inst_prefetch_distance 0x2
	s_mov_b64 s[30:31], s[18:19]
	s_and_not1_b32 vcc_lo, exec_lo, s39
	s_cbranch_vccz .LBB33_38
	s_branch .LBB33_14
.LBB33_37:                              ;   in Loop: Header=BB33_16 Depth=1
	s_mov_b64 s[30:31], 0
	s_and_not1_b32 vcc_lo, exec_lo, s39
	s_cbranch_vccnz .LBB33_14
.LBB33_38:                              ;   in Loop: Header=BB33_16 Depth=1
	s_lshl_b32 s30, s30, 3
	s_delay_alu instid0(SALU_CYCLE_1)
	v_add_nc_u32_e32 v31, s30, v30
	v_add_nc_u32_e32 v32, s30, v29
	s_mov_b64 s[30:31], s[28:29]
.LBB33_39:                              ;   Parent Loop BB33_16 Depth=1
                                        ; =>  This Inner Loop Header: Depth=2
	ds_load_b64 v[33:34], v32
	ds_load_b64 v[35:36], v31
	s_add_u32 s30, s30, -1
	s_addc_u32 s31, s31, -1
	v_add_nc_u32_e32 v32, 8, v32
	s_cmp_lg_u64 s[30:31], 0
	s_waitcnt lgkmcnt(0)
	v_fmac_f32_e32 v19, v33, v35
	v_fmac_f32_e32 v2, v34, v35
	v_add_nc_u32_e32 v31, 8, v31
	s_delay_alu instid0(VALU_DEP_3) | instskip(NEXT) | instid1(VALU_DEP_3)
	v_fma_f32 v19, -v34, v36, v19
	v_fmac_f32_e32 v2, v33, v36
	s_cbranch_scc1 .LBB33_39
	s_branch .LBB33_14
.LBB33_40:
	v_dual_mov_b32 v1, s6 :: v_dual_mov_b32 v2, s7
	flat_load_b32 v15, v[1:2]
	v_cndmask_b32_e64 v1, 0, 1, s3
	v_mov_b32_e32 v16, s7
	s_and_not1_b32 vcc_lo, exec_lo, s3
	s_cbranch_vccnz .LBB33_2
.LBB33_41:
	v_dual_mov_b32 v2, s6 :: v_dual_mov_b32 v3, s7
	flat_load_b32 v16, v[2:3] offset:4
	v_cmp_ne_u32_e32 vcc_lo, 1, v1
	v_mov_b32_e32 v17, s4
	s_cbranch_vccnz .LBB33_3
.LBB33_42:
	v_dual_mov_b32 v2, s4 :: v_dual_mov_b32 v3, s5
	flat_load_b32 v17, v[2:3]
	v_cmp_ne_u32_e32 vcc_lo, 1, v1
	v_mov_b32_e32 v18, s5
	s_cbranch_vccz .LBB33_4
	s_branch .LBB33_5
.LBB33_43:
	s_delay_alu instid0(VALU_DEP_1) | instskip(NEXT) | instid1(SALU_CYCLE_1)
	s_and_b32 s2, s33, s2
	s_and_b32 exec_lo, exec_lo, s2
	s_cbranch_execz .LBB33_66
; %bb.44:
	s_load_b64 s[2:3], s[0:1], 0x78
	v_mad_u64_u32 v[0:1], null, s14, s26, v[7:8]
	v_cmp_neq_f32_e32 vcc_lo, 0, v17
	v_cmp_neq_f32_e64 s0, 0, v18
	s_mov_b32 s5, exec_lo
	s_delay_alu instid0(VALU_DEP_1) | instskip(NEXT) | instid1(VALU_DEP_3)
	s_or_b32 s4, vcc_lo, s0
	v_mad_u64_u32 v[7:8], null, s14, s27, v[1:2]
	s_cmp_lg_u32 s8, 1
	s_cselect_b32 s0, -1, 0
	s_waitcnt lgkmcnt(0)
	v_mul_lo_u32 v1, v0, s3
	v_mad_u64_u32 v[8:9], null, v0, s2, 0
	s_delay_alu instid0(VALU_DEP_3) | instskip(NEXT) | instid1(VALU_DEP_1)
	v_mul_lo_u32 v10, v7, s2
	v_add3_u32 v9, v9, v1, v10
	v_mov_b32_e32 v1, v7
	s_delay_alu instid0(VALU_DEP_2) | instskip(NEXT) | instid1(VALU_DEP_2)
	v_lshlrev_b64 v[7:8], 3, v[8:9]
	v_lshlrev_b64 v[0:1], 3, v[0:1]
	s_delay_alu instid0(VALU_DEP_2) | instskip(NEXT) | instid1(VALU_DEP_3)
	v_add_co_u32 v9, vcc_lo, s10, v7
	v_add_co_ci_u32_e32 v10, vcc_lo, s11, v8, vcc_lo
	s_delay_alu instid0(VALU_DEP_3) | instskip(NEXT) | instid1(VALU_DEP_4)
	v_add_co_u32 v7, vcc_lo, s10, v0
	v_add_co_ci_u32_e32 v8, vcc_lo, s11, v1, vcc_lo
	v_cmpx_gt_i64_e64 s[6:7], v[5:6]
	s_cbranch_execz .LBB33_55
; %bb.45:
	s_and_saveexec_b32 s1, s4
	s_delay_alu instid0(SALU_CYCLE_1)
	s_xor_b32 s1, exec_lo, s1
	s_cbranch_execz .LBB33_50
; %bb.46:
	s_and_b32 vcc_lo, exec_lo, s0
	s_mov_b32 s8, -1
	s_cbranch_vccz .LBB33_48
; %bb.47:
	v_lshlrev_b64 v[0:1], 3, v[5:6]
	v_mul_f32_e64 v6, v20, -v16
	v_mul_f32_e32 v14, v20, v15
	s_mov_b32 s8, 0
	s_delay_alu instid0(VALU_DEP_2) | instskip(NEXT) | instid1(VALU_DEP_4)
	v_fmac_f32_e32 v6, v15, v21
	v_add_co_u32 v0, vcc_lo, v9, v0
	v_add_co_ci_u32_e32 v1, vcc_lo, v10, v1, vcc_lo
	v_fmac_f32_e32 v14, v16, v21
	global_load_b64 v[11:12], v[0:1], off
	s_waitcnt vmcnt(0)
	v_fmac_f32_e32 v6, v17, v11
	v_fmac_f32_e32 v14, v18, v11
	s_delay_alu instid0(VALU_DEP_2) | instskip(NEXT) | instid1(VALU_DEP_2)
	v_fma_f32 v13, -v18, v12, v6
	v_fmac_f32_e32 v14, v17, v12
	global_store_b64 v[0:1], v[13:14], off
.LBB33_48:
	s_and_not1_b32 vcc_lo, exec_lo, s8
	s_cbranch_vccnz .LBB33_50
; %bb.49:
	v_mad_u64_u32 v[0:1], null, v5, s2, 0
	s_delay_alu instid0(VALU_DEP_1) | instskip(SKIP_1) | instid1(VALU_DEP_1)
	v_mad_u64_u32 v[11:12], null, v5, s3, v[1:2]
	v_mul_f32_e32 v12, v20, v15
	v_dual_fmac_f32 v12, v16, v21 :: v_dual_mov_b32 v1, v11
	v_mul_f32_e64 v11, v20, -v16
                                        ; implicit-def: $vgpr20
	s_delay_alu instid0(VALU_DEP_2) | instskip(NEXT) | instid1(VALU_DEP_1)
	v_lshlrev_b64 v[0:1], 3, v[0:1]
	v_add_co_u32 v0, vcc_lo, v7, v0
	s_delay_alu instid0(VALU_DEP_2) | instskip(SKIP_4) | instid1(VALU_DEP_2)
	v_add_co_ci_u32_e32 v1, vcc_lo, v8, v1, vcc_lo
	global_load_b64 v[5:6], v[0:1], off
	s_waitcnt vmcnt(0)
	v_fmac_f32_e32 v12, v18, v5
	v_fmac_f32_e32 v11, v15, v21
                                        ; implicit-def: $vgpr21
	v_fmac_f32_e32 v12, v17, v6
	s_delay_alu instid0(VALU_DEP_2) | instskip(NEXT) | instid1(VALU_DEP_1)
	v_fmac_f32_e32 v11, v17, v5
	v_fma_f32 v11, -v18, v6, v11
                                        ; implicit-def: $vgpr5_vgpr6
	global_store_b64 v[0:1], v[11:12], off
.LBB33_50:
	s_and_not1_saveexec_b32 s1, s1
	s_cbranch_execz .LBB33_55
; %bb.51:
	v_mul_f32_e64 v0, v20, -v16
	v_mul_f32_e32 v1, v20, v15
	s_and_b32 vcc_lo, exec_lo, s0
	s_mov_b32 s1, -1
	s_delay_alu instid0(VALU_DEP_2) | instskip(NEXT) | instid1(VALU_DEP_2)
	v_fmac_f32_e32 v0, v15, v21
	v_fmac_f32_e32 v1, v16, v21
	s_cbranch_vccz .LBB33_53
; %bb.52:
	v_lshlrev_b64 v[11:12], 3, v[5:6]
	s_mov_b32 s1, 0
	s_delay_alu instid0(VALU_DEP_1) | instskip(NEXT) | instid1(VALU_DEP_2)
	v_add_co_u32 v11, vcc_lo, v9, v11
	v_add_co_ci_u32_e32 v12, vcc_lo, v10, v12, vcc_lo
	global_store_b64 v[11:12], v[0:1], off
.LBB33_53:
	s_and_not1_b32 vcc_lo, exec_lo, s1
	s_cbranch_vccnz .LBB33_55
; %bb.54:
	v_mad_u64_u32 v[11:12], null, v5, s2, 0
	s_delay_alu instid0(VALU_DEP_1) | instskip(NEXT) | instid1(VALU_DEP_1)
	v_mov_b32_e32 v6, v12
	v_mad_u64_u32 v[12:13], null, v5, s3, v[6:7]
	s_delay_alu instid0(VALU_DEP_1) | instskip(NEXT) | instid1(VALU_DEP_1)
	v_lshlrev_b64 v[5:6], 3, v[11:12]
	v_add_co_u32 v5, vcc_lo, v7, v5
	s_delay_alu instid0(VALU_DEP_2)
	v_add_co_ci_u32_e32 v6, vcc_lo, v8, v6, vcc_lo
	global_store_b64 v[5:6], v[0:1], off
.LBB33_55:
	s_or_b32 exec_lo, exec_lo, s5
	v_cmp_gt_i64_e32 vcc_lo, s[6:7], v[3:4]
	s_and_b32 exec_lo, exec_lo, vcc_lo
	s_cbranch_execz .LBB33_66
; %bb.56:
	s_and_saveexec_b32 s1, s4
	s_delay_alu instid0(SALU_CYCLE_1)
	s_xor_b32 s1, exec_lo, s1
	s_cbranch_execz .LBB33_61
; %bb.57:
	s_and_not1_b32 vcc_lo, exec_lo, s0
	s_mov_b32 s4, -1
	s_cbranch_vccnz .LBB33_59
; %bb.58:
	v_lshlrev_b64 v[0:1], 3, v[3:4]
	v_mul_f32_e64 v6, v2, -v16
	s_mov_b32 s4, 0
	s_delay_alu instid0(VALU_DEP_1) | instskip(NEXT) | instid1(VALU_DEP_3)
	v_fmac_f32_e32 v6, v15, v19
	v_add_co_u32 v0, vcc_lo, v9, v0
	s_delay_alu instid0(VALU_DEP_4)
	v_add_co_ci_u32_e32 v1, vcc_lo, v10, v1, vcc_lo
	v_mul_f32_e32 v10, v2, v15
	global_load_b64 v[4:5], v[0:1], off
	v_fmac_f32_e32 v10, v16, v19
	s_waitcnt vmcnt(0)
	v_fmac_f32_e32 v6, v17, v4
	s_delay_alu instid0(VALU_DEP_2) | instskip(NEXT) | instid1(VALU_DEP_2)
	v_fmac_f32_e32 v10, v18, v4
	v_fma_f32 v9, -v18, v5, v6
	s_delay_alu instid0(VALU_DEP_2)
	v_fmac_f32_e32 v10, v17, v5
	global_store_b64 v[0:1], v[9:10], off
.LBB33_59:
	s_and_not1_b32 vcc_lo, exec_lo, s4
                                        ; implicit-def: $vgpr9
                                        ; implicit-def: $vgpr10
	s_cbranch_vccnz .LBB33_61
; %bb.60:
	v_mad_u64_u32 v[0:1], null, v3, s2, 0
                                        ; implicit-def: $vgpr9
                                        ; implicit-def: $vgpr10
	v_mul_f32_e32 v6, v2, v15
	s_delay_alu instid0(VALU_DEP_1) | instskip(NEXT) | instid1(VALU_DEP_3)
	v_fmac_f32_e32 v6, v16, v19
	v_mad_u64_u32 v[4:5], null, v3, s3, v[1:2]
	v_mul_f32_e64 v5, v2, -v16
                                        ; implicit-def: $vgpr16
                                        ; implicit-def: $vgpr2
	s_delay_alu instid0(VALU_DEP_2) | instskip(NEXT) | instid1(VALU_DEP_1)
	v_mov_b32_e32 v1, v4
	v_lshlrev_b64 v[0:1], 3, v[0:1]
	s_delay_alu instid0(VALU_DEP_1) | instskip(NEXT) | instid1(VALU_DEP_2)
	v_add_co_u32 v0, vcc_lo, v7, v0
	v_add_co_ci_u32_e32 v1, vcc_lo, v8, v1, vcc_lo
                                        ; implicit-def: $vgpr7
                                        ; implicit-def: $vgpr8
	global_load_b64 v[3:4], v[0:1], off
	s_waitcnt vmcnt(0)
	v_fmac_f32_e32 v6, v18, v3
	v_fmac_f32_e32 v5, v15, v19
                                        ; implicit-def: $vgpr15
                                        ; implicit-def: $vgpr19
	s_delay_alu instid0(VALU_DEP_2) | instskip(NEXT) | instid1(VALU_DEP_2)
	v_fmac_f32_e32 v6, v17, v4
	v_fmac_f32_e32 v5, v17, v3
	s_delay_alu instid0(VALU_DEP_1)
	v_fma_f32 v5, -v18, v4, v5
                                        ; implicit-def: $vgpr3_vgpr4
	global_store_b64 v[0:1], v[5:6], off
.LBB33_61:
	s_and_not1_saveexec_b32 s1, s1
	s_cbranch_execz .LBB33_66
; %bb.62:
	v_mul_f32_e64 v0, v2, -v16
	v_mul_f32_e32 v1, v2, v15
	s_and_not1_b32 vcc_lo, exec_lo, s0
	s_mov_b32 s0, -1
	s_delay_alu instid0(VALU_DEP_2) | instskip(NEXT) | instid1(VALU_DEP_2)
	v_fmac_f32_e32 v0, v15, v19
	v_fmac_f32_e32 v1, v16, v19
	s_cbranch_vccnz .LBB33_64
; %bb.63:
	v_lshlrev_b64 v[4:5], 3, v[3:4]
	s_mov_b32 s0, 0
	s_delay_alu instid0(VALU_DEP_1) | instskip(NEXT) | instid1(VALU_DEP_2)
	v_add_co_u32 v4, vcc_lo, v9, v4
	v_add_co_ci_u32_e32 v5, vcc_lo, v10, v5, vcc_lo
	global_store_b64 v[4:5], v[0:1], off
.LBB33_64:
	s_and_not1_b32 vcc_lo, exec_lo, s0
	s_cbranch_vccnz .LBB33_66
; %bb.65:
	v_mad_u64_u32 v[4:5], null, v3, s2, 0
	s_delay_alu instid0(VALU_DEP_1) | instskip(NEXT) | instid1(VALU_DEP_1)
	v_mov_b32_e32 v2, v5
	v_mad_u64_u32 v[5:6], null, v3, s3, v[2:3]
	s_delay_alu instid0(VALU_DEP_1) | instskip(NEXT) | instid1(VALU_DEP_1)
	v_lshlrev_b64 v[2:3], 3, v[4:5]
	v_add_co_u32 v2, vcc_lo, v7, v2
	s_delay_alu instid0(VALU_DEP_2)
	v_add_co_ci_u32_e32 v3, vcc_lo, v8, v3, vcc_lo
	global_store_b64 v[2:3], v[0:1], off
.LBB33_66:
	s_nop 0
	s_sendmsg sendmsg(MSG_DEALLOC_VGPRS)
	s_endpgm
	.section	.rodata,"a",@progbits
	.p2align	6, 0x0
	.amdhsa_kernel _ZN9rocsparseL31bsrmm_large_blockdim_kernel_extILj4ELj16ELj2Ell21rocsparse_complex_numIfES2_S2_S2_EEvb20rocsparse_direction_T3_S4_llNS_24const_host_device_scalarIT7_EEPKT2_PKS4_PKT4_S4_PKT5_llS7_PT6_ll16rocsparse_order_21rocsparse_index_base_b
		.amdhsa_group_segment_fixed_size 1152
		.amdhsa_private_segment_fixed_size 0
		.amdhsa_kernarg_size 148
		.amdhsa_user_sgpr_count 14
		.amdhsa_user_sgpr_dispatch_ptr 0
		.amdhsa_user_sgpr_queue_ptr 0
		.amdhsa_user_sgpr_kernarg_segment_ptr 1
		.amdhsa_user_sgpr_dispatch_id 0
		.amdhsa_user_sgpr_private_segment_size 0
		.amdhsa_wavefront_size32 1
		.amdhsa_uses_dynamic_stack 0
		.amdhsa_enable_private_segment 0
		.amdhsa_system_sgpr_workgroup_id_x 1
		.amdhsa_system_sgpr_workgroup_id_y 1
		.amdhsa_system_sgpr_workgroup_id_z 0
		.amdhsa_system_sgpr_workgroup_info 0
		.amdhsa_system_vgpr_workitem_id 1
		.amdhsa_next_free_vgpr 49
		.amdhsa_next_free_sgpr 44
		.amdhsa_reserve_vcc 1
		.amdhsa_float_round_mode_32 0
		.amdhsa_float_round_mode_16_64 0
		.amdhsa_float_denorm_mode_32 3
		.amdhsa_float_denorm_mode_16_64 3
		.amdhsa_dx10_clamp 1
		.amdhsa_ieee_mode 1
		.amdhsa_fp16_overflow 0
		.amdhsa_workgroup_processor_mode 1
		.amdhsa_memory_ordered 1
		.amdhsa_forward_progress 0
		.amdhsa_shared_vgpr_count 0
		.amdhsa_exception_fp_ieee_invalid_op 0
		.amdhsa_exception_fp_denorm_src 0
		.amdhsa_exception_fp_ieee_div_zero 0
		.amdhsa_exception_fp_ieee_overflow 0
		.amdhsa_exception_fp_ieee_underflow 0
		.amdhsa_exception_fp_ieee_inexact 0
		.amdhsa_exception_int_div_zero 0
	.end_amdhsa_kernel
	.section	.text._ZN9rocsparseL31bsrmm_large_blockdim_kernel_extILj4ELj16ELj2Ell21rocsparse_complex_numIfES2_S2_S2_EEvb20rocsparse_direction_T3_S4_llNS_24const_host_device_scalarIT7_EEPKT2_PKS4_PKT4_S4_PKT5_llS7_PT6_ll16rocsparse_order_21rocsparse_index_base_b,"axG",@progbits,_ZN9rocsparseL31bsrmm_large_blockdim_kernel_extILj4ELj16ELj2Ell21rocsparse_complex_numIfES2_S2_S2_EEvb20rocsparse_direction_T3_S4_llNS_24const_host_device_scalarIT7_EEPKT2_PKS4_PKT4_S4_PKT5_llS7_PT6_ll16rocsparse_order_21rocsparse_index_base_b,comdat
.Lfunc_end33:
	.size	_ZN9rocsparseL31bsrmm_large_blockdim_kernel_extILj4ELj16ELj2Ell21rocsparse_complex_numIfES2_S2_S2_EEvb20rocsparse_direction_T3_S4_llNS_24const_host_device_scalarIT7_EEPKT2_PKS4_PKT4_S4_PKT5_llS7_PT6_ll16rocsparse_order_21rocsparse_index_base_b, .Lfunc_end33-_ZN9rocsparseL31bsrmm_large_blockdim_kernel_extILj4ELj16ELj2Ell21rocsparse_complex_numIfES2_S2_S2_EEvb20rocsparse_direction_T3_S4_llNS_24const_host_device_scalarIT7_EEPKT2_PKS4_PKT4_S4_PKT5_llS7_PT6_ll16rocsparse_order_21rocsparse_index_base_b
                                        ; -- End function
	.section	.AMDGPU.csdata,"",@progbits
; Kernel info:
; codeLenInByte = 3144
; NumSgprs: 46
; NumVgprs: 49
; ScratchSize: 0
; MemoryBound: 0
; FloatMode: 240
; IeeeMode: 1
; LDSByteSize: 1152 bytes/workgroup (compile time only)
; SGPRBlocks: 5
; VGPRBlocks: 6
; NumSGPRsForWavesPerEU: 46
; NumVGPRsForWavesPerEU: 49
; Occupancy: 16
; WaveLimiterHint : 1
; COMPUTE_PGM_RSRC2:SCRATCH_EN: 0
; COMPUTE_PGM_RSRC2:USER_SGPR: 14
; COMPUTE_PGM_RSRC2:TRAP_HANDLER: 0
; COMPUTE_PGM_RSRC2:TGID_X_EN: 1
; COMPUTE_PGM_RSRC2:TGID_Y_EN: 1
; COMPUTE_PGM_RSRC2:TGID_Z_EN: 0
; COMPUTE_PGM_RSRC2:TIDIG_COMP_CNT: 1
	.section	.text._ZN9rocsparseL31bsrmm_large_blockdim_kernel_extILj16ELj16ELj2Ell21rocsparse_complex_numIfES2_S2_S2_EEvb20rocsparse_direction_T3_S4_llNS_24const_host_device_scalarIT7_EEPKT2_PKS4_PKT4_S4_PKT5_llS7_PT6_ll16rocsparse_order_21rocsparse_index_base_b,"axG",@progbits,_ZN9rocsparseL31bsrmm_large_blockdim_kernel_extILj16ELj16ELj2Ell21rocsparse_complex_numIfES2_S2_S2_EEvb20rocsparse_direction_T3_S4_llNS_24const_host_device_scalarIT7_EEPKT2_PKS4_PKT4_S4_PKT5_llS7_PT6_ll16rocsparse_order_21rocsparse_index_base_b,comdat
	.globl	_ZN9rocsparseL31bsrmm_large_blockdim_kernel_extILj16ELj16ELj2Ell21rocsparse_complex_numIfES2_S2_S2_EEvb20rocsparse_direction_T3_S4_llNS_24const_host_device_scalarIT7_EEPKT2_PKS4_PKT4_S4_PKT5_llS7_PT6_ll16rocsparse_order_21rocsparse_index_base_b ; -- Begin function _ZN9rocsparseL31bsrmm_large_blockdim_kernel_extILj16ELj16ELj2Ell21rocsparse_complex_numIfES2_S2_S2_EEvb20rocsparse_direction_T3_S4_llNS_24const_host_device_scalarIT7_EEPKT2_PKS4_PKT4_S4_PKT5_llS7_PT6_ll16rocsparse_order_21rocsparse_index_base_b
	.p2align	8
	.type	_ZN9rocsparseL31bsrmm_large_blockdim_kernel_extILj16ELj16ELj2Ell21rocsparse_complex_numIfES2_S2_S2_EEvb20rocsparse_direction_T3_S4_llNS_24const_host_device_scalarIT7_EEPKT2_PKS4_PKT4_S4_PKT5_llS7_PT6_ll16rocsparse_order_21rocsparse_index_base_b,@function
_ZN9rocsparseL31bsrmm_large_blockdim_kernel_extILj16ELj16ELj2Ell21rocsparse_complex_numIfES2_S2_S2_EEvb20rocsparse_direction_T3_S4_llNS_24const_host_device_scalarIT7_EEPKT2_PKS4_PKT4_S4_PKT5_llS7_PT6_ll16rocsparse_order_21rocsparse_index_base_b: ; @_ZN9rocsparseL31bsrmm_large_blockdim_kernel_extILj16ELj16ELj2Ell21rocsparse_complex_numIfES2_S2_S2_EEvb20rocsparse_direction_T3_S4_llNS_24const_host_device_scalarIT7_EEPKT2_PKS4_PKT4_S4_PKT5_llS7_PT6_ll16rocsparse_order_21rocsparse_index_base_b
; %bb.0:
	s_clause 0x2
	s_load_b128 s[8:11], s[0:1], 0x88
	s_load_b64 s[6:7], s[0:1], 0x28
	s_load_b64 s[4:5], s[0:1], 0x68
	s_mov_b32 s2, s15
	s_waitcnt lgkmcnt(0)
	s_bitcmp1_b32 s10, 0
	v_mov_b32_e32 v15, s6
	s_cselect_b32 s3, -1, 0
	s_delay_alu instid0(SALU_CYCLE_1)
	s_and_b32 vcc_lo, exec_lo, s3
	s_xor_b32 s3, s3, -1
	s_cbranch_vccz .LBB34_40
; %bb.1:
	v_cndmask_b32_e64 v1, 0, 1, s3
	v_mov_b32_e32 v16, s7
	s_and_not1_b32 vcc_lo, exec_lo, s3
	s_cbranch_vccz .LBB34_41
.LBB34_2:
	s_delay_alu instid0(VALU_DEP_2)
	v_cmp_ne_u32_e32 vcc_lo, 1, v1
	v_mov_b32_e32 v17, s4
	s_cbranch_vccz .LBB34_42
.LBB34_3:
	v_cmp_ne_u32_e32 vcc_lo, 1, v1
	v_mov_b32_e32 v18, s5
	s_cbranch_vccnz .LBB34_5
.LBB34_4:
	v_dual_mov_b32 v1, s4 :: v_dual_mov_b32 v2, s5
	flat_load_b32 v18, v[1:2] offset:4
.LBB34_5:
	s_waitcnt vmcnt(0) lgkmcnt(0)
	v_cmp_eq_f32_e32 vcc_lo, 0, v15
	v_cmp_eq_f32_e64 s3, 0, v16
	s_delay_alu instid0(VALU_DEP_1)
	s_and_b32 s5, vcc_lo, s3
	s_mov_b32 s3, -1
	s_and_saveexec_b32 s4, s5
; %bb.6:
	v_cmp_neq_f32_e32 vcc_lo, 1.0, v17
	v_cmp_neq_f32_e64 s3, 0, v18
	s_delay_alu instid0(VALU_DEP_1) | instskip(NEXT) | instid1(SALU_CYCLE_1)
	s_or_b32 s3, vcc_lo, s3
	s_or_not1_b32 s3, s3, exec_lo
; %bb.7:
	s_or_b32 exec_lo, exec_lo, s4
	s_and_saveexec_b32 s4, s3
	s_cbranch_execz .LBB34_66
; %bb.8:
	s_clause 0x1
	s_load_b128 s[4:7], s[0:1], 0x8
	s_load_b64 s[10:11], s[0:1], 0x30
	s_ashr_i32 s15, s14, 31
	s_mov_b64 s[12:13], 0
	s_mov_b64 s[24:25], 0
	s_waitcnt lgkmcnt(0)
	v_cmp_ge_i64_e64 s3, s[14:15], s[4:5]
	v_cmp_lt_i64_e64 s33, s[14:15], s[4:5]
	s_delay_alu instid0(VALU_DEP_2)
	s_and_b32 vcc_lo, exec_lo, s3
	s_cbranch_vccnz .LBB34_10
; %bb.9:
	s_lshl_b64 s[4:5], s[14:15], 3
	s_delay_alu instid0(SALU_CYCLE_1)
	s_add_u32 s4, s10, s4
	s_addc_u32 s5, s11, s5
	s_load_b64 s[4:5], s[4:5], 0x0
	s_waitcnt lgkmcnt(0)
	s_sub_u32 s24, s4, s9
	s_subb_u32 s25, s5, 0
.LBB34_10:
	s_delay_alu instid0(VALU_DEP_1)
	s_and_not1_b32 vcc_lo, exec_lo, s33
	s_cbranch_vccnz .LBB34_12
; %bb.11:
	s_lshl_b64 s[4:5], s[14:15], 3
	s_delay_alu instid0(SALU_CYCLE_1)
	s_add_u32 s4, s10, s4
	s_addc_u32 s5, s11, s5
	s_load_b64 s[4:5], s[4:5], 0x8
	s_waitcnt lgkmcnt(0)
	s_sub_u32 s12, s4, s9
	s_subb_u32 s13, s5, 0
.LBB34_12:
	s_clause 0x1
	s_load_b64 s[26:27], s[0:1], 0x48
	s_load_b64 s[10:11], s[0:1], 0x70
	v_bfe_u32 v1, v0, 10, 10
	v_dual_mov_b32 v6, 0 :: v_dual_and_b32 v7, 0x3ff, v0
	s_mov_b32 s29, 0
	s_delay_alu instid0(VALU_DEP_2) | instskip(SKIP_1) | instid1(VALU_DEP_3)
	v_lshl_add_u32 v5, s2, 5, v1
	v_cmp_ge_i64_e64 s2, s[24:25], s[12:13]
	v_mov_b32_e32 v4, v6
	v_mov_b32_e32 v8, v6
	;; [unrolled: 1-line block ×3, first 2 shown]
	v_add_nc_u32_e32 v3, 16, v5
	v_cmp_gt_i64_e64 s3, s[6:7], v[5:6]
	s_and_b32 vcc_lo, exec_lo, s2
	v_mov_b32_e32 v20, v6
	v_mov_b32_e32 v19, v6
	v_cmp_gt_i64_e64 s4, s[6:7], v[3:4]
	v_mov_b32_e32 v2, v6
	s_waitcnt lgkmcnt(0)
	v_cmp_gt_i64_e64 s2, s[26:27], v[7:8]
	s_cbranch_vccnz .LBB34_43
; %bb.13:
	v_mad_u64_u32 v[9:10], null, v1, s26, 0
	s_clause 0x2
	s_load_b64 s[30:31], s[0:1], 0x0
	s_load_b128 s[16:19], s[0:1], 0x38
	s_load_b128 s[20:23], s[0:1], 0x50
	v_mad_u64_u32 v[11:12], null, v7, s26, 0
	v_dual_mov_b32 v2, 0 :: v_dual_lshlrev_b32 v25, 4, v1
	s_mul_i32 s5, s26, s27
	v_dual_mov_b32 v0, v10 :: v_dual_lshlrev_b32 v19, 3, v7
	s_delay_alu instid0(VALU_DEP_2) | instskip(SKIP_2) | instid1(VALU_DEP_3)
	v_cmp_gt_i64_e32 vcc_lo, s[26:27], v[1:2]
	s_mul_hi_u32 s28, s26, s26
	v_lshl_add_u32 v21, v7, 4, v1
	v_mad_u64_u32 v[13:14], null, v1, s27, v[0:1]
	v_mov_b32_e32 v0, v12
	s_and_b32 s35, s2, vcc_lo
	s_add_i32 s28, s28, s5
	v_lshl_add_u32 v24, v21, 3, 0x1000
	s_add_i32 s34, s28, s5
	s_waitcnt lgkmcnt(0)
	s_bitcmp1_b32 s30, 0
	v_mov_b32_e32 v10, v13
	v_mad_u64_u32 v[12:13], null, v7, s27, v[0:1]
	v_mad_u64_u32 v[13:14], null, v3, s22, 0
	s_delay_alu instid0(VALU_DEP_3) | instskip(SKIP_4) | instid1(VALU_DEP_3)
	v_lshlrev_b64 v[9:10], 3, v[9:10]
	v_add_co_u32 v22, s28, s20, v19
	s_cselect_b32 s5, -1, 0
	s_cmp_eq_u32 s31, 0
	v_lshlrev_b32_e32 v28, 7, v1
	v_add_co_u32 v0, vcc_lo, s18, v9
	v_add_co_ci_u32_e32 v20, vcc_lo, s19, v10, vcc_lo
	v_lshlrev_b64 v[9:10], 3, v[11:12]
	v_mad_u64_u32 v[11:12], null, v5, s22, 0
	s_delay_alu instid0(VALU_DEP_4) | instskip(NEXT) | instid1(VALU_DEP_4)
	v_add_co_u32 v27, vcc_lo, v0, v19
	v_add_co_ci_u32_e32 v26, vcc_lo, 0, v20, vcc_lo
	v_add_co_ci_u32_e64 v23, null, s21, 0, s28
	s_delay_alu instid0(VALU_DEP_4) | instskip(SKIP_3) | instid1(VALU_DEP_4)
	v_mov_b32_e32 v0, v12
	v_add_co_u32 v12, vcc_lo, s18, v9
	v_add_co_ci_u32_e32 v10, vcc_lo, s19, v10, vcc_lo
	v_mov_b32_e32 v9, v14
	v_mad_u64_u32 v[19:20], null, v5, s23, v[0:1]
	v_lshlrev_b32_e32 v14, 3, v1
	v_cmp_gt_i64_e64 s18, s[26:27], 0
	s_delay_alu instid0(VALU_DEP_4) | instskip(SKIP_1) | instid1(VALU_DEP_4)
	v_mad_u64_u32 v[20:21], null, v3, s23, v[9:10]
	v_mov_b32_e32 v21, v2
	v_add_co_u32 v0, vcc_lo, v12, v14
	v_add_co_ci_u32_e32 v9, vcc_lo, 0, v10, vcc_lo
	v_mov_b32_e32 v12, v19
	v_mov_b32_e32 v14, v20
	s_cselect_b32 vcc_lo, -1, 0
	s_and_b32 s36, s3, s18
	s_and_b32 s37, s4, s18
	s_add_u32 s30, s26, -1
	s_addc_u32 s31, s27, -1
	v_dual_cndmask_b32 v26, v26, v9 :: v_dual_cndmask_b32 v27, v27, v0
	s_and_b32 s28, s26, 3
	v_lshlrev_b64 v[0:1], 3, v[11:12]
	v_lshlrev_b64 v[9:10], 3, v[13:14]
	;; [unrolled: 1-line block ×4, first 2 shown]
	v_cmp_gt_u64_e64 s38, s[30:31], 2
	v_add_lshl_u32 v25, v25, v7, 3
	s_and_b32 s19, s27, 0x7fffffff
	s_and_b32 s18, s26, -4
	v_lshl_add_u32 v29, v7, 7, 0x1000
	v_dual_mov_b32 v19, v2 :: v_dual_add_nc_u32 v30, 0x800, v28
	v_mov_b32_e32 v20, v2
	s_cmp_lg_u64 s[28:29], 0
	s_mul_i32 s15, s26, s26
	s_cselect_b32 s39, -1, 0
	s_branch .LBB34_16
.LBB34_14:                              ;   in Loop: Header=BB34_16 Depth=1
	s_or_b32 exec_lo, exec_lo, s41
.LBB34_15:                              ;   in Loop: Header=BB34_16 Depth=1
	s_delay_alu instid0(SALU_CYCLE_1) | instskip(SKIP_2) | instid1(SALU_CYCLE_1)
	s_or_b32 exec_lo, exec_lo, s40
	s_add_u32 s24, s24, 1
	s_addc_u32 s25, s25, 0
	v_cmp_ge_i64_e64 s30, s[24:25], s[12:13]
	s_barrier
	buffer_gl0_inv
	s_and_b32 vcc_lo, exec_lo, s30
	s_cbranch_vccnz .LBB34_43
.LBB34_16:                              ; =>This Loop Header: Depth=1
                                        ;     Child Loop BB34_27 Depth 2
                                        ;     Child Loop BB34_31 Depth 2
	;; [unrolled: 1-line block ×4, first 2 shown]
	s_and_saveexec_b32 s30, s2
	s_cbranch_execz .LBB34_21
; %bb.17:                               ;   in Loop: Header=BB34_16 Depth=1
	s_lshl_b64 s[40:41], s[24:25], 3
	s_delay_alu instid0(SALU_CYCLE_1)
	s_add_u32 s40, s16, s40
	s_addc_u32 s41, s17, s41
	s_load_b64 s[40:41], s[40:41], 0x0
	s_waitcnt lgkmcnt(0)
	s_sub_u32 s31, s40, s9
	s_subb_u32 s40, s41, 0
	s_mul_i32 s41, s31, s27
	s_mul_hi_u32 s42, s31, s26
	s_mul_i32 s43, s40, s26
	s_add_i32 s41, s42, s41
	s_mul_i32 s40, s31, s26
	s_add_i32 s41, s41, s43
	v_add_co_u32 v33, s31, s40, v7
	s_delay_alu instid0(VALU_DEP_1) | instskip(SKIP_1) | instid1(VALU_DEP_2)
	v_add_co_ci_u32_e64 v34, null, s41, 0, s31
	s_lshl_b64 s[40:41], s[40:41], 3
	v_mul_lo_u32 v35, v33, s23
	v_mad_u64_u32 v[31:32], null, v33, s22, 0
	s_delay_alu instid0(VALU_DEP_3) | instskip(NEXT) | instid1(VALU_DEP_1)
	v_mul_lo_u32 v33, v34, s22
	v_add3_u32 v32, v32, v35, v33
	s_delay_alu instid0(VALU_DEP_1) | instskip(NEXT) | instid1(VALU_DEP_1)
	v_lshlrev_b64 v[31:32], 3, v[31:32]
	v_add_co_u32 v31, vcc_lo, s20, v31
	s_delay_alu instid0(VALU_DEP_2)
	v_add_co_ci_u32_e32 v32, vcc_lo, s21, v32, vcc_lo
	v_add_co_u32 v33, vcc_lo, v22, s40
	v_add_co_ci_u32_e32 v34, vcc_lo, s41, v23, vcc_lo
	s_and_saveexec_b32 s31, s3
	s_cbranch_execz .LBB34_19
; %bb.18:                               ;   in Loop: Header=BB34_16 Depth=1
	s_delay_alu instid0(VALU_DEP_2) | instskip(NEXT) | instid1(VALU_DEP_2)
	v_add_co_u32 v35, vcc_lo, v33, v0
	v_add_co_ci_u32_e32 v36, vcc_lo, v34, v1, vcc_lo
	v_add_co_u32 v37, vcc_lo, v31, v11
	v_add_co_ci_u32_e32 v38, vcc_lo, v32, v12, vcc_lo
	s_delay_alu instid0(VALU_DEP_2) | instskip(NEXT) | instid1(VALU_DEP_2)
	v_cndmask_b32_e64 v35, v37, v35, s5
	v_cndmask_b32_e64 v36, v38, v36, s5
	global_load_b64 v[35:36], v[35:36], off
	s_waitcnt vmcnt(0)
	ds_store_b64 v25, v[35:36]
.LBB34_19:                              ;   in Loop: Header=BB34_16 Depth=1
	s_or_b32 exec_lo, exec_lo, s31
	s_delay_alu instid0(SALU_CYCLE_1)
	s_and_b32 exec_lo, exec_lo, s4
	s_cbranch_execz .LBB34_21
; %bb.20:                               ;   in Loop: Header=BB34_16 Depth=1
	v_add_co_u32 v33, vcc_lo, v33, v9
	v_add_co_ci_u32_e32 v34, vcc_lo, v34, v10, vcc_lo
	v_add_co_u32 v31, vcc_lo, v31, v13
	v_add_co_ci_u32_e32 v32, vcc_lo, v32, v14, vcc_lo
	s_delay_alu instid0(VALU_DEP_2) | instskip(NEXT) | instid1(VALU_DEP_2)
	v_cndmask_b32_e64 v31, v31, v33, s5
	v_cndmask_b32_e64 v32, v32, v34, s5
	global_load_b64 v[31:32], v[31:32], off
	s_waitcnt vmcnt(0)
	ds_store_b64 v25, v[31:32] offset:2048
.LBB34_21:                              ;   in Loop: Header=BB34_16 Depth=1
	s_or_b32 exec_lo, exec_lo, s30
	s_and_saveexec_b32 s30, s35
	s_cbranch_execz .LBB34_23
; %bb.22:                               ;   in Loop: Header=BB34_16 Depth=1
	s_mul_i32 s31, s15, s25
	s_mul_hi_u32 s40, s15, s24
	s_mul_i32 s41, s34, s24
	s_add_i32 s31, s40, s31
	s_mul_i32 s40, s15, s24
	s_add_i32 s41, s31, s41
	s_delay_alu instid0(SALU_CYCLE_1) | instskip(NEXT) | instid1(SALU_CYCLE_1)
	s_lshl_b64 s[40:41], s[40:41], 3
	v_add_co_u32 v31, vcc_lo, v27, s40
	v_add_co_ci_u32_e32 v32, vcc_lo, s41, v26, vcc_lo
	global_load_b64 v[31:32], v[31:32], off
	s_waitcnt vmcnt(0)
	ds_store_b64 v24, v[31:32]
.LBB34_23:                              ;   in Loop: Header=BB34_16 Depth=1
	s_or_b32 exec_lo, exec_lo, s30
	s_waitcnt lgkmcnt(0)
	s_barrier
	buffer_gl0_inv
	s_and_saveexec_b32 s40, s2
	s_cbranch_execz .LBB34_15
; %bb.24:                               ;   in Loop: Header=BB34_16 Depth=1
	s_and_saveexec_b32 s41, s36
	s_cbranch_execz .LBB34_32
; %bb.25:                               ;   in Loop: Header=BB34_16 Depth=1
	s_and_not1_b32 vcc_lo, exec_lo, s38
	s_cbranch_vccnz .LBB34_29
; %bb.26:                               ;   in Loop: Header=BB34_16 Depth=1
	v_dual_mov_b32 v31, v29 :: v_dual_mov_b32 v32, v28
	s_mov_b64 s[30:31], 0
	s_set_inst_prefetch_distance 0x1
	.p2align	6
.LBB34_27:                              ;   Parent Loop BB34_16 Depth=1
                                        ; =>  This Inner Loop Header: Depth=2
	ds_load_b128 v[33:36], v32
	ds_load_b128 v[37:40], v31
	ds_load_b128 v[41:44], v31 offset:16
	ds_load_b128 v[45:48], v32 offset:16
	s_add_u32 s30, s30, 4
	v_add_nc_u32_e32 v32, 32, v32
	s_addc_u32 s31, s31, 0
	v_add_nc_u32_e32 v31, 32, v31
	s_cmp_lg_u64 s[18:19], s[30:31]
	s_waitcnt lgkmcnt(2)
	v_fmac_f32_e32 v20, v38, v33
	s_delay_alu instid0(VALU_DEP_1) | instskip(NEXT) | instid1(VALU_DEP_1)
	v_fmac_f32_e32 v20, v37, v34
	v_dual_fmac_f32 v21, v37, v33 :: v_dual_fmac_f32 v20, v40, v35
	s_delay_alu instid0(VALU_DEP_1) | instskip(NEXT) | instid1(VALU_DEP_1)
	v_fma_f32 v21, -v38, v34, v21
	v_fmac_f32_e32 v21, v39, v35
	s_delay_alu instid0(VALU_DEP_1) | instskip(SKIP_1) | instid1(VALU_DEP_1)
	v_fma_f32 v21, -v40, v36, v21
	s_waitcnt lgkmcnt(0)
	v_dual_fmac_f32 v20, v39, v36 :: v_dual_fmac_f32 v21, v41, v45
	s_delay_alu instid0(VALU_DEP_1) | instskip(NEXT) | instid1(VALU_DEP_2)
	v_fmac_f32_e32 v20, v42, v45
	v_fma_f32 v21, -v42, v46, v21
	s_delay_alu instid0(VALU_DEP_1) | instskip(NEXT) | instid1(VALU_DEP_1)
	v_dual_fmac_f32 v20, v41, v46 :: v_dual_fmac_f32 v21, v43, v47
	v_fmac_f32_e32 v20, v44, v47
	s_delay_alu instid0(VALU_DEP_2) | instskip(NEXT) | instid1(VALU_DEP_2)
	v_fma_f32 v21, -v44, v48, v21
	v_fmac_f32_e32 v20, v43, v48
	s_cbranch_scc1 .LBB34_27
; %bb.28:                               ;   in Loop: Header=BB34_16 Depth=1
	s_set_inst_prefetch_distance 0x2
	s_mov_b64 s[30:31], s[18:19]
	s_and_not1_b32 vcc_lo, exec_lo, s39
	s_cbranch_vccz .LBB34_30
	s_branch .LBB34_32
.LBB34_29:                              ;   in Loop: Header=BB34_16 Depth=1
	s_mov_b64 s[30:31], 0
	s_and_not1_b32 vcc_lo, exec_lo, s39
	s_cbranch_vccnz .LBB34_32
.LBB34_30:                              ;   in Loop: Header=BB34_16 Depth=1
	s_lshl_b32 s30, s30, 3
	s_delay_alu instid0(SALU_CYCLE_1)
	v_add_nc_u32_e32 v31, s30, v28
	v_add_nc_u32_e32 v32, s30, v29
	s_mov_b64 s[30:31], s[28:29]
.LBB34_31:                              ;   Parent Loop BB34_16 Depth=1
                                        ; =>  This Inner Loop Header: Depth=2
	ds_load_b64 v[33:34], v32
	ds_load_b64 v[35:36], v31
	s_add_u32 s30, s30, -1
	s_addc_u32 s31, s31, -1
	v_add_nc_u32_e32 v32, 8, v32
	s_cmp_lg_u64 s[30:31], 0
	s_waitcnt lgkmcnt(0)
	v_fmac_f32_e32 v21, v33, v35
	v_fmac_f32_e32 v20, v34, v35
	v_add_nc_u32_e32 v31, 8, v31
	s_delay_alu instid0(VALU_DEP_3) | instskip(NEXT) | instid1(VALU_DEP_3)
	v_fma_f32 v21, -v34, v36, v21
	v_fmac_f32_e32 v20, v33, v36
	s_cbranch_scc1 .LBB34_31
.LBB34_32:                              ;   in Loop: Header=BB34_16 Depth=1
	s_or_b32 exec_lo, exec_lo, s41
	s_and_saveexec_b32 s41, s37
	s_cbranch_execz .LBB34_14
; %bb.33:                               ;   in Loop: Header=BB34_16 Depth=1
	s_and_not1_b32 vcc_lo, exec_lo, s38
	s_cbranch_vccnz .LBB34_37
; %bb.34:                               ;   in Loop: Header=BB34_16 Depth=1
	v_dual_mov_b32 v31, v29 :: v_dual_mov_b32 v32, v30
	s_mov_b64 s[30:31], 0
	s_set_inst_prefetch_distance 0x1
	.p2align	6
.LBB34_35:                              ;   Parent Loop BB34_16 Depth=1
                                        ; =>  This Inner Loop Header: Depth=2
	ds_load_b128 v[33:36], v32
	ds_load_b128 v[37:40], v31
	ds_load_b128 v[41:44], v31 offset:16
	ds_load_b128 v[45:48], v32 offset:16
	s_add_u32 s30, s30, 4
	v_add_nc_u32_e32 v32, 32, v32
	s_addc_u32 s31, s31, 0
	v_add_nc_u32_e32 v31, 32, v31
	s_cmp_lg_u64 s[18:19], s[30:31]
	s_waitcnt lgkmcnt(2)
	v_fmac_f32_e32 v2, v38, v33
	s_delay_alu instid0(VALU_DEP_1) | instskip(NEXT) | instid1(VALU_DEP_1)
	v_fmac_f32_e32 v2, v37, v34
	v_dual_fmac_f32 v19, v37, v33 :: v_dual_fmac_f32 v2, v40, v35
	s_delay_alu instid0(VALU_DEP_1) | instskip(NEXT) | instid1(VALU_DEP_1)
	v_fma_f32 v19, -v38, v34, v19
	v_fmac_f32_e32 v19, v39, v35
	s_delay_alu instid0(VALU_DEP_1) | instskip(SKIP_1) | instid1(VALU_DEP_1)
	v_fma_f32 v19, -v40, v36, v19
	s_waitcnt lgkmcnt(0)
	v_dual_fmac_f32 v2, v39, v36 :: v_dual_fmac_f32 v19, v41, v45
	s_delay_alu instid0(VALU_DEP_1) | instskip(NEXT) | instid1(VALU_DEP_2)
	v_fmac_f32_e32 v2, v42, v45
	v_fma_f32 v19, -v42, v46, v19
	s_delay_alu instid0(VALU_DEP_1) | instskip(NEXT) | instid1(VALU_DEP_1)
	v_dual_fmac_f32 v2, v41, v46 :: v_dual_fmac_f32 v19, v43, v47
	v_fmac_f32_e32 v2, v44, v47
	s_delay_alu instid0(VALU_DEP_2) | instskip(NEXT) | instid1(VALU_DEP_2)
	v_fma_f32 v19, -v44, v48, v19
	v_fmac_f32_e32 v2, v43, v48
	s_cbranch_scc1 .LBB34_35
; %bb.36:                               ;   in Loop: Header=BB34_16 Depth=1
	s_set_inst_prefetch_distance 0x2
	s_mov_b64 s[30:31], s[18:19]
	s_and_not1_b32 vcc_lo, exec_lo, s39
	s_cbranch_vccz .LBB34_38
	s_branch .LBB34_14
.LBB34_37:                              ;   in Loop: Header=BB34_16 Depth=1
	s_mov_b64 s[30:31], 0
	s_and_not1_b32 vcc_lo, exec_lo, s39
	s_cbranch_vccnz .LBB34_14
.LBB34_38:                              ;   in Loop: Header=BB34_16 Depth=1
	s_lshl_b32 s30, s30, 3
	s_delay_alu instid0(SALU_CYCLE_1)
	v_add_nc_u32_e32 v31, s30, v30
	v_add_nc_u32_e32 v32, s30, v29
	s_mov_b64 s[30:31], s[28:29]
.LBB34_39:                              ;   Parent Loop BB34_16 Depth=1
                                        ; =>  This Inner Loop Header: Depth=2
	ds_load_b64 v[33:34], v32
	ds_load_b64 v[35:36], v31
	s_add_u32 s30, s30, -1
	s_addc_u32 s31, s31, -1
	v_add_nc_u32_e32 v32, 8, v32
	s_cmp_lg_u64 s[30:31], 0
	s_waitcnt lgkmcnt(0)
	v_fmac_f32_e32 v19, v33, v35
	v_fmac_f32_e32 v2, v34, v35
	v_add_nc_u32_e32 v31, 8, v31
	s_delay_alu instid0(VALU_DEP_3) | instskip(NEXT) | instid1(VALU_DEP_3)
	v_fma_f32 v19, -v34, v36, v19
	v_fmac_f32_e32 v2, v33, v36
	s_cbranch_scc1 .LBB34_39
	s_branch .LBB34_14
.LBB34_40:
	v_dual_mov_b32 v1, s6 :: v_dual_mov_b32 v2, s7
	flat_load_b32 v15, v[1:2]
	v_cndmask_b32_e64 v1, 0, 1, s3
	v_mov_b32_e32 v16, s7
	s_and_not1_b32 vcc_lo, exec_lo, s3
	s_cbranch_vccnz .LBB34_2
.LBB34_41:
	v_dual_mov_b32 v2, s6 :: v_dual_mov_b32 v3, s7
	flat_load_b32 v16, v[2:3] offset:4
	v_cmp_ne_u32_e32 vcc_lo, 1, v1
	v_mov_b32_e32 v17, s4
	s_cbranch_vccnz .LBB34_3
.LBB34_42:
	v_dual_mov_b32 v2, s4 :: v_dual_mov_b32 v3, s5
	flat_load_b32 v17, v[2:3]
	v_cmp_ne_u32_e32 vcc_lo, 1, v1
	v_mov_b32_e32 v18, s5
	s_cbranch_vccz .LBB34_4
	s_branch .LBB34_5
.LBB34_43:
	s_delay_alu instid0(VALU_DEP_1) | instskip(NEXT) | instid1(SALU_CYCLE_1)
	s_and_b32 s2, s33, s2
	s_and_b32 exec_lo, exec_lo, s2
	s_cbranch_execz .LBB34_66
; %bb.44:
	s_load_b64 s[2:3], s[0:1], 0x78
	v_mad_u64_u32 v[0:1], null, s14, s26, v[7:8]
	v_cmp_neq_f32_e32 vcc_lo, 0, v17
	v_cmp_neq_f32_e64 s0, 0, v18
	s_mov_b32 s5, exec_lo
	s_delay_alu instid0(VALU_DEP_1) | instskip(NEXT) | instid1(VALU_DEP_3)
	s_or_b32 s4, vcc_lo, s0
	v_mad_u64_u32 v[7:8], null, s14, s27, v[1:2]
	s_cmp_lg_u32 s8, 1
	s_cselect_b32 s0, -1, 0
	s_waitcnt lgkmcnt(0)
	v_mul_lo_u32 v1, v0, s3
	v_mad_u64_u32 v[8:9], null, v0, s2, 0
	s_delay_alu instid0(VALU_DEP_3) | instskip(NEXT) | instid1(VALU_DEP_1)
	v_mul_lo_u32 v10, v7, s2
	v_add3_u32 v9, v9, v1, v10
	v_mov_b32_e32 v1, v7
	s_delay_alu instid0(VALU_DEP_2) | instskip(NEXT) | instid1(VALU_DEP_2)
	v_lshlrev_b64 v[7:8], 3, v[8:9]
	v_lshlrev_b64 v[0:1], 3, v[0:1]
	s_delay_alu instid0(VALU_DEP_2) | instskip(NEXT) | instid1(VALU_DEP_3)
	v_add_co_u32 v9, vcc_lo, s10, v7
	v_add_co_ci_u32_e32 v10, vcc_lo, s11, v8, vcc_lo
	s_delay_alu instid0(VALU_DEP_3) | instskip(NEXT) | instid1(VALU_DEP_4)
	v_add_co_u32 v7, vcc_lo, s10, v0
	v_add_co_ci_u32_e32 v8, vcc_lo, s11, v1, vcc_lo
	v_cmpx_gt_i64_e64 s[6:7], v[5:6]
	s_cbranch_execz .LBB34_55
; %bb.45:
	s_and_saveexec_b32 s1, s4
	s_delay_alu instid0(SALU_CYCLE_1)
	s_xor_b32 s1, exec_lo, s1
	s_cbranch_execz .LBB34_50
; %bb.46:
	s_and_b32 vcc_lo, exec_lo, s0
	s_mov_b32 s8, -1
	s_cbranch_vccz .LBB34_48
; %bb.47:
	v_lshlrev_b64 v[0:1], 3, v[5:6]
	v_mul_f32_e64 v6, v20, -v16
	v_mul_f32_e32 v14, v20, v15
	s_mov_b32 s8, 0
	s_delay_alu instid0(VALU_DEP_2) | instskip(NEXT) | instid1(VALU_DEP_4)
	v_fmac_f32_e32 v6, v15, v21
	v_add_co_u32 v0, vcc_lo, v9, v0
	v_add_co_ci_u32_e32 v1, vcc_lo, v10, v1, vcc_lo
	v_fmac_f32_e32 v14, v16, v21
	global_load_b64 v[11:12], v[0:1], off
	s_waitcnt vmcnt(0)
	v_fmac_f32_e32 v6, v17, v11
	v_fmac_f32_e32 v14, v18, v11
	s_delay_alu instid0(VALU_DEP_2) | instskip(NEXT) | instid1(VALU_DEP_2)
	v_fma_f32 v13, -v18, v12, v6
	v_fmac_f32_e32 v14, v17, v12
	global_store_b64 v[0:1], v[13:14], off
.LBB34_48:
	s_and_not1_b32 vcc_lo, exec_lo, s8
	s_cbranch_vccnz .LBB34_50
; %bb.49:
	v_mad_u64_u32 v[0:1], null, v5, s2, 0
	s_delay_alu instid0(VALU_DEP_1) | instskip(SKIP_1) | instid1(VALU_DEP_1)
	v_mad_u64_u32 v[11:12], null, v5, s3, v[1:2]
	v_mul_f32_e32 v12, v20, v15
	v_dual_fmac_f32 v12, v16, v21 :: v_dual_mov_b32 v1, v11
	v_mul_f32_e64 v11, v20, -v16
                                        ; implicit-def: $vgpr20
	s_delay_alu instid0(VALU_DEP_2) | instskip(NEXT) | instid1(VALU_DEP_1)
	v_lshlrev_b64 v[0:1], 3, v[0:1]
	v_add_co_u32 v0, vcc_lo, v7, v0
	s_delay_alu instid0(VALU_DEP_2) | instskip(SKIP_4) | instid1(VALU_DEP_2)
	v_add_co_ci_u32_e32 v1, vcc_lo, v8, v1, vcc_lo
	global_load_b64 v[5:6], v[0:1], off
	s_waitcnt vmcnt(0)
	v_fmac_f32_e32 v12, v18, v5
	v_fmac_f32_e32 v11, v15, v21
                                        ; implicit-def: $vgpr21
	v_fmac_f32_e32 v12, v17, v6
	s_delay_alu instid0(VALU_DEP_2) | instskip(NEXT) | instid1(VALU_DEP_1)
	v_fmac_f32_e32 v11, v17, v5
	v_fma_f32 v11, -v18, v6, v11
                                        ; implicit-def: $vgpr5_vgpr6
	global_store_b64 v[0:1], v[11:12], off
.LBB34_50:
	s_and_not1_saveexec_b32 s1, s1
	s_cbranch_execz .LBB34_55
; %bb.51:
	v_mul_f32_e64 v0, v20, -v16
	v_mul_f32_e32 v1, v20, v15
	s_and_b32 vcc_lo, exec_lo, s0
	s_mov_b32 s1, -1
	s_delay_alu instid0(VALU_DEP_2) | instskip(NEXT) | instid1(VALU_DEP_2)
	v_fmac_f32_e32 v0, v15, v21
	v_fmac_f32_e32 v1, v16, v21
	s_cbranch_vccz .LBB34_53
; %bb.52:
	v_lshlrev_b64 v[11:12], 3, v[5:6]
	s_mov_b32 s1, 0
	s_delay_alu instid0(VALU_DEP_1) | instskip(NEXT) | instid1(VALU_DEP_2)
	v_add_co_u32 v11, vcc_lo, v9, v11
	v_add_co_ci_u32_e32 v12, vcc_lo, v10, v12, vcc_lo
	global_store_b64 v[11:12], v[0:1], off
.LBB34_53:
	s_and_not1_b32 vcc_lo, exec_lo, s1
	s_cbranch_vccnz .LBB34_55
; %bb.54:
	v_mad_u64_u32 v[11:12], null, v5, s2, 0
	s_delay_alu instid0(VALU_DEP_1) | instskip(NEXT) | instid1(VALU_DEP_1)
	v_mov_b32_e32 v6, v12
	v_mad_u64_u32 v[12:13], null, v5, s3, v[6:7]
	s_delay_alu instid0(VALU_DEP_1) | instskip(NEXT) | instid1(VALU_DEP_1)
	v_lshlrev_b64 v[5:6], 3, v[11:12]
	v_add_co_u32 v5, vcc_lo, v7, v5
	s_delay_alu instid0(VALU_DEP_2)
	v_add_co_ci_u32_e32 v6, vcc_lo, v8, v6, vcc_lo
	global_store_b64 v[5:6], v[0:1], off
.LBB34_55:
	s_or_b32 exec_lo, exec_lo, s5
	v_cmp_gt_i64_e32 vcc_lo, s[6:7], v[3:4]
	s_and_b32 exec_lo, exec_lo, vcc_lo
	s_cbranch_execz .LBB34_66
; %bb.56:
	s_and_saveexec_b32 s1, s4
	s_delay_alu instid0(SALU_CYCLE_1)
	s_xor_b32 s1, exec_lo, s1
	s_cbranch_execz .LBB34_61
; %bb.57:
	s_and_not1_b32 vcc_lo, exec_lo, s0
	s_mov_b32 s4, -1
	s_cbranch_vccnz .LBB34_59
; %bb.58:
	v_lshlrev_b64 v[0:1], 3, v[3:4]
	v_mul_f32_e64 v6, v2, -v16
	s_mov_b32 s4, 0
	s_delay_alu instid0(VALU_DEP_1) | instskip(NEXT) | instid1(VALU_DEP_3)
	v_fmac_f32_e32 v6, v15, v19
	v_add_co_u32 v0, vcc_lo, v9, v0
	s_delay_alu instid0(VALU_DEP_4)
	v_add_co_ci_u32_e32 v1, vcc_lo, v10, v1, vcc_lo
	v_mul_f32_e32 v10, v2, v15
	global_load_b64 v[4:5], v[0:1], off
	v_fmac_f32_e32 v10, v16, v19
	s_waitcnt vmcnt(0)
	v_fmac_f32_e32 v6, v17, v4
	s_delay_alu instid0(VALU_DEP_2) | instskip(NEXT) | instid1(VALU_DEP_2)
	v_fmac_f32_e32 v10, v18, v4
	v_fma_f32 v9, -v18, v5, v6
	s_delay_alu instid0(VALU_DEP_2)
	v_fmac_f32_e32 v10, v17, v5
	global_store_b64 v[0:1], v[9:10], off
.LBB34_59:
	s_and_not1_b32 vcc_lo, exec_lo, s4
                                        ; implicit-def: $vgpr9
                                        ; implicit-def: $vgpr10
	s_cbranch_vccnz .LBB34_61
; %bb.60:
	v_mad_u64_u32 v[0:1], null, v3, s2, 0
                                        ; implicit-def: $vgpr9
                                        ; implicit-def: $vgpr10
	v_mul_f32_e32 v6, v2, v15
	s_delay_alu instid0(VALU_DEP_1) | instskip(NEXT) | instid1(VALU_DEP_3)
	v_fmac_f32_e32 v6, v16, v19
	v_mad_u64_u32 v[4:5], null, v3, s3, v[1:2]
	v_mul_f32_e64 v5, v2, -v16
                                        ; implicit-def: $vgpr16
                                        ; implicit-def: $vgpr2
	s_delay_alu instid0(VALU_DEP_2) | instskip(NEXT) | instid1(VALU_DEP_1)
	v_mov_b32_e32 v1, v4
	v_lshlrev_b64 v[0:1], 3, v[0:1]
	s_delay_alu instid0(VALU_DEP_1) | instskip(NEXT) | instid1(VALU_DEP_2)
	v_add_co_u32 v0, vcc_lo, v7, v0
	v_add_co_ci_u32_e32 v1, vcc_lo, v8, v1, vcc_lo
                                        ; implicit-def: $vgpr7
                                        ; implicit-def: $vgpr8
	global_load_b64 v[3:4], v[0:1], off
	s_waitcnt vmcnt(0)
	v_fmac_f32_e32 v6, v18, v3
	v_fmac_f32_e32 v5, v15, v19
                                        ; implicit-def: $vgpr15
                                        ; implicit-def: $vgpr19
	s_delay_alu instid0(VALU_DEP_2) | instskip(NEXT) | instid1(VALU_DEP_2)
	v_fmac_f32_e32 v6, v17, v4
	v_fmac_f32_e32 v5, v17, v3
	s_delay_alu instid0(VALU_DEP_1)
	v_fma_f32 v5, -v18, v4, v5
                                        ; implicit-def: $vgpr3_vgpr4
	global_store_b64 v[0:1], v[5:6], off
.LBB34_61:
	s_and_not1_saveexec_b32 s1, s1
	s_cbranch_execz .LBB34_66
; %bb.62:
	v_mul_f32_e64 v0, v2, -v16
	v_mul_f32_e32 v1, v2, v15
	s_and_not1_b32 vcc_lo, exec_lo, s0
	s_mov_b32 s0, -1
	s_delay_alu instid0(VALU_DEP_2) | instskip(NEXT) | instid1(VALU_DEP_2)
	v_fmac_f32_e32 v0, v15, v19
	v_fmac_f32_e32 v1, v16, v19
	s_cbranch_vccnz .LBB34_64
; %bb.63:
	v_lshlrev_b64 v[4:5], 3, v[3:4]
	s_mov_b32 s0, 0
	s_delay_alu instid0(VALU_DEP_1) | instskip(NEXT) | instid1(VALU_DEP_2)
	v_add_co_u32 v4, vcc_lo, v9, v4
	v_add_co_ci_u32_e32 v5, vcc_lo, v10, v5, vcc_lo
	global_store_b64 v[4:5], v[0:1], off
.LBB34_64:
	s_and_not1_b32 vcc_lo, exec_lo, s0
	s_cbranch_vccnz .LBB34_66
; %bb.65:
	v_mad_u64_u32 v[4:5], null, v3, s2, 0
	s_delay_alu instid0(VALU_DEP_1) | instskip(NEXT) | instid1(VALU_DEP_1)
	v_mov_b32_e32 v2, v5
	v_mad_u64_u32 v[5:6], null, v3, s3, v[2:3]
	s_delay_alu instid0(VALU_DEP_1) | instskip(NEXT) | instid1(VALU_DEP_1)
	v_lshlrev_b64 v[2:3], 3, v[4:5]
	v_add_co_u32 v2, vcc_lo, v7, v2
	s_delay_alu instid0(VALU_DEP_2)
	v_add_co_ci_u32_e32 v3, vcc_lo, v8, v3, vcc_lo
	global_store_b64 v[2:3], v[0:1], off
.LBB34_66:
	s_nop 0
	s_sendmsg sendmsg(MSG_DEALLOC_VGPRS)
	s_endpgm
	.section	.rodata,"a",@progbits
	.p2align	6, 0x0
	.amdhsa_kernel _ZN9rocsparseL31bsrmm_large_blockdim_kernel_extILj16ELj16ELj2Ell21rocsparse_complex_numIfES2_S2_S2_EEvb20rocsparse_direction_T3_S4_llNS_24const_host_device_scalarIT7_EEPKT2_PKS4_PKT4_S4_PKT5_llS7_PT6_ll16rocsparse_order_21rocsparse_index_base_b
		.amdhsa_group_segment_fixed_size 6144
		.amdhsa_private_segment_fixed_size 0
		.amdhsa_kernarg_size 148
		.amdhsa_user_sgpr_count 14
		.amdhsa_user_sgpr_dispatch_ptr 0
		.amdhsa_user_sgpr_queue_ptr 0
		.amdhsa_user_sgpr_kernarg_segment_ptr 1
		.amdhsa_user_sgpr_dispatch_id 0
		.amdhsa_user_sgpr_private_segment_size 0
		.amdhsa_wavefront_size32 1
		.amdhsa_uses_dynamic_stack 0
		.amdhsa_enable_private_segment 0
		.amdhsa_system_sgpr_workgroup_id_x 1
		.amdhsa_system_sgpr_workgroup_id_y 1
		.amdhsa_system_sgpr_workgroup_id_z 0
		.amdhsa_system_sgpr_workgroup_info 0
		.amdhsa_system_vgpr_workitem_id 1
		.amdhsa_next_free_vgpr 49
		.amdhsa_next_free_sgpr 44
		.amdhsa_reserve_vcc 1
		.amdhsa_float_round_mode_32 0
		.amdhsa_float_round_mode_16_64 0
		.amdhsa_float_denorm_mode_32 3
		.amdhsa_float_denorm_mode_16_64 3
		.amdhsa_dx10_clamp 1
		.amdhsa_ieee_mode 1
		.amdhsa_fp16_overflow 0
		.amdhsa_workgroup_processor_mode 1
		.amdhsa_memory_ordered 1
		.amdhsa_forward_progress 0
		.amdhsa_shared_vgpr_count 0
		.amdhsa_exception_fp_ieee_invalid_op 0
		.amdhsa_exception_fp_denorm_src 0
		.amdhsa_exception_fp_ieee_div_zero 0
		.amdhsa_exception_fp_ieee_overflow 0
		.amdhsa_exception_fp_ieee_underflow 0
		.amdhsa_exception_fp_ieee_inexact 0
		.amdhsa_exception_int_div_zero 0
	.end_amdhsa_kernel
	.section	.text._ZN9rocsparseL31bsrmm_large_blockdim_kernel_extILj16ELj16ELj2Ell21rocsparse_complex_numIfES2_S2_S2_EEvb20rocsparse_direction_T3_S4_llNS_24const_host_device_scalarIT7_EEPKT2_PKS4_PKT4_S4_PKT5_llS7_PT6_ll16rocsparse_order_21rocsparse_index_base_b,"axG",@progbits,_ZN9rocsparseL31bsrmm_large_blockdim_kernel_extILj16ELj16ELj2Ell21rocsparse_complex_numIfES2_S2_S2_EEvb20rocsparse_direction_T3_S4_llNS_24const_host_device_scalarIT7_EEPKT2_PKS4_PKT4_S4_PKT5_llS7_PT6_ll16rocsparse_order_21rocsparse_index_base_b,comdat
.Lfunc_end34:
	.size	_ZN9rocsparseL31bsrmm_large_blockdim_kernel_extILj16ELj16ELj2Ell21rocsparse_complex_numIfES2_S2_S2_EEvb20rocsparse_direction_T3_S4_llNS_24const_host_device_scalarIT7_EEPKT2_PKS4_PKT4_S4_PKT5_llS7_PT6_ll16rocsparse_order_21rocsparse_index_base_b, .Lfunc_end34-_ZN9rocsparseL31bsrmm_large_blockdim_kernel_extILj16ELj16ELj2Ell21rocsparse_complex_numIfES2_S2_S2_EEvb20rocsparse_direction_T3_S4_llNS_24const_host_device_scalarIT7_EEPKT2_PKS4_PKT4_S4_PKT5_llS7_PT6_ll16rocsparse_order_21rocsparse_index_base_b
                                        ; -- End function
	.section	.AMDGPU.csdata,"",@progbits
; Kernel info:
; codeLenInByte = 3144
; NumSgprs: 46
; NumVgprs: 49
; ScratchSize: 0
; MemoryBound: 0
; FloatMode: 240
; IeeeMode: 1
; LDSByteSize: 6144 bytes/workgroup (compile time only)
; SGPRBlocks: 5
; VGPRBlocks: 6
; NumSGPRsForWavesPerEU: 46
; NumVGPRsForWavesPerEU: 49
; Occupancy: 16
; WaveLimiterHint : 1
; COMPUTE_PGM_RSRC2:SCRATCH_EN: 0
; COMPUTE_PGM_RSRC2:USER_SGPR: 14
; COMPUTE_PGM_RSRC2:TRAP_HANDLER: 0
; COMPUTE_PGM_RSRC2:TGID_X_EN: 1
; COMPUTE_PGM_RSRC2:TGID_Y_EN: 1
; COMPUTE_PGM_RSRC2:TGID_Z_EN: 0
; COMPUTE_PGM_RSRC2:TIDIG_COMP_CNT: 1
	.section	.text._ZN9rocsparseL31bsrmm_large_blockdim_kernel_extILj32ELj32ELj2Ell21rocsparse_complex_numIfES2_S2_S2_EEvb20rocsparse_direction_T3_S4_llNS_24const_host_device_scalarIT7_EEPKT2_PKS4_PKT4_S4_PKT5_llS7_PT6_ll16rocsparse_order_21rocsparse_index_base_b,"axG",@progbits,_ZN9rocsparseL31bsrmm_large_blockdim_kernel_extILj32ELj32ELj2Ell21rocsparse_complex_numIfES2_S2_S2_EEvb20rocsparse_direction_T3_S4_llNS_24const_host_device_scalarIT7_EEPKT2_PKS4_PKT4_S4_PKT5_llS7_PT6_ll16rocsparse_order_21rocsparse_index_base_b,comdat
	.globl	_ZN9rocsparseL31bsrmm_large_blockdim_kernel_extILj32ELj32ELj2Ell21rocsparse_complex_numIfES2_S2_S2_EEvb20rocsparse_direction_T3_S4_llNS_24const_host_device_scalarIT7_EEPKT2_PKS4_PKT4_S4_PKT5_llS7_PT6_ll16rocsparse_order_21rocsparse_index_base_b ; -- Begin function _ZN9rocsparseL31bsrmm_large_blockdim_kernel_extILj32ELj32ELj2Ell21rocsparse_complex_numIfES2_S2_S2_EEvb20rocsparse_direction_T3_S4_llNS_24const_host_device_scalarIT7_EEPKT2_PKS4_PKT4_S4_PKT5_llS7_PT6_ll16rocsparse_order_21rocsparse_index_base_b
	.p2align	8
	.type	_ZN9rocsparseL31bsrmm_large_blockdim_kernel_extILj32ELj32ELj2Ell21rocsparse_complex_numIfES2_S2_S2_EEvb20rocsparse_direction_T3_S4_llNS_24const_host_device_scalarIT7_EEPKT2_PKS4_PKT4_S4_PKT5_llS7_PT6_ll16rocsparse_order_21rocsparse_index_base_b,@function
_ZN9rocsparseL31bsrmm_large_blockdim_kernel_extILj32ELj32ELj2Ell21rocsparse_complex_numIfES2_S2_S2_EEvb20rocsparse_direction_T3_S4_llNS_24const_host_device_scalarIT7_EEPKT2_PKS4_PKT4_S4_PKT5_llS7_PT6_ll16rocsparse_order_21rocsparse_index_base_b: ; @_ZN9rocsparseL31bsrmm_large_blockdim_kernel_extILj32ELj32ELj2Ell21rocsparse_complex_numIfES2_S2_S2_EEvb20rocsparse_direction_T3_S4_llNS_24const_host_device_scalarIT7_EEPKT2_PKS4_PKT4_S4_PKT5_llS7_PT6_ll16rocsparse_order_21rocsparse_index_base_b
; %bb.0:
	s_clause 0x2
	s_load_b128 s[8:11], s[0:1], 0x88
	s_load_b64 s[6:7], s[0:1], 0x28
	s_load_b64 s[4:5], s[0:1], 0x68
	s_mov_b32 s2, s15
	s_waitcnt lgkmcnt(0)
	s_bitcmp1_b32 s10, 0
	v_mov_b32_e32 v15, s6
	s_cselect_b32 s3, -1, 0
	s_delay_alu instid0(SALU_CYCLE_1)
	s_and_b32 vcc_lo, exec_lo, s3
	s_xor_b32 s3, s3, -1
	s_cbranch_vccz .LBB35_40
; %bb.1:
	v_cndmask_b32_e64 v1, 0, 1, s3
	v_mov_b32_e32 v16, s7
	s_and_not1_b32 vcc_lo, exec_lo, s3
	s_cbranch_vccz .LBB35_41
.LBB35_2:
	s_delay_alu instid0(VALU_DEP_2)
	v_cmp_ne_u32_e32 vcc_lo, 1, v1
	v_mov_b32_e32 v17, s4
	s_cbranch_vccz .LBB35_42
.LBB35_3:
	v_cmp_ne_u32_e32 vcc_lo, 1, v1
	v_mov_b32_e32 v18, s5
	s_cbranch_vccnz .LBB35_5
.LBB35_4:
	v_dual_mov_b32 v1, s4 :: v_dual_mov_b32 v2, s5
	flat_load_b32 v18, v[1:2] offset:4
.LBB35_5:
	s_waitcnt vmcnt(0) lgkmcnt(0)
	v_cmp_eq_f32_e32 vcc_lo, 0, v15
	v_cmp_eq_f32_e64 s3, 0, v16
	s_delay_alu instid0(VALU_DEP_1)
	s_and_b32 s5, vcc_lo, s3
	s_mov_b32 s3, -1
	s_and_saveexec_b32 s4, s5
; %bb.6:
	v_cmp_neq_f32_e32 vcc_lo, 1.0, v17
	v_cmp_neq_f32_e64 s3, 0, v18
	s_delay_alu instid0(VALU_DEP_1) | instskip(NEXT) | instid1(SALU_CYCLE_1)
	s_or_b32 s3, vcc_lo, s3
	s_or_not1_b32 s3, s3, exec_lo
; %bb.7:
	s_or_b32 exec_lo, exec_lo, s4
	s_and_saveexec_b32 s4, s3
	s_cbranch_execz .LBB35_66
; %bb.8:
	s_clause 0x1
	s_load_b128 s[4:7], s[0:1], 0x8
	s_load_b64 s[10:11], s[0:1], 0x30
	s_ashr_i32 s15, s14, 31
	s_mov_b64 s[12:13], 0
	s_mov_b64 s[24:25], 0
	s_waitcnt lgkmcnt(0)
	v_cmp_ge_i64_e64 s3, s[14:15], s[4:5]
	v_cmp_lt_i64_e64 s33, s[14:15], s[4:5]
	s_delay_alu instid0(VALU_DEP_2)
	s_and_b32 vcc_lo, exec_lo, s3
	s_cbranch_vccnz .LBB35_10
; %bb.9:
	s_lshl_b64 s[4:5], s[14:15], 3
	s_delay_alu instid0(SALU_CYCLE_1)
	s_add_u32 s4, s10, s4
	s_addc_u32 s5, s11, s5
	s_load_b64 s[4:5], s[4:5], 0x0
	s_waitcnt lgkmcnt(0)
	s_sub_u32 s24, s4, s9
	s_subb_u32 s25, s5, 0
.LBB35_10:
	s_delay_alu instid0(VALU_DEP_1)
	s_and_not1_b32 vcc_lo, exec_lo, s33
	s_cbranch_vccnz .LBB35_12
; %bb.11:
	s_lshl_b64 s[4:5], s[14:15], 3
	s_delay_alu instid0(SALU_CYCLE_1)
	s_add_u32 s4, s10, s4
	s_addc_u32 s5, s11, s5
	s_load_b64 s[4:5], s[4:5], 0x8
	s_waitcnt lgkmcnt(0)
	s_sub_u32 s12, s4, s9
	s_subb_u32 s13, s5, 0
.LBB35_12:
	s_clause 0x1
	s_load_b64 s[26:27], s[0:1], 0x48
	s_load_b64 s[10:11], s[0:1], 0x70
	v_bfe_u32 v1, v0, 10, 10
	v_dual_mov_b32 v6, 0 :: v_dual_and_b32 v7, 0x3ff, v0
	s_mov_b32 s29, 0
	s_delay_alu instid0(VALU_DEP_2) | instskip(SKIP_1) | instid1(VALU_DEP_3)
	v_lshl_add_u32 v5, s2, 6, v1
	v_cmp_ge_i64_e64 s2, s[24:25], s[12:13]
	v_mov_b32_e32 v4, v6
	v_mov_b32_e32 v8, v6
	;; [unrolled: 1-line block ×3, first 2 shown]
	v_add_nc_u32_e32 v3, 32, v5
	v_cmp_gt_i64_e64 s3, s[6:7], v[5:6]
	s_and_b32 vcc_lo, exec_lo, s2
	v_mov_b32_e32 v20, v6
	v_mov_b32_e32 v19, v6
	v_cmp_gt_i64_e64 s4, s[6:7], v[3:4]
	v_mov_b32_e32 v2, v6
	s_waitcnt lgkmcnt(0)
	v_cmp_gt_i64_e64 s2, s[26:27], v[7:8]
	s_cbranch_vccnz .LBB35_43
; %bb.13:
	v_mad_u64_u32 v[9:10], null, v1, s26, 0
	s_clause 0x2
	s_load_b64 s[30:31], s[0:1], 0x0
	s_load_b128 s[16:19], s[0:1], 0x38
	s_load_b128 s[20:23], s[0:1], 0x50
	v_mad_u64_u32 v[11:12], null, v7, s26, 0
	v_dual_mov_b32 v2, 0 :: v_dual_lshlrev_b32 v25, 5, v1
	s_mul_i32 s5, s26, s27
	v_dual_mov_b32 v0, v10 :: v_dual_lshlrev_b32 v19, 3, v7
	s_delay_alu instid0(VALU_DEP_2) | instskip(SKIP_2) | instid1(VALU_DEP_3)
	v_cmp_gt_i64_e32 vcc_lo, s[26:27], v[1:2]
	s_mul_hi_u32 s28, s26, s26
	v_lshl_add_u32 v21, v7, 5, v1
	v_mad_u64_u32 v[13:14], null, v1, s27, v[0:1]
	v_mov_b32_e32 v0, v12
	s_and_b32 s35, s2, vcc_lo
	s_add_i32 s28, s28, s5
	v_lshl_add_u32 v24, v21, 3, 0x4000
	s_add_i32 s34, s28, s5
	s_waitcnt lgkmcnt(0)
	s_bitcmp1_b32 s30, 0
	v_mov_b32_e32 v10, v13
	v_mad_u64_u32 v[12:13], null, v7, s27, v[0:1]
	v_mad_u64_u32 v[13:14], null, v3, s22, 0
	s_delay_alu instid0(VALU_DEP_3) | instskip(SKIP_4) | instid1(VALU_DEP_3)
	v_lshlrev_b64 v[9:10], 3, v[9:10]
	v_add_co_u32 v22, s28, s20, v19
	s_cselect_b32 s5, -1, 0
	s_cmp_eq_u32 s31, 0
	v_lshlrev_b32_e32 v28, 8, v1
	v_add_co_u32 v0, vcc_lo, s18, v9
	v_add_co_ci_u32_e32 v20, vcc_lo, s19, v10, vcc_lo
	v_lshlrev_b64 v[9:10], 3, v[11:12]
	v_mad_u64_u32 v[11:12], null, v5, s22, 0
	s_delay_alu instid0(VALU_DEP_4) | instskip(NEXT) | instid1(VALU_DEP_4)
	v_add_co_u32 v27, vcc_lo, v0, v19
	v_add_co_ci_u32_e32 v26, vcc_lo, 0, v20, vcc_lo
	v_add_co_ci_u32_e64 v23, null, s21, 0, s28
	s_delay_alu instid0(VALU_DEP_4) | instskip(SKIP_3) | instid1(VALU_DEP_4)
	v_mov_b32_e32 v0, v12
	v_add_co_u32 v12, vcc_lo, s18, v9
	v_add_co_ci_u32_e32 v10, vcc_lo, s19, v10, vcc_lo
	v_mov_b32_e32 v9, v14
	v_mad_u64_u32 v[19:20], null, v5, s23, v[0:1]
	v_lshlrev_b32_e32 v14, 3, v1
	v_cmp_gt_i64_e64 s18, s[26:27], 0
	s_delay_alu instid0(VALU_DEP_4) | instskip(SKIP_1) | instid1(VALU_DEP_4)
	v_mad_u64_u32 v[20:21], null, v3, s23, v[9:10]
	v_mov_b32_e32 v21, v2
	v_add_co_u32 v0, vcc_lo, v12, v14
	v_add_co_ci_u32_e32 v9, vcc_lo, 0, v10, vcc_lo
	v_mov_b32_e32 v12, v19
	v_mov_b32_e32 v14, v20
	s_cselect_b32 vcc_lo, -1, 0
	s_and_b32 s36, s3, s18
	s_and_b32 s37, s4, s18
	s_add_u32 s30, s26, -1
	s_addc_u32 s31, s27, -1
	v_dual_cndmask_b32 v26, v26, v9 :: v_dual_cndmask_b32 v27, v27, v0
	s_and_b32 s28, s26, 3
	v_lshlrev_b64 v[0:1], 3, v[11:12]
	v_lshlrev_b64 v[9:10], 3, v[13:14]
	;; [unrolled: 1-line block ×4, first 2 shown]
	v_cmp_gt_u64_e64 s38, s[30:31], 2
	v_add_lshl_u32 v25, v25, v7, 3
	s_and_b32 s19, s27, 0x7fffffff
	s_and_b32 s18, s26, -4
	v_lshl_add_u32 v29, v7, 8, 0x4000
	v_dual_mov_b32 v19, v2 :: v_dual_add_nc_u32 v30, 0x2000, v28
	v_mov_b32_e32 v20, v2
	s_cmp_lg_u64 s[28:29], 0
	s_mul_i32 s15, s26, s26
	s_cselect_b32 s39, -1, 0
	s_branch .LBB35_16
.LBB35_14:                              ;   in Loop: Header=BB35_16 Depth=1
	s_or_b32 exec_lo, exec_lo, s41
.LBB35_15:                              ;   in Loop: Header=BB35_16 Depth=1
	s_delay_alu instid0(SALU_CYCLE_1) | instskip(SKIP_2) | instid1(SALU_CYCLE_1)
	s_or_b32 exec_lo, exec_lo, s40
	s_add_u32 s24, s24, 1
	s_addc_u32 s25, s25, 0
	v_cmp_ge_i64_e64 s30, s[24:25], s[12:13]
	s_barrier
	buffer_gl0_inv
	s_and_b32 vcc_lo, exec_lo, s30
	s_cbranch_vccnz .LBB35_43
.LBB35_16:                              ; =>This Loop Header: Depth=1
                                        ;     Child Loop BB35_27 Depth 2
                                        ;     Child Loop BB35_31 Depth 2
	;; [unrolled: 1-line block ×4, first 2 shown]
	s_and_saveexec_b32 s30, s2
	s_cbranch_execz .LBB35_21
; %bb.17:                               ;   in Loop: Header=BB35_16 Depth=1
	s_lshl_b64 s[40:41], s[24:25], 3
	s_delay_alu instid0(SALU_CYCLE_1)
	s_add_u32 s40, s16, s40
	s_addc_u32 s41, s17, s41
	s_load_b64 s[40:41], s[40:41], 0x0
	s_waitcnt lgkmcnt(0)
	s_sub_u32 s31, s40, s9
	s_subb_u32 s40, s41, 0
	s_mul_i32 s41, s31, s27
	s_mul_hi_u32 s42, s31, s26
	s_mul_i32 s43, s40, s26
	s_add_i32 s41, s42, s41
	s_mul_i32 s40, s31, s26
	s_add_i32 s41, s41, s43
	v_add_co_u32 v33, s31, s40, v7
	s_delay_alu instid0(VALU_DEP_1) | instskip(SKIP_1) | instid1(VALU_DEP_2)
	v_add_co_ci_u32_e64 v34, null, s41, 0, s31
	s_lshl_b64 s[40:41], s[40:41], 3
	v_mul_lo_u32 v35, v33, s23
	v_mad_u64_u32 v[31:32], null, v33, s22, 0
	s_delay_alu instid0(VALU_DEP_3) | instskip(NEXT) | instid1(VALU_DEP_1)
	v_mul_lo_u32 v33, v34, s22
	v_add3_u32 v32, v32, v35, v33
	s_delay_alu instid0(VALU_DEP_1) | instskip(NEXT) | instid1(VALU_DEP_1)
	v_lshlrev_b64 v[31:32], 3, v[31:32]
	v_add_co_u32 v31, vcc_lo, s20, v31
	s_delay_alu instid0(VALU_DEP_2)
	v_add_co_ci_u32_e32 v32, vcc_lo, s21, v32, vcc_lo
	v_add_co_u32 v33, vcc_lo, v22, s40
	v_add_co_ci_u32_e32 v34, vcc_lo, s41, v23, vcc_lo
	s_and_saveexec_b32 s31, s3
	s_cbranch_execz .LBB35_19
; %bb.18:                               ;   in Loop: Header=BB35_16 Depth=1
	s_delay_alu instid0(VALU_DEP_2) | instskip(NEXT) | instid1(VALU_DEP_2)
	v_add_co_u32 v35, vcc_lo, v33, v0
	v_add_co_ci_u32_e32 v36, vcc_lo, v34, v1, vcc_lo
	v_add_co_u32 v37, vcc_lo, v31, v11
	v_add_co_ci_u32_e32 v38, vcc_lo, v32, v12, vcc_lo
	s_delay_alu instid0(VALU_DEP_2) | instskip(NEXT) | instid1(VALU_DEP_2)
	v_cndmask_b32_e64 v35, v37, v35, s5
	v_cndmask_b32_e64 v36, v38, v36, s5
	global_load_b64 v[35:36], v[35:36], off
	s_waitcnt vmcnt(0)
	ds_store_b64 v25, v[35:36]
.LBB35_19:                              ;   in Loop: Header=BB35_16 Depth=1
	s_or_b32 exec_lo, exec_lo, s31
	s_delay_alu instid0(SALU_CYCLE_1)
	s_and_b32 exec_lo, exec_lo, s4
	s_cbranch_execz .LBB35_21
; %bb.20:                               ;   in Loop: Header=BB35_16 Depth=1
	v_add_co_u32 v33, vcc_lo, v33, v9
	v_add_co_ci_u32_e32 v34, vcc_lo, v34, v10, vcc_lo
	v_add_co_u32 v31, vcc_lo, v31, v13
	v_add_co_ci_u32_e32 v32, vcc_lo, v32, v14, vcc_lo
	s_delay_alu instid0(VALU_DEP_2) | instskip(NEXT) | instid1(VALU_DEP_2)
	v_cndmask_b32_e64 v31, v31, v33, s5
	v_cndmask_b32_e64 v32, v32, v34, s5
	global_load_b64 v[31:32], v[31:32], off
	s_waitcnt vmcnt(0)
	ds_store_b64 v25, v[31:32] offset:8192
.LBB35_21:                              ;   in Loop: Header=BB35_16 Depth=1
	s_or_b32 exec_lo, exec_lo, s30
	s_and_saveexec_b32 s30, s35
	s_cbranch_execz .LBB35_23
; %bb.22:                               ;   in Loop: Header=BB35_16 Depth=1
	s_mul_i32 s31, s15, s25
	s_mul_hi_u32 s40, s15, s24
	s_mul_i32 s41, s34, s24
	s_add_i32 s31, s40, s31
	s_mul_i32 s40, s15, s24
	s_add_i32 s41, s31, s41
	s_delay_alu instid0(SALU_CYCLE_1) | instskip(NEXT) | instid1(SALU_CYCLE_1)
	s_lshl_b64 s[40:41], s[40:41], 3
	v_add_co_u32 v31, vcc_lo, v27, s40
	v_add_co_ci_u32_e32 v32, vcc_lo, s41, v26, vcc_lo
	global_load_b64 v[31:32], v[31:32], off
	s_waitcnt vmcnt(0)
	ds_store_b64 v24, v[31:32]
.LBB35_23:                              ;   in Loop: Header=BB35_16 Depth=1
	s_or_b32 exec_lo, exec_lo, s30
	s_waitcnt lgkmcnt(0)
	s_barrier
	buffer_gl0_inv
	s_and_saveexec_b32 s40, s2
	s_cbranch_execz .LBB35_15
; %bb.24:                               ;   in Loop: Header=BB35_16 Depth=1
	s_and_saveexec_b32 s41, s36
	s_cbranch_execz .LBB35_32
; %bb.25:                               ;   in Loop: Header=BB35_16 Depth=1
	s_and_not1_b32 vcc_lo, exec_lo, s38
	s_cbranch_vccnz .LBB35_29
; %bb.26:                               ;   in Loop: Header=BB35_16 Depth=1
	v_dual_mov_b32 v31, v29 :: v_dual_mov_b32 v32, v28
	s_mov_b64 s[30:31], 0
	s_set_inst_prefetch_distance 0x1
	.p2align	6
.LBB35_27:                              ;   Parent Loop BB35_16 Depth=1
                                        ; =>  This Inner Loop Header: Depth=2
	ds_load_b128 v[33:36], v32
	ds_load_b128 v[37:40], v31
	ds_load_b128 v[41:44], v31 offset:16
	ds_load_b128 v[45:48], v32 offset:16
	s_add_u32 s30, s30, 4
	v_add_nc_u32_e32 v32, 32, v32
	s_addc_u32 s31, s31, 0
	v_add_nc_u32_e32 v31, 32, v31
	s_cmp_lg_u64 s[18:19], s[30:31]
	s_waitcnt lgkmcnt(2)
	v_fmac_f32_e32 v20, v38, v33
	s_delay_alu instid0(VALU_DEP_1) | instskip(NEXT) | instid1(VALU_DEP_1)
	v_fmac_f32_e32 v20, v37, v34
	v_dual_fmac_f32 v21, v37, v33 :: v_dual_fmac_f32 v20, v40, v35
	s_delay_alu instid0(VALU_DEP_1) | instskip(NEXT) | instid1(VALU_DEP_1)
	v_fma_f32 v21, -v38, v34, v21
	v_fmac_f32_e32 v21, v39, v35
	s_delay_alu instid0(VALU_DEP_1) | instskip(SKIP_1) | instid1(VALU_DEP_1)
	v_fma_f32 v21, -v40, v36, v21
	s_waitcnt lgkmcnt(0)
	v_dual_fmac_f32 v20, v39, v36 :: v_dual_fmac_f32 v21, v41, v45
	s_delay_alu instid0(VALU_DEP_1) | instskip(NEXT) | instid1(VALU_DEP_2)
	v_fmac_f32_e32 v20, v42, v45
	v_fma_f32 v21, -v42, v46, v21
	s_delay_alu instid0(VALU_DEP_1) | instskip(NEXT) | instid1(VALU_DEP_1)
	v_dual_fmac_f32 v20, v41, v46 :: v_dual_fmac_f32 v21, v43, v47
	v_fmac_f32_e32 v20, v44, v47
	s_delay_alu instid0(VALU_DEP_2) | instskip(NEXT) | instid1(VALU_DEP_2)
	v_fma_f32 v21, -v44, v48, v21
	v_fmac_f32_e32 v20, v43, v48
	s_cbranch_scc1 .LBB35_27
; %bb.28:                               ;   in Loop: Header=BB35_16 Depth=1
	s_set_inst_prefetch_distance 0x2
	s_mov_b64 s[30:31], s[18:19]
	s_and_not1_b32 vcc_lo, exec_lo, s39
	s_cbranch_vccz .LBB35_30
	s_branch .LBB35_32
.LBB35_29:                              ;   in Loop: Header=BB35_16 Depth=1
	s_mov_b64 s[30:31], 0
	s_and_not1_b32 vcc_lo, exec_lo, s39
	s_cbranch_vccnz .LBB35_32
.LBB35_30:                              ;   in Loop: Header=BB35_16 Depth=1
	s_lshl_b32 s30, s30, 3
	s_delay_alu instid0(SALU_CYCLE_1)
	v_add_nc_u32_e32 v31, s30, v28
	v_add_nc_u32_e32 v32, s30, v29
	s_mov_b64 s[30:31], s[28:29]
.LBB35_31:                              ;   Parent Loop BB35_16 Depth=1
                                        ; =>  This Inner Loop Header: Depth=2
	ds_load_b64 v[33:34], v32
	ds_load_b64 v[35:36], v31
	s_add_u32 s30, s30, -1
	s_addc_u32 s31, s31, -1
	v_add_nc_u32_e32 v32, 8, v32
	s_cmp_lg_u64 s[30:31], 0
	s_waitcnt lgkmcnt(0)
	v_fmac_f32_e32 v21, v33, v35
	v_fmac_f32_e32 v20, v34, v35
	v_add_nc_u32_e32 v31, 8, v31
	s_delay_alu instid0(VALU_DEP_3) | instskip(NEXT) | instid1(VALU_DEP_3)
	v_fma_f32 v21, -v34, v36, v21
	v_fmac_f32_e32 v20, v33, v36
	s_cbranch_scc1 .LBB35_31
.LBB35_32:                              ;   in Loop: Header=BB35_16 Depth=1
	s_or_b32 exec_lo, exec_lo, s41
	s_and_saveexec_b32 s41, s37
	s_cbranch_execz .LBB35_14
; %bb.33:                               ;   in Loop: Header=BB35_16 Depth=1
	s_and_not1_b32 vcc_lo, exec_lo, s38
	s_cbranch_vccnz .LBB35_37
; %bb.34:                               ;   in Loop: Header=BB35_16 Depth=1
	v_dual_mov_b32 v31, v29 :: v_dual_mov_b32 v32, v30
	s_mov_b64 s[30:31], 0
	s_set_inst_prefetch_distance 0x1
	.p2align	6
.LBB35_35:                              ;   Parent Loop BB35_16 Depth=1
                                        ; =>  This Inner Loop Header: Depth=2
	ds_load_b128 v[33:36], v32
	ds_load_b128 v[37:40], v31
	ds_load_b128 v[41:44], v31 offset:16
	ds_load_b128 v[45:48], v32 offset:16
	s_add_u32 s30, s30, 4
	v_add_nc_u32_e32 v32, 32, v32
	s_addc_u32 s31, s31, 0
	v_add_nc_u32_e32 v31, 32, v31
	s_cmp_lg_u64 s[18:19], s[30:31]
	s_waitcnt lgkmcnt(2)
	v_fmac_f32_e32 v2, v38, v33
	s_delay_alu instid0(VALU_DEP_1) | instskip(NEXT) | instid1(VALU_DEP_1)
	v_fmac_f32_e32 v2, v37, v34
	v_dual_fmac_f32 v19, v37, v33 :: v_dual_fmac_f32 v2, v40, v35
	s_delay_alu instid0(VALU_DEP_1) | instskip(NEXT) | instid1(VALU_DEP_1)
	v_fma_f32 v19, -v38, v34, v19
	v_fmac_f32_e32 v19, v39, v35
	s_delay_alu instid0(VALU_DEP_1) | instskip(SKIP_1) | instid1(VALU_DEP_1)
	v_fma_f32 v19, -v40, v36, v19
	s_waitcnt lgkmcnt(0)
	v_dual_fmac_f32 v2, v39, v36 :: v_dual_fmac_f32 v19, v41, v45
	s_delay_alu instid0(VALU_DEP_1) | instskip(NEXT) | instid1(VALU_DEP_2)
	v_fmac_f32_e32 v2, v42, v45
	v_fma_f32 v19, -v42, v46, v19
	s_delay_alu instid0(VALU_DEP_1) | instskip(NEXT) | instid1(VALU_DEP_1)
	v_dual_fmac_f32 v2, v41, v46 :: v_dual_fmac_f32 v19, v43, v47
	v_fmac_f32_e32 v2, v44, v47
	s_delay_alu instid0(VALU_DEP_2) | instskip(NEXT) | instid1(VALU_DEP_2)
	v_fma_f32 v19, -v44, v48, v19
	v_fmac_f32_e32 v2, v43, v48
	s_cbranch_scc1 .LBB35_35
; %bb.36:                               ;   in Loop: Header=BB35_16 Depth=1
	s_set_inst_prefetch_distance 0x2
	s_mov_b64 s[30:31], s[18:19]
	s_and_not1_b32 vcc_lo, exec_lo, s39
	s_cbranch_vccz .LBB35_38
	s_branch .LBB35_14
.LBB35_37:                              ;   in Loop: Header=BB35_16 Depth=1
	s_mov_b64 s[30:31], 0
	s_and_not1_b32 vcc_lo, exec_lo, s39
	s_cbranch_vccnz .LBB35_14
.LBB35_38:                              ;   in Loop: Header=BB35_16 Depth=1
	s_lshl_b32 s30, s30, 3
	s_delay_alu instid0(SALU_CYCLE_1)
	v_add_nc_u32_e32 v31, s30, v30
	v_add_nc_u32_e32 v32, s30, v29
	s_mov_b64 s[30:31], s[28:29]
.LBB35_39:                              ;   Parent Loop BB35_16 Depth=1
                                        ; =>  This Inner Loop Header: Depth=2
	ds_load_b64 v[33:34], v32
	ds_load_b64 v[35:36], v31
	s_add_u32 s30, s30, -1
	s_addc_u32 s31, s31, -1
	v_add_nc_u32_e32 v32, 8, v32
	s_cmp_lg_u64 s[30:31], 0
	s_waitcnt lgkmcnt(0)
	v_fmac_f32_e32 v19, v33, v35
	v_fmac_f32_e32 v2, v34, v35
	v_add_nc_u32_e32 v31, 8, v31
	s_delay_alu instid0(VALU_DEP_3) | instskip(NEXT) | instid1(VALU_DEP_3)
	v_fma_f32 v19, -v34, v36, v19
	v_fmac_f32_e32 v2, v33, v36
	s_cbranch_scc1 .LBB35_39
	s_branch .LBB35_14
.LBB35_40:
	v_dual_mov_b32 v1, s6 :: v_dual_mov_b32 v2, s7
	flat_load_b32 v15, v[1:2]
	v_cndmask_b32_e64 v1, 0, 1, s3
	v_mov_b32_e32 v16, s7
	s_and_not1_b32 vcc_lo, exec_lo, s3
	s_cbranch_vccnz .LBB35_2
.LBB35_41:
	v_dual_mov_b32 v2, s6 :: v_dual_mov_b32 v3, s7
	flat_load_b32 v16, v[2:3] offset:4
	v_cmp_ne_u32_e32 vcc_lo, 1, v1
	v_mov_b32_e32 v17, s4
	s_cbranch_vccnz .LBB35_3
.LBB35_42:
	v_dual_mov_b32 v2, s4 :: v_dual_mov_b32 v3, s5
	flat_load_b32 v17, v[2:3]
	v_cmp_ne_u32_e32 vcc_lo, 1, v1
	v_mov_b32_e32 v18, s5
	s_cbranch_vccz .LBB35_4
	s_branch .LBB35_5
.LBB35_43:
	s_delay_alu instid0(VALU_DEP_1) | instskip(NEXT) | instid1(SALU_CYCLE_1)
	s_and_b32 s2, s33, s2
	s_and_b32 exec_lo, exec_lo, s2
	s_cbranch_execz .LBB35_66
; %bb.44:
	s_load_b64 s[2:3], s[0:1], 0x78
	v_mad_u64_u32 v[0:1], null, s14, s26, v[7:8]
	v_cmp_neq_f32_e32 vcc_lo, 0, v17
	v_cmp_neq_f32_e64 s0, 0, v18
	s_mov_b32 s5, exec_lo
	s_delay_alu instid0(VALU_DEP_1) | instskip(NEXT) | instid1(VALU_DEP_3)
	s_or_b32 s4, vcc_lo, s0
	v_mad_u64_u32 v[7:8], null, s14, s27, v[1:2]
	s_cmp_lg_u32 s8, 1
	s_cselect_b32 s0, -1, 0
	s_waitcnt lgkmcnt(0)
	v_mul_lo_u32 v1, v0, s3
	v_mad_u64_u32 v[8:9], null, v0, s2, 0
	s_delay_alu instid0(VALU_DEP_3) | instskip(NEXT) | instid1(VALU_DEP_1)
	v_mul_lo_u32 v10, v7, s2
	v_add3_u32 v9, v9, v1, v10
	v_mov_b32_e32 v1, v7
	s_delay_alu instid0(VALU_DEP_2) | instskip(NEXT) | instid1(VALU_DEP_2)
	v_lshlrev_b64 v[7:8], 3, v[8:9]
	v_lshlrev_b64 v[0:1], 3, v[0:1]
	s_delay_alu instid0(VALU_DEP_2) | instskip(NEXT) | instid1(VALU_DEP_3)
	v_add_co_u32 v9, vcc_lo, s10, v7
	v_add_co_ci_u32_e32 v10, vcc_lo, s11, v8, vcc_lo
	s_delay_alu instid0(VALU_DEP_3) | instskip(NEXT) | instid1(VALU_DEP_4)
	v_add_co_u32 v7, vcc_lo, s10, v0
	v_add_co_ci_u32_e32 v8, vcc_lo, s11, v1, vcc_lo
	v_cmpx_gt_i64_e64 s[6:7], v[5:6]
	s_cbranch_execz .LBB35_55
; %bb.45:
	s_and_saveexec_b32 s1, s4
	s_delay_alu instid0(SALU_CYCLE_1)
	s_xor_b32 s1, exec_lo, s1
	s_cbranch_execz .LBB35_50
; %bb.46:
	s_and_b32 vcc_lo, exec_lo, s0
	s_mov_b32 s8, -1
	s_cbranch_vccz .LBB35_48
; %bb.47:
	v_lshlrev_b64 v[0:1], 3, v[5:6]
	v_mul_f32_e64 v6, v20, -v16
	v_mul_f32_e32 v14, v20, v15
	s_mov_b32 s8, 0
	s_delay_alu instid0(VALU_DEP_2) | instskip(NEXT) | instid1(VALU_DEP_4)
	v_fmac_f32_e32 v6, v15, v21
	v_add_co_u32 v0, vcc_lo, v9, v0
	v_add_co_ci_u32_e32 v1, vcc_lo, v10, v1, vcc_lo
	v_fmac_f32_e32 v14, v16, v21
	global_load_b64 v[11:12], v[0:1], off
	s_waitcnt vmcnt(0)
	v_fmac_f32_e32 v6, v17, v11
	v_fmac_f32_e32 v14, v18, v11
	s_delay_alu instid0(VALU_DEP_2) | instskip(NEXT) | instid1(VALU_DEP_2)
	v_fma_f32 v13, -v18, v12, v6
	v_fmac_f32_e32 v14, v17, v12
	global_store_b64 v[0:1], v[13:14], off
.LBB35_48:
	s_and_not1_b32 vcc_lo, exec_lo, s8
	s_cbranch_vccnz .LBB35_50
; %bb.49:
	v_mad_u64_u32 v[0:1], null, v5, s2, 0
	s_delay_alu instid0(VALU_DEP_1) | instskip(SKIP_1) | instid1(VALU_DEP_1)
	v_mad_u64_u32 v[11:12], null, v5, s3, v[1:2]
	v_mul_f32_e32 v12, v20, v15
	v_dual_fmac_f32 v12, v16, v21 :: v_dual_mov_b32 v1, v11
	v_mul_f32_e64 v11, v20, -v16
                                        ; implicit-def: $vgpr20
	s_delay_alu instid0(VALU_DEP_2) | instskip(NEXT) | instid1(VALU_DEP_1)
	v_lshlrev_b64 v[0:1], 3, v[0:1]
	v_add_co_u32 v0, vcc_lo, v7, v0
	s_delay_alu instid0(VALU_DEP_2) | instskip(SKIP_4) | instid1(VALU_DEP_2)
	v_add_co_ci_u32_e32 v1, vcc_lo, v8, v1, vcc_lo
	global_load_b64 v[5:6], v[0:1], off
	s_waitcnt vmcnt(0)
	v_fmac_f32_e32 v12, v18, v5
	v_fmac_f32_e32 v11, v15, v21
                                        ; implicit-def: $vgpr21
	v_fmac_f32_e32 v12, v17, v6
	s_delay_alu instid0(VALU_DEP_2) | instskip(NEXT) | instid1(VALU_DEP_1)
	v_fmac_f32_e32 v11, v17, v5
	v_fma_f32 v11, -v18, v6, v11
                                        ; implicit-def: $vgpr5_vgpr6
	global_store_b64 v[0:1], v[11:12], off
.LBB35_50:
	s_and_not1_saveexec_b32 s1, s1
	s_cbranch_execz .LBB35_55
; %bb.51:
	v_mul_f32_e64 v0, v20, -v16
	v_mul_f32_e32 v1, v20, v15
	s_and_b32 vcc_lo, exec_lo, s0
	s_mov_b32 s1, -1
	s_delay_alu instid0(VALU_DEP_2) | instskip(NEXT) | instid1(VALU_DEP_2)
	v_fmac_f32_e32 v0, v15, v21
	v_fmac_f32_e32 v1, v16, v21
	s_cbranch_vccz .LBB35_53
; %bb.52:
	v_lshlrev_b64 v[11:12], 3, v[5:6]
	s_mov_b32 s1, 0
	s_delay_alu instid0(VALU_DEP_1) | instskip(NEXT) | instid1(VALU_DEP_2)
	v_add_co_u32 v11, vcc_lo, v9, v11
	v_add_co_ci_u32_e32 v12, vcc_lo, v10, v12, vcc_lo
	global_store_b64 v[11:12], v[0:1], off
.LBB35_53:
	s_and_not1_b32 vcc_lo, exec_lo, s1
	s_cbranch_vccnz .LBB35_55
; %bb.54:
	v_mad_u64_u32 v[11:12], null, v5, s2, 0
	s_delay_alu instid0(VALU_DEP_1) | instskip(NEXT) | instid1(VALU_DEP_1)
	v_mov_b32_e32 v6, v12
	v_mad_u64_u32 v[12:13], null, v5, s3, v[6:7]
	s_delay_alu instid0(VALU_DEP_1) | instskip(NEXT) | instid1(VALU_DEP_1)
	v_lshlrev_b64 v[5:6], 3, v[11:12]
	v_add_co_u32 v5, vcc_lo, v7, v5
	s_delay_alu instid0(VALU_DEP_2)
	v_add_co_ci_u32_e32 v6, vcc_lo, v8, v6, vcc_lo
	global_store_b64 v[5:6], v[0:1], off
.LBB35_55:
	s_or_b32 exec_lo, exec_lo, s5
	v_cmp_gt_i64_e32 vcc_lo, s[6:7], v[3:4]
	s_and_b32 exec_lo, exec_lo, vcc_lo
	s_cbranch_execz .LBB35_66
; %bb.56:
	s_and_saveexec_b32 s1, s4
	s_delay_alu instid0(SALU_CYCLE_1)
	s_xor_b32 s1, exec_lo, s1
	s_cbranch_execz .LBB35_61
; %bb.57:
	s_and_not1_b32 vcc_lo, exec_lo, s0
	s_mov_b32 s4, -1
	s_cbranch_vccnz .LBB35_59
; %bb.58:
	v_lshlrev_b64 v[0:1], 3, v[3:4]
	v_mul_f32_e64 v6, v2, -v16
	s_mov_b32 s4, 0
	s_delay_alu instid0(VALU_DEP_1) | instskip(NEXT) | instid1(VALU_DEP_3)
	v_fmac_f32_e32 v6, v15, v19
	v_add_co_u32 v0, vcc_lo, v9, v0
	s_delay_alu instid0(VALU_DEP_4)
	v_add_co_ci_u32_e32 v1, vcc_lo, v10, v1, vcc_lo
	v_mul_f32_e32 v10, v2, v15
	global_load_b64 v[4:5], v[0:1], off
	v_fmac_f32_e32 v10, v16, v19
	s_waitcnt vmcnt(0)
	v_fmac_f32_e32 v6, v17, v4
	s_delay_alu instid0(VALU_DEP_2) | instskip(NEXT) | instid1(VALU_DEP_2)
	v_fmac_f32_e32 v10, v18, v4
	v_fma_f32 v9, -v18, v5, v6
	s_delay_alu instid0(VALU_DEP_2)
	v_fmac_f32_e32 v10, v17, v5
	global_store_b64 v[0:1], v[9:10], off
.LBB35_59:
	s_and_not1_b32 vcc_lo, exec_lo, s4
                                        ; implicit-def: $vgpr9
                                        ; implicit-def: $vgpr10
	s_cbranch_vccnz .LBB35_61
; %bb.60:
	v_mad_u64_u32 v[0:1], null, v3, s2, 0
                                        ; implicit-def: $vgpr9
                                        ; implicit-def: $vgpr10
	v_mul_f32_e32 v6, v2, v15
	s_delay_alu instid0(VALU_DEP_1) | instskip(NEXT) | instid1(VALU_DEP_3)
	v_fmac_f32_e32 v6, v16, v19
	v_mad_u64_u32 v[4:5], null, v3, s3, v[1:2]
	v_mul_f32_e64 v5, v2, -v16
                                        ; implicit-def: $vgpr16
                                        ; implicit-def: $vgpr2
	s_delay_alu instid0(VALU_DEP_2) | instskip(NEXT) | instid1(VALU_DEP_1)
	v_mov_b32_e32 v1, v4
	v_lshlrev_b64 v[0:1], 3, v[0:1]
	s_delay_alu instid0(VALU_DEP_1) | instskip(NEXT) | instid1(VALU_DEP_2)
	v_add_co_u32 v0, vcc_lo, v7, v0
	v_add_co_ci_u32_e32 v1, vcc_lo, v8, v1, vcc_lo
                                        ; implicit-def: $vgpr7
                                        ; implicit-def: $vgpr8
	global_load_b64 v[3:4], v[0:1], off
	s_waitcnt vmcnt(0)
	v_fmac_f32_e32 v6, v18, v3
	v_fmac_f32_e32 v5, v15, v19
                                        ; implicit-def: $vgpr15
                                        ; implicit-def: $vgpr19
	s_delay_alu instid0(VALU_DEP_2) | instskip(NEXT) | instid1(VALU_DEP_2)
	v_fmac_f32_e32 v6, v17, v4
	v_fmac_f32_e32 v5, v17, v3
	s_delay_alu instid0(VALU_DEP_1)
	v_fma_f32 v5, -v18, v4, v5
                                        ; implicit-def: $vgpr3_vgpr4
	global_store_b64 v[0:1], v[5:6], off
.LBB35_61:
	s_and_not1_saveexec_b32 s1, s1
	s_cbranch_execz .LBB35_66
; %bb.62:
	v_mul_f32_e64 v0, v2, -v16
	v_mul_f32_e32 v1, v2, v15
	s_and_not1_b32 vcc_lo, exec_lo, s0
	s_mov_b32 s0, -1
	s_delay_alu instid0(VALU_DEP_2) | instskip(NEXT) | instid1(VALU_DEP_2)
	v_fmac_f32_e32 v0, v15, v19
	v_fmac_f32_e32 v1, v16, v19
	s_cbranch_vccnz .LBB35_64
; %bb.63:
	v_lshlrev_b64 v[4:5], 3, v[3:4]
	s_mov_b32 s0, 0
	s_delay_alu instid0(VALU_DEP_1) | instskip(NEXT) | instid1(VALU_DEP_2)
	v_add_co_u32 v4, vcc_lo, v9, v4
	v_add_co_ci_u32_e32 v5, vcc_lo, v10, v5, vcc_lo
	global_store_b64 v[4:5], v[0:1], off
.LBB35_64:
	s_and_not1_b32 vcc_lo, exec_lo, s0
	s_cbranch_vccnz .LBB35_66
; %bb.65:
	v_mad_u64_u32 v[4:5], null, v3, s2, 0
	s_delay_alu instid0(VALU_DEP_1) | instskip(NEXT) | instid1(VALU_DEP_1)
	v_mov_b32_e32 v2, v5
	v_mad_u64_u32 v[5:6], null, v3, s3, v[2:3]
	s_delay_alu instid0(VALU_DEP_1) | instskip(NEXT) | instid1(VALU_DEP_1)
	v_lshlrev_b64 v[2:3], 3, v[4:5]
	v_add_co_u32 v2, vcc_lo, v7, v2
	s_delay_alu instid0(VALU_DEP_2)
	v_add_co_ci_u32_e32 v3, vcc_lo, v8, v3, vcc_lo
	global_store_b64 v[2:3], v[0:1], off
.LBB35_66:
	s_nop 0
	s_sendmsg sendmsg(MSG_DEALLOC_VGPRS)
	s_endpgm
	.section	.rodata,"a",@progbits
	.p2align	6, 0x0
	.amdhsa_kernel _ZN9rocsparseL31bsrmm_large_blockdim_kernel_extILj32ELj32ELj2Ell21rocsparse_complex_numIfES2_S2_S2_EEvb20rocsparse_direction_T3_S4_llNS_24const_host_device_scalarIT7_EEPKT2_PKS4_PKT4_S4_PKT5_llS7_PT6_ll16rocsparse_order_21rocsparse_index_base_b
		.amdhsa_group_segment_fixed_size 24576
		.amdhsa_private_segment_fixed_size 0
		.amdhsa_kernarg_size 148
		.amdhsa_user_sgpr_count 14
		.amdhsa_user_sgpr_dispatch_ptr 0
		.amdhsa_user_sgpr_queue_ptr 0
		.amdhsa_user_sgpr_kernarg_segment_ptr 1
		.amdhsa_user_sgpr_dispatch_id 0
		.amdhsa_user_sgpr_private_segment_size 0
		.amdhsa_wavefront_size32 1
		.amdhsa_uses_dynamic_stack 0
		.amdhsa_enable_private_segment 0
		.amdhsa_system_sgpr_workgroup_id_x 1
		.amdhsa_system_sgpr_workgroup_id_y 1
		.amdhsa_system_sgpr_workgroup_id_z 0
		.amdhsa_system_sgpr_workgroup_info 0
		.amdhsa_system_vgpr_workitem_id 1
		.amdhsa_next_free_vgpr 49
		.amdhsa_next_free_sgpr 44
		.amdhsa_reserve_vcc 1
		.amdhsa_float_round_mode_32 0
		.amdhsa_float_round_mode_16_64 0
		.amdhsa_float_denorm_mode_32 3
		.amdhsa_float_denorm_mode_16_64 3
		.amdhsa_dx10_clamp 1
		.amdhsa_ieee_mode 1
		.amdhsa_fp16_overflow 0
		.amdhsa_workgroup_processor_mode 1
		.amdhsa_memory_ordered 1
		.amdhsa_forward_progress 0
		.amdhsa_shared_vgpr_count 0
		.amdhsa_exception_fp_ieee_invalid_op 0
		.amdhsa_exception_fp_denorm_src 0
		.amdhsa_exception_fp_ieee_div_zero 0
		.amdhsa_exception_fp_ieee_overflow 0
		.amdhsa_exception_fp_ieee_underflow 0
		.amdhsa_exception_fp_ieee_inexact 0
		.amdhsa_exception_int_div_zero 0
	.end_amdhsa_kernel
	.section	.text._ZN9rocsparseL31bsrmm_large_blockdim_kernel_extILj32ELj32ELj2Ell21rocsparse_complex_numIfES2_S2_S2_EEvb20rocsparse_direction_T3_S4_llNS_24const_host_device_scalarIT7_EEPKT2_PKS4_PKT4_S4_PKT5_llS7_PT6_ll16rocsparse_order_21rocsparse_index_base_b,"axG",@progbits,_ZN9rocsparseL31bsrmm_large_blockdim_kernel_extILj32ELj32ELj2Ell21rocsparse_complex_numIfES2_S2_S2_EEvb20rocsparse_direction_T3_S4_llNS_24const_host_device_scalarIT7_EEPKT2_PKS4_PKT4_S4_PKT5_llS7_PT6_ll16rocsparse_order_21rocsparse_index_base_b,comdat
.Lfunc_end35:
	.size	_ZN9rocsparseL31bsrmm_large_blockdim_kernel_extILj32ELj32ELj2Ell21rocsparse_complex_numIfES2_S2_S2_EEvb20rocsparse_direction_T3_S4_llNS_24const_host_device_scalarIT7_EEPKT2_PKS4_PKT4_S4_PKT5_llS7_PT6_ll16rocsparse_order_21rocsparse_index_base_b, .Lfunc_end35-_ZN9rocsparseL31bsrmm_large_blockdim_kernel_extILj32ELj32ELj2Ell21rocsparse_complex_numIfES2_S2_S2_EEvb20rocsparse_direction_T3_S4_llNS_24const_host_device_scalarIT7_EEPKT2_PKS4_PKT4_S4_PKT5_llS7_PT6_ll16rocsparse_order_21rocsparse_index_base_b
                                        ; -- End function
	.section	.AMDGPU.csdata,"",@progbits
; Kernel info:
; codeLenInByte = 3144
; NumSgprs: 46
; NumVgprs: 49
; ScratchSize: 0
; MemoryBound: 0
; FloatMode: 240
; IeeeMode: 1
; LDSByteSize: 24576 bytes/workgroup (compile time only)
; SGPRBlocks: 5
; VGPRBlocks: 6
; NumSGPRsForWavesPerEU: 46
; NumVGPRsForWavesPerEU: 49
; Occupancy: 16
; WaveLimiterHint : 1
; COMPUTE_PGM_RSRC2:SCRATCH_EN: 0
; COMPUTE_PGM_RSRC2:USER_SGPR: 14
; COMPUTE_PGM_RSRC2:TRAP_HANDLER: 0
; COMPUTE_PGM_RSRC2:TGID_X_EN: 1
; COMPUTE_PGM_RSRC2:TGID_Y_EN: 1
; COMPUTE_PGM_RSRC2:TGID_Z_EN: 0
; COMPUTE_PGM_RSRC2:TIDIG_COMP_CNT: 1
	.section	.text._ZN9rocsparseL31bsrmm_large_blockdim_kernel_extILj8ELj8ELj2Eii21rocsparse_complex_numIdES2_S2_S2_EEvb20rocsparse_direction_T3_S4_llNS_24const_host_device_scalarIT7_EEPKT2_PKS4_PKT4_S4_PKT5_llS7_PT6_ll16rocsparse_order_21rocsparse_index_base_b,"axG",@progbits,_ZN9rocsparseL31bsrmm_large_blockdim_kernel_extILj8ELj8ELj2Eii21rocsparse_complex_numIdES2_S2_S2_EEvb20rocsparse_direction_T3_S4_llNS_24const_host_device_scalarIT7_EEPKT2_PKS4_PKT4_S4_PKT5_llS7_PT6_ll16rocsparse_order_21rocsparse_index_base_b,comdat
	.globl	_ZN9rocsparseL31bsrmm_large_blockdim_kernel_extILj8ELj8ELj2Eii21rocsparse_complex_numIdES2_S2_S2_EEvb20rocsparse_direction_T3_S4_llNS_24const_host_device_scalarIT7_EEPKT2_PKS4_PKT4_S4_PKT5_llS7_PT6_ll16rocsparse_order_21rocsparse_index_base_b ; -- Begin function _ZN9rocsparseL31bsrmm_large_blockdim_kernel_extILj8ELj8ELj2Eii21rocsparse_complex_numIdES2_S2_S2_EEvb20rocsparse_direction_T3_S4_llNS_24const_host_device_scalarIT7_EEPKT2_PKS4_PKT4_S4_PKT5_llS7_PT6_ll16rocsparse_order_21rocsparse_index_base_b
	.p2align	8
	.type	_ZN9rocsparseL31bsrmm_large_blockdim_kernel_extILj8ELj8ELj2Eii21rocsparse_complex_numIdES2_S2_S2_EEvb20rocsparse_direction_T3_S4_llNS_24const_host_device_scalarIT7_EEPKT2_PKS4_PKT4_S4_PKT5_llS7_PT6_ll16rocsparse_order_21rocsparse_index_base_b,@function
_ZN9rocsparseL31bsrmm_large_blockdim_kernel_extILj8ELj8ELj2Eii21rocsparse_complex_numIdES2_S2_S2_EEvb20rocsparse_direction_T3_S4_llNS_24const_host_device_scalarIT7_EEPKT2_PKS4_PKT4_S4_PKT5_llS7_PT6_ll16rocsparse_order_21rocsparse_index_base_b: ; @_ZN9rocsparseL31bsrmm_large_blockdim_kernel_extILj8ELj8ELj2Eii21rocsparse_complex_numIdES2_S2_S2_EEvb20rocsparse_direction_T3_S4_llNS_24const_host_device_scalarIT7_EEPKT2_PKS4_PKT4_S4_PKT5_llS7_PT6_ll16rocsparse_order_21rocsparse_index_base_b
; %bb.0:
	s_load_b128 s[16:19], s[2:3], 0x90
	s_load_b64 s[6:7], s[0:1], 0x4
	s_load_b128 s[20:23], s[2:3], 0x20
	v_bfe_u32 v2, v0, 10, 10
	s_mov_b64 s[0:1], src_shared_base
	s_load_b128 s[8:11], s[2:3], 0x68
	v_and_b32_e32 v1, 0x3ff, v0
	v_bfe_u32 v0, v0, 20, 10
	s_mov_b32 s4, s15
	s_waitcnt lgkmcnt(0)
	s_bitcmp1_b32 s18, 0
	v_mul_u32_u24_e32 v3, s7, v2
	s_cselect_b32 s0, -1, 0
	s_delay_alu instid0(SALU_CYCLE_1)
	s_and_b32 vcc_lo, s0, exec_lo
	s_cselect_b32 s5, s1, s21
	s_lshr_b32 s6, s6, 16
	v_mov_b32_e32 v8, s5
	s_mul_i32 s6, s6, s7
	s_xor_b32 s5, s0, -1
	v_mad_u32_u24 v3, s6, v1, v3
	s_delay_alu instid0(VALU_DEP_1) | instskip(SKIP_2) | instid1(VALU_DEP_3)
	v_add_lshl_u32 v0, v3, v0, 3
	v_mov_b32_e32 v3, s20
	v_dual_mov_b32 v5, s8 :: v_dual_mov_b32 v4, s21
	v_dual_mov_b32 v6, s9 :: v_dual_add_nc_u32 v7, 0xe00, v0
	ds_store_2addr_stride64_b64 v0, v[5:6], v[3:4] offset0:6 offset1:7
	v_cndmask_b32_e64 v7, s20, v7, s0
	v_add_nc_u32_e32 v0, 0xc00, v0
	flat_load_b64 v[4:5], v[7:8]
	v_dual_mov_b32 v6, s22 :: v_dual_mov_b32 v7, s23
	s_cbranch_vccnz .LBB36_2
; %bb.1:
	v_dual_mov_b32 v6, s20 :: v_dual_mov_b32 v7, s21
	flat_load_b64 v[6:7], v[6:7] offset:8
.LBB36_2:
	s_and_b32 s6, s0, exec_lo
	s_cselect_b32 s1, s1, s9
	v_cndmask_b32_e64 v8, s8, v0, s0
	v_dual_mov_b32 v9, s1 :: v_dual_mov_b32 v10, s10
	v_mov_b32_e32 v11, s11
	s_and_not1_b32 vcc_lo, exec_lo, s5
	flat_load_b64 v[8:9], v[8:9]
	s_cbranch_vccnz .LBB36_4
; %bb.3:
	v_dual_mov_b32 v11, s9 :: v_dual_mov_b32 v10, s8
	flat_load_b64 v[10:11], v[10:11] offset:8
.LBB36_4:
	s_waitcnt vmcnt(1) lgkmcnt(1)
	v_cmp_eq_f64_e32 vcc_lo, 0, v[4:5]
	v_cmp_eq_f64_e64 s0, 0, v[6:7]
	s_delay_alu instid0(VALU_DEP_1)
	s_and_b32 s5, vcc_lo, s0
	s_mov_b32 s0, -1
	s_and_saveexec_b32 s1, s5
	s_cbranch_execz .LBB36_6
; %bb.5:
	s_waitcnt vmcnt(0) lgkmcnt(0)
	v_cmp_neq_f64_e32 vcc_lo, 1.0, v[8:9]
	v_cmp_neq_f64_e64 s0, 0, v[10:11]
	s_delay_alu instid0(VALU_DEP_1) | instskip(NEXT) | instid1(SALU_CYCLE_1)
	s_or_b32 s0, vcc_lo, s0
	s_or_not1_b32 s0, s0, exec_lo
.LBB36_6:
	s_or_b32 exec_lo, exec_lo, s1
	s_and_saveexec_b32 s1, s0
	s_cbranch_execz .LBB36_62
; %bb.7:
	s_clause 0x1
	s_load_b128 s[8:11], s[2:3], 0x0
	s_load_b64 s[0:1], s[2:3], 0x30
	s_mov_b32 s19, 0
	s_mov_b32 s12, 0
	s_waitcnt lgkmcnt(0)
	s_cmp_lt_i32 s14, s10
	s_cselect_b32 s18, -1, 0
	s_cmp_ge_i32 s14, s10
	s_cbranch_scc1 .LBB36_9
; %bb.8:
	s_ashr_i32 s15, s14, 31
	s_delay_alu instid0(SALU_CYCLE_1) | instskip(NEXT) | instid1(SALU_CYCLE_1)
	s_lshl_b64 s[6:7], s[14:15], 2
	s_add_u32 s6, s0, s6
	s_addc_u32 s7, s1, s7
	s_load_b32 s5, s[6:7], 0x0
	s_waitcnt lgkmcnt(0)
	s_sub_i32 s12, s5, s17
.LBB36_9:
	s_and_not1_b32 vcc_lo, exec_lo, s18
	s_cbranch_vccnz .LBB36_11
; %bb.10:
	s_ashr_i32 s15, s14, 31
	s_delay_alu instid0(SALU_CYCLE_1) | instskip(NEXT) | instid1(SALU_CYCLE_1)
	s_lshl_b64 s[6:7], s[14:15], 2
	s_add_u32 s0, s0, s6
	s_addc_u32 s1, s1, s7
	s_load_b32 s0, s[0:1], 0x4
	s_waitcnt lgkmcnt(0)
	s_sub_i32 s19, s0, s17
.LBB36_11:
	s_clause 0x1
	s_load_b32 s10, s[2:3], 0x48
	s_load_b64 s[6:7], s[2:3], 0x78
	v_lshl_add_u32 v14, s4, 4, v2
	v_mov_b32_e32 v24, 0
	v_mov_b32_e32 v25, 0
	s_cmp_ge_i32 s12, s19
	s_delay_alu instid0(VALU_DEP_3) | instskip(SKIP_1) | instid1(VALU_DEP_3)
	v_add_nc_u32_e32 v12, 8, v14
	v_cmp_gt_i32_e64 s1, s11, v14
	v_dual_mov_b32 v29, v25 :: v_dual_mov_b32 v28, v24
	v_dual_mov_b32 v18, v24 :: v_dual_mov_b32 v19, v25
	s_delay_alu instid0(VALU_DEP_4)
	v_cmp_gt_i32_e64 s4, s11, v12
	v_dual_mov_b32 v16, v24 :: v_dual_mov_b32 v17, v25
	s_waitcnt lgkmcnt(0)
	v_cmp_gt_i32_e64 s0, s10, v1
	s_cbranch_scc1 .LBB36_39
; %bb.12:
	s_clause 0x1
	s_load_b128 s[20:23], s[2:3], 0x50
	s_load_b128 s[24:27], s[2:3], 0x38
	v_cmp_gt_i32_e32 vcc_lo, s10, v2
	v_lshl_add_u32 v3, v1, 3, v2
	v_ashrrev_i32_e32 v15, 31, v14
	v_ashrrev_i32_e32 v13, 31, v12
	v_mad_u64_u32 v[16:17], null, v2, s10, v[1:2]
	s_and_b32 s15, s0, vcc_lo
	s_bitcmp1_b32 s8, 0
	v_mad_u64_u32 v[17:18], null, v1, s10, v[2:3]
	s_cselect_b32 s5, -1, 0
	s_cmp_eq_u32 s9, 0
	v_lshlrev_b32_e32 v0, 3, v2
	s_cselect_b32 vcc_lo, -1, 0
	v_lshlrev_b32_e32 v33, 7, v2
	s_add_i32 s9, s10, -1
	s_and_b32 s8, s10, 7
	v_add_lshl_u32 v30, v0, v1, 4
	v_cndmask_b32_e32 v0, v16, v17, vcc_lo
	s_waitcnt lgkmcnt(0)
	v_mul_lo_u32 v20, v14, s23
	v_mul_lo_u32 v21, v15, s22
	v_mad_u64_u32 v[18:19], null, v14, s22, 0
	v_mul_lo_u32 v24, v12, s23
	v_mul_lo_u32 v25, v13, s22
	v_mad_u64_u32 v[22:23], null, v12, s22, 0
	v_dual_mov_b32 v16, 0 :: v_dual_add_nc_u32 v35, 0x400, v33
	v_add3_u32 v19, v19, v20, v21
	v_dual_mov_b32 v17, 0 :: v_dual_add_nc_u32 v32, 0x400, v30
	s_cmp_gt_u32 s9, 6
	s_delay_alu instid0(VALU_DEP_4) | instskip(NEXT) | instid1(VALU_DEP_3)
	v_add3_u32 v23, v23, v24, v25
	v_lshlrev_b64 v[20:21], 4, v[18:19]
	s_delay_alu instid0(VALU_DEP_3)
	v_dual_mov_b32 v19, v17 :: v_dual_mov_b32 v18, v16
	v_mov_b32_e32 v29, v17
	v_lshl_add_u32 v31, v3, 4, 0x800
	v_lshlrev_b64 v[2:3], 4, v[14:15]
	v_lshlrev_b64 v[22:23], 4, v[22:23]
	;; [unrolled: 1-line block ×3, first 2 shown]
	v_dual_mov_b32 v28, v16 :: v_dual_mov_b32 v25, v17
	s_cselect_b32 s9, -1, 0
	s_and_b32 s28, s10, -8
	v_lshl_add_u32 v34, v1, 7, 0x800
	v_mov_b32_e32 v24, v16
	s_cmp_lg_u32 s8, 0
	s_mul_i32 s29, s10, s10
	s_cselect_b32 s30, -1, 0
	s_branch .LBB36_15
.LBB36_13:                              ;   in Loop: Header=BB36_15 Depth=1
	s_or_b32 exec_lo, exec_lo, s31
.LBB36_14:                              ;   in Loop: Header=BB36_15 Depth=1
	s_delay_alu instid0(SALU_CYCLE_1) | instskip(SKIP_1) | instid1(SALU_CYCLE_1)
	s_or_b32 exec_lo, exec_lo, s13
	s_add_i32 s12, s12, 1
	s_cmp_ge_i32 s12, s19
	s_barrier
	buffer_gl0_inv
	s_cbranch_scc1 .LBB36_39
.LBB36_15:                              ; =>This Loop Header: Depth=1
                                        ;     Child Loop BB36_26 Depth 2
                                        ;     Child Loop BB36_30 Depth 2
                                        ;     Child Loop BB36_34 Depth 2
                                        ;     Child Loop BB36_38 Depth 2
	s_and_saveexec_b32 s31, s0
	s_cbranch_execz .LBB36_20
; %bb.16:                               ;   in Loop: Header=BB36_15 Depth=1
	s_ashr_i32 s13, s12, 31
	s_delay_alu instid0(SALU_CYCLE_1) | instskip(NEXT) | instid1(SALU_CYCLE_1)
	s_lshl_b64 s[34:35], s[12:13], 2
	s_add_u32 s34, s24, s34
	s_addc_u32 s35, s25, s35
	s_load_b32 s13, s[34:35], 0x0
	s_waitcnt lgkmcnt(0)
	s_sub_i32 s13, s13, s17
	s_delay_alu instid0(SALU_CYCLE_1) | instskip(NEXT) | instid1(VALU_DEP_1)
	v_mad_u64_u32 v[36:37], null, s13, s10, v[1:2]
	v_ashrrev_i32_e32 v37, 31, v36
	v_mul_lo_u32 v13, v36, s23
	v_mad_u64_u32 v[38:39], null, v36, s22, 0
	s_delay_alu instid0(VALU_DEP_3) | instskip(SKIP_1) | instid1(VALU_DEP_2)
	v_mul_lo_u32 v15, v37, s22
	v_lshlrev_b64 v[36:37], 4, v[36:37]
	v_add3_u32 v39, v39, v13, v15
	s_delay_alu instid0(VALU_DEP_1) | instskip(NEXT) | instid1(VALU_DEP_1)
	v_lshlrev_b64 v[38:39], 4, v[38:39]
	v_add_co_u32 v13, vcc_lo, s20, v38
	s_delay_alu instid0(VALU_DEP_2)
	v_add_co_ci_u32_e32 v15, vcc_lo, s21, v39, vcc_lo
	v_add_co_u32 v36, vcc_lo, s20, v36
	v_add_co_ci_u32_e32 v37, vcc_lo, s21, v37, vcc_lo
	s_and_saveexec_b32 s13, s1
	s_cbranch_execz .LBB36_18
; %bb.17:                               ;   in Loop: Header=BB36_15 Depth=1
	v_add_co_u32 v38, vcc_lo, v13, v2
	v_add_co_ci_u32_e32 v39, vcc_lo, v15, v3, vcc_lo
	v_add_co_u32 v40, vcc_lo, v36, v20
	v_add_co_ci_u32_e32 v41, vcc_lo, v37, v21, vcc_lo
	s_delay_alu instid0(VALU_DEP_2) | instskip(NEXT) | instid1(VALU_DEP_2)
	v_cndmask_b32_e64 v38, v38, v40, s5
	v_cndmask_b32_e64 v39, v39, v41, s5
	global_load_b128 v[38:41], v[38:39], off
	s_waitcnt vmcnt(0)
	ds_store_2addr_b64 v30, v[38:39], v[40:41] offset1:1
.LBB36_18:                              ;   in Loop: Header=BB36_15 Depth=1
	s_or_b32 exec_lo, exec_lo, s13
	s_delay_alu instid0(SALU_CYCLE_1)
	s_and_b32 exec_lo, exec_lo, s4
	s_cbranch_execz .LBB36_20
; %bb.19:                               ;   in Loop: Header=BB36_15 Depth=1
	v_add_co_u32 v36, vcc_lo, v36, v22
	v_add_co_ci_u32_e32 v37, vcc_lo, v37, v23, vcc_lo
	v_add_co_u32 v13, vcc_lo, v13, v26
	v_add_co_ci_u32_e32 v15, vcc_lo, v15, v27, vcc_lo
	s_delay_alu instid0(VALU_DEP_2) | instskip(NEXT) | instid1(VALU_DEP_2)
	v_cndmask_b32_e64 v36, v13, v36, s5
	v_cndmask_b32_e64 v37, v15, v37, s5
	global_load_b128 v[36:39], v[36:37], off
	s_waitcnt vmcnt(0)
	ds_store_2addr_b64 v32, v[36:37], v[38:39] offset1:1
.LBB36_20:                              ;   in Loop: Header=BB36_15 Depth=1
	s_or_b32 exec_lo, exec_lo, s31
	s_and_saveexec_b32 s13, s15
	s_cbranch_execz .LBB36_22
; %bb.21:                               ;   in Loop: Header=BB36_15 Depth=1
	v_mad_u64_u32 v[36:37], null, s29, s12, v[0:1]
	s_delay_alu instid0(VALU_DEP_1) | instskip(NEXT) | instid1(VALU_DEP_1)
	v_ashrrev_i32_e32 v37, 31, v36
	v_lshlrev_b64 v[36:37], 4, v[36:37]
	s_delay_alu instid0(VALU_DEP_1) | instskip(NEXT) | instid1(VALU_DEP_2)
	v_add_co_u32 v36, vcc_lo, s26, v36
	v_add_co_ci_u32_e32 v37, vcc_lo, s27, v37, vcc_lo
	global_load_b128 v[36:39], v[36:37], off
	s_waitcnt vmcnt(0)
	ds_store_2addr_b64 v31, v[36:37], v[38:39] offset1:1
.LBB36_22:                              ;   in Loop: Header=BB36_15 Depth=1
	s_or_b32 exec_lo, exec_lo, s13
	s_waitcnt vmcnt(0) lgkmcnt(0)
	s_barrier
	buffer_gl0_inv
	s_and_saveexec_b32 s13, s0
	s_cbranch_execz .LBB36_14
; %bb.23:                               ;   in Loop: Header=BB36_15 Depth=1
	s_and_saveexec_b32 s31, s1
	s_cbranch_execz .LBB36_31
; %bb.24:                               ;   in Loop: Header=BB36_15 Depth=1
	s_and_not1_b32 vcc_lo, exec_lo, s9
	s_cbranch_vccnz .LBB36_28
; %bb.25:                               ;   in Loop: Header=BB36_15 Depth=1
	v_mov_b32_e32 v13, v34
	v_mov_b32_e32 v15, v33
	s_mov_b32 s33, 0
.LBB36_26:                              ;   Parent Loop BB36_15 Depth=1
                                        ; =>  This Inner Loop Header: Depth=2
	ds_load_b128 v[36:39], v15
	ds_load_b128 v[40:43], v13
	ds_load_b128 v[44:47], v13 offset:16
	ds_load_b128 v[48:51], v15 offset:16
	s_add_i32 s33, s33, 8
	s_delay_alu instid0(SALU_CYCLE_1) | instskip(SKIP_3) | instid1(VALU_DEP_2)
	s_cmp_lg_u32 s28, s33
	s_waitcnt lgkmcnt(2)
	v_fma_f64 v[24:25], v[40:41], v[36:37], v[24:25]
	v_fma_f64 v[28:29], v[42:43], v[36:37], v[28:29]
	v_fma_f64 v[24:25], -v[42:43], v[38:39], v[24:25]
	s_delay_alu instid0(VALU_DEP_2) | instskip(SKIP_1) | instid1(VALU_DEP_2)
	v_fma_f64 v[28:29], v[40:41], v[38:39], v[28:29]
	s_waitcnt lgkmcnt(0)
	v_fma_f64 v[24:25], v[44:45], v[48:49], v[24:25]
	s_delay_alu instid0(VALU_DEP_2) | instskip(NEXT) | instid1(VALU_DEP_2)
	v_fma_f64 v[28:29], v[46:47], v[48:49], v[28:29]
	v_fma_f64 v[24:25], -v[46:47], v[50:51], v[24:25]
	s_delay_alu instid0(VALU_DEP_2)
	v_fma_f64 v[28:29], v[44:45], v[50:51], v[28:29]
	ds_load_b128 v[36:39], v15 offset:32
	ds_load_b128 v[40:43], v13 offset:32
	;; [unrolled: 1-line block ×4, first 2 shown]
	s_waitcnt lgkmcnt(2)
	v_fma_f64 v[24:25], v[40:41], v[36:37], v[24:25]
	v_fma_f64 v[28:29], v[42:43], v[36:37], v[28:29]
	s_delay_alu instid0(VALU_DEP_2) | instskip(NEXT) | instid1(VALU_DEP_2)
	v_fma_f64 v[24:25], -v[42:43], v[38:39], v[24:25]
	v_fma_f64 v[28:29], v[40:41], v[38:39], v[28:29]
	s_waitcnt lgkmcnt(0)
	s_delay_alu instid0(VALU_DEP_2) | instskip(NEXT) | instid1(VALU_DEP_2)
	v_fma_f64 v[24:25], v[44:45], v[48:49], v[24:25]
	v_fma_f64 v[28:29], v[46:47], v[48:49], v[28:29]
	s_delay_alu instid0(VALU_DEP_2) | instskip(NEXT) | instid1(VALU_DEP_2)
	v_fma_f64 v[24:25], -v[46:47], v[50:51], v[24:25]
	v_fma_f64 v[28:29], v[44:45], v[50:51], v[28:29]
	ds_load_b128 v[36:39], v15 offset:64
	ds_load_b128 v[40:43], v13 offset:64
	;; [unrolled: 1-line block ×4, first 2 shown]
	s_waitcnt lgkmcnt(2)
	v_fma_f64 v[24:25], v[40:41], v[36:37], v[24:25]
	v_fma_f64 v[28:29], v[42:43], v[36:37], v[28:29]
	s_delay_alu instid0(VALU_DEP_2) | instskip(NEXT) | instid1(VALU_DEP_2)
	v_fma_f64 v[24:25], -v[42:43], v[38:39], v[24:25]
	v_fma_f64 v[28:29], v[40:41], v[38:39], v[28:29]
	s_waitcnt lgkmcnt(0)
	s_delay_alu instid0(VALU_DEP_2) | instskip(NEXT) | instid1(VALU_DEP_2)
	v_fma_f64 v[24:25], v[44:45], v[48:49], v[24:25]
	v_fma_f64 v[28:29], v[46:47], v[48:49], v[28:29]
	s_delay_alu instid0(VALU_DEP_2) | instskip(NEXT) | instid1(VALU_DEP_2)
	v_fma_f64 v[24:25], -v[46:47], v[50:51], v[24:25]
	v_fma_f64 v[28:29], v[44:45], v[50:51], v[28:29]
	ds_load_b128 v[36:39], v15 offset:96
	ds_load_b128 v[40:43], v13 offset:96
	;; [unrolled: 1-line block ×4, first 2 shown]
	v_add_nc_u32_e32 v15, 0x80, v15
	v_add_nc_u32_e32 v13, 0x80, v13
	s_waitcnt lgkmcnt(2)
	v_fma_f64 v[24:25], v[40:41], v[36:37], v[24:25]
	v_fma_f64 v[28:29], v[42:43], v[36:37], v[28:29]
	s_delay_alu instid0(VALU_DEP_2) | instskip(NEXT) | instid1(VALU_DEP_2)
	v_fma_f64 v[24:25], -v[42:43], v[38:39], v[24:25]
	v_fma_f64 v[28:29], v[40:41], v[38:39], v[28:29]
	s_waitcnt lgkmcnt(0)
	s_delay_alu instid0(VALU_DEP_2) | instskip(NEXT) | instid1(VALU_DEP_2)
	v_fma_f64 v[24:25], v[44:45], v[48:49], v[24:25]
	v_fma_f64 v[28:29], v[46:47], v[48:49], v[28:29]
	s_delay_alu instid0(VALU_DEP_2) | instskip(NEXT) | instid1(VALU_DEP_2)
	v_fma_f64 v[24:25], -v[46:47], v[50:51], v[24:25]
	v_fma_f64 v[28:29], v[44:45], v[50:51], v[28:29]
	s_cbranch_scc1 .LBB36_26
; %bb.27:                               ;   in Loop: Header=BB36_15 Depth=1
	s_mov_b32 s33, s28
	s_and_not1_b32 vcc_lo, exec_lo, s30
	s_cbranch_vccz .LBB36_29
	s_branch .LBB36_31
.LBB36_28:                              ;   in Loop: Header=BB36_15 Depth=1
	s_mov_b32 s33, 0
	s_and_not1_b32 vcc_lo, exec_lo, s30
	s_cbranch_vccnz .LBB36_31
.LBB36_29:                              ;   in Loop: Header=BB36_15 Depth=1
	s_lshl_b32 s33, s33, 4
	s_delay_alu instid0(SALU_CYCLE_1)
	v_add_nc_u32_e32 v13, s33, v33
	v_add_nc_u32_e32 v15, s33, v34
	s_mov_b32 s33, s8
	.p2align	6
.LBB36_30:                              ;   Parent Loop BB36_15 Depth=1
                                        ; =>  This Inner Loop Header: Depth=2
	ds_load_b128 v[36:39], v15
	ds_load_b128 v[40:43], v13
	v_add_nc_u32_e32 v13, 16, v13
	v_add_nc_u32_e32 v15, 16, v15
	s_add_i32 s33, s33, -1
	s_delay_alu instid0(SALU_CYCLE_1) | instskip(SKIP_3) | instid1(VALU_DEP_2)
	s_cmp_lg_u32 s33, 0
	s_waitcnt lgkmcnt(0)
	v_fma_f64 v[24:25], v[36:37], v[40:41], v[24:25]
	v_fma_f64 v[28:29], v[38:39], v[40:41], v[28:29]
	v_fma_f64 v[24:25], -v[38:39], v[42:43], v[24:25]
	s_delay_alu instid0(VALU_DEP_2)
	v_fma_f64 v[28:29], v[36:37], v[42:43], v[28:29]
	s_cbranch_scc1 .LBB36_30
.LBB36_31:                              ;   in Loop: Header=BB36_15 Depth=1
	s_or_b32 exec_lo, exec_lo, s31
	s_and_saveexec_b32 s31, s4
	s_cbranch_execz .LBB36_13
; %bb.32:                               ;   in Loop: Header=BB36_15 Depth=1
	s_and_not1_b32 vcc_lo, exec_lo, s9
	s_cbranch_vccnz .LBB36_36
; %bb.33:                               ;   in Loop: Header=BB36_15 Depth=1
	v_mov_b32_e32 v13, v34
	v_mov_b32_e32 v15, v35
	s_mov_b32 s33, 0
.LBB36_34:                              ;   Parent Loop BB36_15 Depth=1
                                        ; =>  This Inner Loop Header: Depth=2
	ds_load_b128 v[36:39], v15
	ds_load_b128 v[40:43], v13
	ds_load_b128 v[44:47], v13 offset:16
	ds_load_b128 v[48:51], v15 offset:16
	s_add_i32 s33, s33, 8
	s_delay_alu instid0(SALU_CYCLE_1) | instskip(SKIP_3) | instid1(VALU_DEP_2)
	s_cmp_lg_u32 s28, s33
	s_waitcnt lgkmcnt(2)
	v_fma_f64 v[18:19], v[40:41], v[36:37], v[18:19]
	v_fma_f64 v[16:17], v[42:43], v[36:37], v[16:17]
	v_fma_f64 v[18:19], -v[42:43], v[38:39], v[18:19]
	s_delay_alu instid0(VALU_DEP_2) | instskip(SKIP_1) | instid1(VALU_DEP_2)
	v_fma_f64 v[16:17], v[40:41], v[38:39], v[16:17]
	s_waitcnt lgkmcnt(0)
	v_fma_f64 v[18:19], v[44:45], v[48:49], v[18:19]
	s_delay_alu instid0(VALU_DEP_2) | instskip(NEXT) | instid1(VALU_DEP_2)
	v_fma_f64 v[16:17], v[46:47], v[48:49], v[16:17]
	v_fma_f64 v[48:49], -v[46:47], v[50:51], v[18:19]
	s_delay_alu instid0(VALU_DEP_2)
	v_fma_f64 v[50:51], v[44:45], v[50:51], v[16:17]
	ds_load_b128 v[16:19], v15 offset:32
	ds_load_b128 v[36:39], v13 offset:32
	;; [unrolled: 1-line block ×4, first 2 shown]
	s_waitcnt lgkmcnt(2)
	v_fma_f64 v[48:49], v[36:37], v[16:17], v[48:49]
	v_fma_f64 v[16:17], v[38:39], v[16:17], v[50:51]
	s_delay_alu instid0(VALU_DEP_2) | instskip(NEXT) | instid1(VALU_DEP_2)
	v_fma_f64 v[38:39], -v[38:39], v[18:19], v[48:49]
	v_fma_f64 v[16:17], v[36:37], v[18:19], v[16:17]
	s_waitcnt lgkmcnt(0)
	s_delay_alu instid0(VALU_DEP_2) | instskip(NEXT) | instid1(VALU_DEP_2)
	v_fma_f64 v[18:19], v[40:41], v[44:45], v[38:39]
	v_fma_f64 v[16:17], v[42:43], v[44:45], v[16:17]
	s_delay_alu instid0(VALU_DEP_2) | instskip(NEXT) | instid1(VALU_DEP_2)
	v_fma_f64 v[48:49], -v[42:43], v[46:47], v[18:19]
	v_fma_f64 v[50:51], v[40:41], v[46:47], v[16:17]
	ds_load_b128 v[16:19], v15 offset:64
	ds_load_b128 v[36:39], v13 offset:64
	;; [unrolled: 1-line block ×4, first 2 shown]
	s_waitcnt lgkmcnt(2)
	v_fma_f64 v[48:49], v[36:37], v[16:17], v[48:49]
	v_fma_f64 v[16:17], v[38:39], v[16:17], v[50:51]
	s_delay_alu instid0(VALU_DEP_2) | instskip(NEXT) | instid1(VALU_DEP_2)
	v_fma_f64 v[38:39], -v[38:39], v[18:19], v[48:49]
	v_fma_f64 v[16:17], v[36:37], v[18:19], v[16:17]
	s_waitcnt lgkmcnt(0)
	s_delay_alu instid0(VALU_DEP_2) | instskip(NEXT) | instid1(VALU_DEP_2)
	v_fma_f64 v[18:19], v[40:41], v[44:45], v[38:39]
	v_fma_f64 v[16:17], v[42:43], v[44:45], v[16:17]
	s_delay_alu instid0(VALU_DEP_2) | instskip(NEXT) | instid1(VALU_DEP_2)
	v_fma_f64 v[48:49], -v[42:43], v[46:47], v[18:19]
	v_fma_f64 v[50:51], v[40:41], v[46:47], v[16:17]
	ds_load_b128 v[16:19], v15 offset:96
	ds_load_b128 v[36:39], v13 offset:96
	;; [unrolled: 1-line block ×4, first 2 shown]
	v_add_nc_u32_e32 v15, 0x80, v15
	v_add_nc_u32_e32 v13, 0x80, v13
	s_waitcnt lgkmcnt(2)
	v_fma_f64 v[48:49], v[36:37], v[16:17], v[48:49]
	v_fma_f64 v[16:17], v[38:39], v[16:17], v[50:51]
	s_delay_alu instid0(VALU_DEP_2) | instskip(NEXT) | instid1(VALU_DEP_2)
	v_fma_f64 v[38:39], -v[38:39], v[18:19], v[48:49]
	v_fma_f64 v[16:17], v[36:37], v[18:19], v[16:17]
	s_waitcnt lgkmcnt(0)
	s_delay_alu instid0(VALU_DEP_2) | instskip(NEXT) | instid1(VALU_DEP_2)
	v_fma_f64 v[18:19], v[40:41], v[44:45], v[38:39]
	v_fma_f64 v[16:17], v[42:43], v[44:45], v[16:17]
	s_delay_alu instid0(VALU_DEP_2) | instskip(NEXT) | instid1(VALU_DEP_2)
	v_fma_f64 v[18:19], -v[42:43], v[46:47], v[18:19]
	v_fma_f64 v[16:17], v[40:41], v[46:47], v[16:17]
	s_cbranch_scc1 .LBB36_34
; %bb.35:                               ;   in Loop: Header=BB36_15 Depth=1
	s_mov_b32 s33, s28
	s_and_not1_b32 vcc_lo, exec_lo, s30
	s_cbranch_vccz .LBB36_37
	s_branch .LBB36_13
.LBB36_36:                              ;   in Loop: Header=BB36_15 Depth=1
	s_mov_b32 s33, 0
	s_and_not1_b32 vcc_lo, exec_lo, s30
	s_cbranch_vccnz .LBB36_13
.LBB36_37:                              ;   in Loop: Header=BB36_15 Depth=1
	s_lshl_b32 s33, s33, 4
	s_delay_alu instid0(SALU_CYCLE_1)
	v_add_nc_u32_e32 v13, s33, v35
	v_add_nc_u32_e32 v15, s33, v34
	s_mov_b32 s33, s8
	.p2align	6
.LBB36_38:                              ;   Parent Loop BB36_15 Depth=1
                                        ; =>  This Inner Loop Header: Depth=2
	ds_load_b128 v[36:39], v15
	ds_load_b128 v[40:43], v13
	v_add_nc_u32_e32 v13, 16, v13
	v_add_nc_u32_e32 v15, 16, v15
	s_add_i32 s33, s33, -1
	s_delay_alu instid0(SALU_CYCLE_1) | instskip(SKIP_3) | instid1(VALU_DEP_2)
	s_cmp_lg_u32 s33, 0
	s_waitcnt lgkmcnt(0)
	v_fma_f64 v[18:19], v[36:37], v[40:41], v[18:19]
	v_fma_f64 v[16:17], v[38:39], v[40:41], v[16:17]
	v_fma_f64 v[18:19], -v[38:39], v[42:43], v[18:19]
	s_delay_alu instid0(VALU_DEP_2)
	v_fma_f64 v[16:17], v[36:37], v[42:43], v[16:17]
	s_cbranch_scc1 .LBB36_38
	s_branch .LBB36_13
.LBB36_39:
	s_delay_alu instid0(VALU_DEP_1) | instskip(NEXT) | instid1(SALU_CYCLE_1)
	s_and_b32 s0, s18, s0
	s_and_b32 exec_lo, exec_lo, s0
	s_cbranch_execz .LBB36_62
; %bb.40:
	s_load_b64 s[2:3], s[2:3], 0x80
	s_waitcnt vmcnt(0)
	v_cmp_neq_f64_e32 vcc_lo, 0, v[8:9]
	v_cmp_neq_f64_e64 s0, 0, v[10:11]
	v_mad_u64_u32 v[2:3], null, s14, s10, v[1:2]
	s_mov_b32 s4, exec_lo
	s_delay_alu instid0(VALU_DEP_1) | instskip(SKIP_1) | instid1(VALU_DEP_1)
	v_ashrrev_i32_e32 v3, 31, v2
	s_waitcnt lgkmcnt(0)
	v_mul_lo_u32 v13, v3, s2
	v_mul_lo_u32 v15, v2, s3
	v_mad_u64_u32 v[0:1], null, v2, s2, 0
	v_lshlrev_b64 v[2:3], 4, v[2:3]
	s_delay_alu instid0(VALU_DEP_1) | instskip(NEXT) | instid1(VALU_DEP_3)
	v_add_co_u32 v20, s1, s6, v2
	v_add3_u32 v1, v1, v15, v13
	s_delay_alu instid0(VALU_DEP_3) | instskip(NEXT) | instid1(VALU_DEP_2)
	v_add_co_ci_u32_e64 v21, s1, s7, v3, s1
	v_lshlrev_b64 v[0:1], 4, v[0:1]
	s_or_b32 s1, vcc_lo, s0
	s_cmp_lg_u32 s16, 1
	s_delay_alu instid0(VALU_DEP_1) | instskip(NEXT) | instid1(VALU_DEP_2)
	v_add_co_u32 v22, vcc_lo, s6, v0
	v_add_co_ci_u32_e32 v23, vcc_lo, s7, v1, vcc_lo
	s_cselect_b32 s0, -1, 0
	v_cmpx_gt_i32_e64 s11, v14
	s_cbranch_execz .LBB36_51
; %bb.41:
	s_and_saveexec_b32 s5, s1
	s_delay_alu instid0(SALU_CYCLE_1)
	s_xor_b32 s5, exec_lo, s5
	s_cbranch_execz .LBB36_46
; %bb.42:
	v_ashrrev_i32_e32 v15, 31, v14
	s_and_b32 vcc_lo, exec_lo, s0
	s_mov_b32 s6, -1
	s_cbranch_vccz .LBB36_44
; %bb.43:
	s_delay_alu instid0(VALU_DEP_1) | instskip(SKIP_3) | instid1(VALU_DEP_3)
	v_lshlrev_b64 v[0:1], 4, v[14:15]
	v_mul_f64 v[30:31], v[28:29], -v[6:7]
	v_mul_f64 v[32:33], v[4:5], v[28:29]
	s_mov_b32 s6, 0
	v_add_co_u32 v26, vcc_lo, v22, v0
	s_delay_alu instid0(VALU_DEP_4) | instskip(SKIP_4) | instid1(VALU_DEP_2)
	v_add_co_ci_u32_e32 v27, vcc_lo, v23, v1, vcc_lo
	global_load_b128 v[0:3], v[26:27], off
	v_fma_f64 v[30:31], v[4:5], v[24:25], v[30:31]
	v_fma_f64 v[32:33], v[6:7], v[24:25], v[32:33]
	s_waitcnt vmcnt(0)
	v_fma_f64 v[30:31], v[8:9], v[0:1], v[30:31]
	s_delay_alu instid0(VALU_DEP_2) | instskip(NEXT) | instid1(VALU_DEP_2)
	v_fma_f64 v[32:33], v[10:11], v[0:1], v[32:33]
	v_fma_f64 v[0:1], -v[10:11], v[2:3], v[30:31]
	s_delay_alu instid0(VALU_DEP_2)
	v_fma_f64 v[2:3], v[8:9], v[2:3], v[32:33]
	global_store_b128 v[26:27], v[0:3], off
.LBB36_44:
	s_and_not1_b32 vcc_lo, exec_lo, s6
	s_cbranch_vccnz .LBB36_46
; %bb.45:
	v_mul_lo_u32 v2, v15, s2
	v_mul_lo_u32 v3, v14, s3
	v_mad_u64_u32 v[0:1], null, v14, s2, 0
	v_mul_f64 v[26:27], v[28:29], -v[6:7]
	v_mul_f64 v[28:29], v[4:5], v[28:29]
	s_delay_alu instid0(VALU_DEP_3) | instskip(NEXT) | instid1(VALU_DEP_1)
	v_add3_u32 v1, v1, v3, v2
	v_lshlrev_b64 v[0:1], 4, v[0:1]
	s_delay_alu instid0(VALU_DEP_1) | instskip(NEXT) | instid1(VALU_DEP_2)
	v_add_co_u32 v13, vcc_lo, v20, v0
	v_add_co_ci_u32_e32 v14, vcc_lo, v21, v1, vcc_lo
	global_load_b128 v[0:3], v[13:14], off
	v_fma_f64 v[26:27], v[4:5], v[24:25], v[26:27]
	v_fma_f64 v[24:25], v[6:7], v[24:25], v[28:29]
                                        ; implicit-def: $vgpr28_vgpr29
	s_waitcnt vmcnt(0)
	s_delay_alu instid0(VALU_DEP_2) | instskip(NEXT) | instid1(VALU_DEP_2)
	v_fma_f64 v[26:27], v[8:9], v[0:1], v[26:27]
	v_fma_f64 v[24:25], v[10:11], v[0:1], v[24:25]
	s_delay_alu instid0(VALU_DEP_2) | instskip(NEXT) | instid1(VALU_DEP_2)
	v_fma_f64 v[0:1], -v[10:11], v[2:3], v[26:27]
	v_fma_f64 v[2:3], v[8:9], v[2:3], v[24:25]
                                        ; implicit-def: $vgpr24_vgpr25
	global_store_b128 v[13:14], v[0:3], off
                                        ; implicit-def: $vgpr14
.LBB36_46:
	s_and_not1_saveexec_b32 s5, s5
	s_cbranch_execz .LBB36_51
; %bb.47:
	v_mul_f64 v[0:1], v[28:29], -v[6:7]
	v_mul_f64 v[2:3], v[4:5], v[28:29]
	v_ashrrev_i32_e32 v15, 31, v14
	s_and_b32 vcc_lo, exec_lo, s0
	s_mov_b32 s5, -1
	s_delay_alu instid0(VALU_DEP_3) | instskip(NEXT) | instid1(VALU_DEP_3)
	v_fma_f64 v[0:1], v[4:5], v[24:25], v[0:1]
	v_fma_f64 v[2:3], v[6:7], v[24:25], v[2:3]
	s_cbranch_vccz .LBB36_49
; %bb.48:
	v_lshlrev_b64 v[24:25], 4, v[14:15]
	s_mov_b32 s5, 0
	s_delay_alu instid0(VALU_DEP_1) | instskip(NEXT) | instid1(VALU_DEP_2)
	v_add_co_u32 v24, vcc_lo, v22, v24
	v_add_co_ci_u32_e32 v25, vcc_lo, v23, v25, vcc_lo
	global_store_b128 v[24:25], v[0:3], off
.LBB36_49:
	s_and_not1_b32 vcc_lo, exec_lo, s5
	s_cbranch_vccnz .LBB36_51
; %bb.50:
	v_mul_lo_u32 v13, v15, s2
	v_mul_lo_u32 v15, v14, s3
	v_mad_u64_u32 v[24:25], null, v14, s2, 0
	s_delay_alu instid0(VALU_DEP_1) | instskip(NEXT) | instid1(VALU_DEP_1)
	v_add3_u32 v25, v25, v15, v13
	v_lshlrev_b64 v[13:14], 4, v[24:25]
	s_delay_alu instid0(VALU_DEP_1) | instskip(NEXT) | instid1(VALU_DEP_2)
	v_add_co_u32 v13, vcc_lo, v20, v13
	v_add_co_ci_u32_e32 v14, vcc_lo, v21, v14, vcc_lo
	global_store_b128 v[13:14], v[0:3], off
.LBB36_51:
	s_or_b32 exec_lo, exec_lo, s4
	v_cmp_gt_i32_e32 vcc_lo, s11, v12
	s_and_b32 exec_lo, exec_lo, vcc_lo
	s_cbranch_execz .LBB36_62
; %bb.52:
	s_and_saveexec_b32 s4, s1
	s_delay_alu instid0(SALU_CYCLE_1)
	s_xor_b32 s1, exec_lo, s4
	s_cbranch_execz .LBB36_57
; %bb.53:
	v_ashrrev_i32_e32 v13, 31, v12
	s_and_not1_b32 vcc_lo, exec_lo, s0
	s_mov_b32 s4, -1
	s_cbranch_vccnz .LBB36_55
; %bb.54:
	s_delay_alu instid0(VALU_DEP_1) | instskip(SKIP_2) | instid1(VALU_DEP_2)
	v_lshlrev_b64 v[0:1], 4, v[12:13]
	v_mul_f64 v[24:25], v[4:5], v[16:17]
	s_mov_b32 s4, 0
	v_add_co_u32 v14, vcc_lo, v22, v0
	s_delay_alu instid0(VALU_DEP_3)
	v_add_co_ci_u32_e32 v15, vcc_lo, v23, v1, vcc_lo
	v_mul_f64 v[22:23], v[16:17], -v[6:7]
	global_load_b128 v[0:3], v[14:15], off
	v_fma_f64 v[24:25], v[6:7], v[18:19], v[24:25]
	v_fma_f64 v[22:23], v[4:5], v[18:19], v[22:23]
	s_waitcnt vmcnt(0)
	s_delay_alu instid0(VALU_DEP_1) | instskip(NEXT) | instid1(VALU_DEP_3)
	v_fma_f64 v[22:23], v[8:9], v[0:1], v[22:23]
	v_fma_f64 v[24:25], v[10:11], v[0:1], v[24:25]
	s_delay_alu instid0(VALU_DEP_2) | instskip(NEXT) | instid1(VALU_DEP_2)
	v_fma_f64 v[0:1], -v[10:11], v[2:3], v[22:23]
	v_fma_f64 v[2:3], v[8:9], v[2:3], v[24:25]
	global_store_b128 v[14:15], v[0:3], off
.LBB36_55:
	s_and_not1_b32 vcc_lo, exec_lo, s4
                                        ; implicit-def: $vgpr22
                                        ; implicit-def: $vgpr23
	s_cbranch_vccnz .LBB36_57
; %bb.56:
	v_mul_lo_u32 v2, v13, s2
	v_mul_lo_u32 v3, v12, s3
	v_mad_u64_u32 v[0:1], null, v12, s2, 0
	v_mul_f64 v[14:15], v[16:17], -v[6:7]
	v_mul_f64 v[16:17], v[4:5], v[16:17]
                                        ; implicit-def: $vgpr22
                                        ; implicit-def: $vgpr23
	s_delay_alu instid0(VALU_DEP_3) | instskip(NEXT) | instid1(VALU_DEP_1)
	v_add3_u32 v1, v1, v3, v2
	v_lshlrev_b64 v[0:1], 4, v[0:1]
	s_delay_alu instid0(VALU_DEP_1) | instskip(NEXT) | instid1(VALU_DEP_2)
	v_add_co_u32 v12, vcc_lo, v20, v0
	v_add_co_ci_u32_e32 v13, vcc_lo, v21, v1, vcc_lo
                                        ; implicit-def: $vgpr20
                                        ; implicit-def: $vgpr21
	global_load_b128 v[0:3], v[12:13], off
	v_fma_f64 v[4:5], v[4:5], v[18:19], v[14:15]
	v_fma_f64 v[6:7], v[6:7], v[18:19], v[16:17]
                                        ; implicit-def: $vgpr18_vgpr19
                                        ; implicit-def: $vgpr16_vgpr17
	s_waitcnt vmcnt(0)
	s_delay_alu instid0(VALU_DEP_2) | instskip(NEXT) | instid1(VALU_DEP_2)
	v_fma_f64 v[4:5], v[8:9], v[0:1], v[4:5]
	v_fma_f64 v[6:7], v[10:11], v[0:1], v[6:7]
	s_delay_alu instid0(VALU_DEP_2) | instskip(NEXT) | instid1(VALU_DEP_2)
	v_fma_f64 v[0:1], -v[10:11], v[2:3], v[4:5]
	v_fma_f64 v[2:3], v[8:9], v[2:3], v[6:7]
                                        ; implicit-def: $vgpr4_vgpr5
                                        ; implicit-def: $vgpr6_vgpr7
	global_store_b128 v[12:13], v[0:3], off
                                        ; implicit-def: $vgpr12
.LBB36_57:
	s_and_not1_saveexec_b32 s1, s1
	s_cbranch_execz .LBB36_62
; %bb.58:
	v_mul_f64 v[0:1], v[16:17], -v[6:7]
	v_mul_f64 v[2:3], v[4:5], v[16:17]
	v_ashrrev_i32_e32 v13, 31, v12
	s_and_not1_b32 vcc_lo, exec_lo, s0
	s_mov_b32 s0, -1
	s_delay_alu instid0(VALU_DEP_3) | instskip(NEXT) | instid1(VALU_DEP_3)
	v_fma_f64 v[0:1], v[4:5], v[18:19], v[0:1]
	v_fma_f64 v[2:3], v[6:7], v[18:19], v[2:3]
	s_cbranch_vccnz .LBB36_60
; %bb.59:
	v_lshlrev_b64 v[4:5], 4, v[12:13]
	s_mov_b32 s0, 0
	s_delay_alu instid0(VALU_DEP_1) | instskip(NEXT) | instid1(VALU_DEP_2)
	v_add_co_u32 v4, vcc_lo, v22, v4
	v_add_co_ci_u32_e32 v5, vcc_lo, v23, v5, vcc_lo
	global_store_b128 v[4:5], v[0:3], off
.LBB36_60:
	s_and_not1_b32 vcc_lo, exec_lo, s0
	s_cbranch_vccnz .LBB36_62
; %bb.61:
	v_mul_lo_u32 v6, v13, s2
	v_mul_lo_u32 v7, v12, s3
	v_mad_u64_u32 v[4:5], null, v12, s2, 0
	s_delay_alu instid0(VALU_DEP_1) | instskip(NEXT) | instid1(VALU_DEP_1)
	v_add3_u32 v5, v5, v7, v6
	v_lshlrev_b64 v[4:5], 4, v[4:5]
	s_delay_alu instid0(VALU_DEP_1) | instskip(NEXT) | instid1(VALU_DEP_2)
	v_add_co_u32 v4, vcc_lo, v20, v4
	v_add_co_ci_u32_e32 v5, vcc_lo, v21, v5, vcc_lo
	global_store_b128 v[4:5], v[0:3], off
.LBB36_62:
	s_nop 0
	s_sendmsg sendmsg(MSG_DEALLOC_VGPRS)
	s_endpgm
	.section	.rodata,"a",@progbits
	.p2align	6, 0x0
	.amdhsa_kernel _ZN9rocsparseL31bsrmm_large_blockdim_kernel_extILj8ELj8ELj2Eii21rocsparse_complex_numIdES2_S2_S2_EEvb20rocsparse_direction_T3_S4_llNS_24const_host_device_scalarIT7_EEPKT2_PKS4_PKT4_S4_PKT5_llS7_PT6_ll16rocsparse_order_21rocsparse_index_base_b
		.amdhsa_group_segment_fixed_size 4096
		.amdhsa_private_segment_fixed_size 0
		.amdhsa_kernarg_size 156
		.amdhsa_user_sgpr_count 14
		.amdhsa_user_sgpr_dispatch_ptr 1
		.amdhsa_user_sgpr_queue_ptr 0
		.amdhsa_user_sgpr_kernarg_segment_ptr 1
		.amdhsa_user_sgpr_dispatch_id 0
		.amdhsa_user_sgpr_private_segment_size 0
		.amdhsa_wavefront_size32 1
		.amdhsa_uses_dynamic_stack 0
		.amdhsa_enable_private_segment 0
		.amdhsa_system_sgpr_workgroup_id_x 1
		.amdhsa_system_sgpr_workgroup_id_y 1
		.amdhsa_system_sgpr_workgroup_id_z 0
		.amdhsa_system_sgpr_workgroup_info 0
		.amdhsa_system_vgpr_workitem_id 2
		.amdhsa_next_free_vgpr 52
		.amdhsa_next_free_sgpr 36
		.amdhsa_reserve_vcc 1
		.amdhsa_float_round_mode_32 0
		.amdhsa_float_round_mode_16_64 0
		.amdhsa_float_denorm_mode_32 3
		.amdhsa_float_denorm_mode_16_64 3
		.amdhsa_dx10_clamp 1
		.amdhsa_ieee_mode 1
		.amdhsa_fp16_overflow 0
		.amdhsa_workgroup_processor_mode 1
		.amdhsa_memory_ordered 1
		.amdhsa_forward_progress 0
		.amdhsa_shared_vgpr_count 0
		.amdhsa_exception_fp_ieee_invalid_op 0
		.amdhsa_exception_fp_denorm_src 0
		.amdhsa_exception_fp_ieee_div_zero 0
		.amdhsa_exception_fp_ieee_overflow 0
		.amdhsa_exception_fp_ieee_underflow 0
		.amdhsa_exception_fp_ieee_inexact 0
		.amdhsa_exception_int_div_zero 0
	.end_amdhsa_kernel
	.section	.text._ZN9rocsparseL31bsrmm_large_blockdim_kernel_extILj8ELj8ELj2Eii21rocsparse_complex_numIdES2_S2_S2_EEvb20rocsparse_direction_T3_S4_llNS_24const_host_device_scalarIT7_EEPKT2_PKS4_PKT4_S4_PKT5_llS7_PT6_ll16rocsparse_order_21rocsparse_index_base_b,"axG",@progbits,_ZN9rocsparseL31bsrmm_large_blockdim_kernel_extILj8ELj8ELj2Eii21rocsparse_complex_numIdES2_S2_S2_EEvb20rocsparse_direction_T3_S4_llNS_24const_host_device_scalarIT7_EEPKT2_PKS4_PKT4_S4_PKT5_llS7_PT6_ll16rocsparse_order_21rocsparse_index_base_b,comdat
.Lfunc_end36:
	.size	_ZN9rocsparseL31bsrmm_large_blockdim_kernel_extILj8ELj8ELj2Eii21rocsparse_complex_numIdES2_S2_S2_EEvb20rocsparse_direction_T3_S4_llNS_24const_host_device_scalarIT7_EEPKT2_PKS4_PKT4_S4_PKT5_llS7_PT6_ll16rocsparse_order_21rocsparse_index_base_b, .Lfunc_end36-_ZN9rocsparseL31bsrmm_large_blockdim_kernel_extILj8ELj8ELj2Eii21rocsparse_complex_numIdES2_S2_S2_EEvb20rocsparse_direction_T3_S4_llNS_24const_host_device_scalarIT7_EEPKT2_PKS4_PKT4_S4_PKT5_llS7_PT6_ll16rocsparse_order_21rocsparse_index_base_b
                                        ; -- End function
	.section	.AMDGPU.csdata,"",@progbits
; Kernel info:
; codeLenInByte = 3820
; NumSgprs: 38
; NumVgprs: 52
; ScratchSize: 0
; MemoryBound: 0
; FloatMode: 240
; IeeeMode: 1
; LDSByteSize: 4096 bytes/workgroup (compile time only)
; SGPRBlocks: 4
; VGPRBlocks: 6
; NumSGPRsForWavesPerEU: 38
; NumVGPRsForWavesPerEU: 52
; Occupancy: 16
; WaveLimiterHint : 1
; COMPUTE_PGM_RSRC2:SCRATCH_EN: 0
; COMPUTE_PGM_RSRC2:USER_SGPR: 14
; COMPUTE_PGM_RSRC2:TRAP_HANDLER: 0
; COMPUTE_PGM_RSRC2:TGID_X_EN: 1
; COMPUTE_PGM_RSRC2:TGID_Y_EN: 1
; COMPUTE_PGM_RSRC2:TGID_Z_EN: 0
; COMPUTE_PGM_RSRC2:TIDIG_COMP_CNT: 2
	.section	.text._ZN9rocsparseL31bsrmm_large_blockdim_kernel_extILj4ELj16ELj2Eii21rocsparse_complex_numIdES2_S2_S2_EEvb20rocsparse_direction_T3_S4_llNS_24const_host_device_scalarIT7_EEPKT2_PKS4_PKT4_S4_PKT5_llS7_PT6_ll16rocsparse_order_21rocsparse_index_base_b,"axG",@progbits,_ZN9rocsparseL31bsrmm_large_blockdim_kernel_extILj4ELj16ELj2Eii21rocsparse_complex_numIdES2_S2_S2_EEvb20rocsparse_direction_T3_S4_llNS_24const_host_device_scalarIT7_EEPKT2_PKS4_PKT4_S4_PKT5_llS7_PT6_ll16rocsparse_order_21rocsparse_index_base_b,comdat
	.globl	_ZN9rocsparseL31bsrmm_large_blockdim_kernel_extILj4ELj16ELj2Eii21rocsparse_complex_numIdES2_S2_S2_EEvb20rocsparse_direction_T3_S4_llNS_24const_host_device_scalarIT7_EEPKT2_PKS4_PKT4_S4_PKT5_llS7_PT6_ll16rocsparse_order_21rocsparse_index_base_b ; -- Begin function _ZN9rocsparseL31bsrmm_large_blockdim_kernel_extILj4ELj16ELj2Eii21rocsparse_complex_numIdES2_S2_S2_EEvb20rocsparse_direction_T3_S4_llNS_24const_host_device_scalarIT7_EEPKT2_PKS4_PKT4_S4_PKT5_llS7_PT6_ll16rocsparse_order_21rocsparse_index_base_b
	.p2align	8
	.type	_ZN9rocsparseL31bsrmm_large_blockdim_kernel_extILj4ELj16ELj2Eii21rocsparse_complex_numIdES2_S2_S2_EEvb20rocsparse_direction_T3_S4_llNS_24const_host_device_scalarIT7_EEPKT2_PKS4_PKT4_S4_PKT5_llS7_PT6_ll16rocsparse_order_21rocsparse_index_base_b,@function
_ZN9rocsparseL31bsrmm_large_blockdim_kernel_extILj4ELj16ELj2Eii21rocsparse_complex_numIdES2_S2_S2_EEvb20rocsparse_direction_T3_S4_llNS_24const_host_device_scalarIT7_EEPKT2_PKS4_PKT4_S4_PKT5_llS7_PT6_ll16rocsparse_order_21rocsparse_index_base_b: ; @_ZN9rocsparseL31bsrmm_large_blockdim_kernel_extILj4ELj16ELj2Eii21rocsparse_complex_numIdES2_S2_S2_EEvb20rocsparse_direction_T3_S4_llNS_24const_host_device_scalarIT7_EEPKT2_PKS4_PKT4_S4_PKT5_llS7_PT6_ll16rocsparse_order_21rocsparse_index_base_b
; %bb.0:
	s_load_b128 s[16:19], s[2:3], 0x90
	s_load_b64 s[6:7], s[0:1], 0x4
	s_load_b128 s[20:23], s[2:3], 0x20
	v_bfe_u32 v2, v0, 10, 10
	s_mov_b64 s[0:1], src_shared_base
	s_load_b128 s[8:11], s[2:3], 0x68
	v_and_b32_e32 v1, 0x3ff, v0
	v_bfe_u32 v0, v0, 20, 10
	s_mov_b32 s4, s15
	s_waitcnt lgkmcnt(0)
	s_bitcmp1_b32 s18, 0
	v_mul_u32_u24_e32 v3, s7, v2
	s_cselect_b32 s0, -1, 0
	s_delay_alu instid0(SALU_CYCLE_1)
	s_and_b32 vcc_lo, s0, exec_lo
	s_cselect_b32 s5, s1, s21
	s_lshr_b32 s6, s6, 16
	v_mov_b32_e32 v8, s5
	s_mul_i32 s6, s6, s7
	s_xor_b32 s5, s0, -1
	v_mad_u32_u24 v3, s6, v1, v3
	s_delay_alu instid0(VALU_DEP_1) | instskip(SKIP_2) | instid1(VALU_DEP_3)
	v_add_lshl_u32 v0, v3, v0, 3
	v_mov_b32_e32 v3, s20
	v_dual_mov_b32 v5, s8 :: v_dual_mov_b32 v4, s21
	v_dual_mov_b32 v6, s9 :: v_dual_add_nc_u32 v7, 0xb00, v0
	v_add_nc_u32_e32 v9, 0x100, v0
	v_add_nc_u32_e32 v0, 0x900, v0
	s_delay_alu instid0(VALU_DEP_3)
	v_cndmask_b32_e64 v7, s20, v7, s0
	ds_store_2addr_stride64_b64 v9, v[5:6], v[3:4] offset0:4 offset1:5
	flat_load_b64 v[4:5], v[7:8]
	v_dual_mov_b32 v6, s22 :: v_dual_mov_b32 v7, s23
	s_cbranch_vccnz .LBB37_2
; %bb.1:
	v_dual_mov_b32 v6, s20 :: v_dual_mov_b32 v7, s21
	flat_load_b64 v[6:7], v[6:7] offset:8
.LBB37_2:
	s_and_b32 s6, s0, exec_lo
	s_cselect_b32 s1, s1, s9
	v_cndmask_b32_e64 v8, s8, v0, s0
	v_dual_mov_b32 v9, s1 :: v_dual_mov_b32 v10, s10
	v_mov_b32_e32 v11, s11
	s_and_not1_b32 vcc_lo, exec_lo, s5
	flat_load_b64 v[8:9], v[8:9]
	s_cbranch_vccnz .LBB37_4
; %bb.3:
	v_dual_mov_b32 v11, s9 :: v_dual_mov_b32 v10, s8
	flat_load_b64 v[10:11], v[10:11] offset:8
.LBB37_4:
	s_waitcnt vmcnt(1) lgkmcnt(1)
	v_cmp_eq_f64_e32 vcc_lo, 0, v[4:5]
	v_cmp_eq_f64_e64 s0, 0, v[6:7]
	s_delay_alu instid0(VALU_DEP_1)
	s_and_b32 s5, vcc_lo, s0
	s_mov_b32 s0, -1
	s_and_saveexec_b32 s1, s5
	s_cbranch_execz .LBB37_6
; %bb.5:
	s_waitcnt vmcnt(0) lgkmcnt(0)
	v_cmp_neq_f64_e32 vcc_lo, 1.0, v[8:9]
	v_cmp_neq_f64_e64 s0, 0, v[10:11]
	s_delay_alu instid0(VALU_DEP_1) | instskip(NEXT) | instid1(SALU_CYCLE_1)
	s_or_b32 s0, vcc_lo, s0
	s_or_not1_b32 s0, s0, exec_lo
.LBB37_6:
	s_or_b32 exec_lo, exec_lo, s1
	s_and_saveexec_b32 s1, s0
	s_cbranch_execz .LBB37_62
; %bb.7:
	s_clause 0x1
	s_load_b128 s[8:11], s[2:3], 0x0
	s_load_b64 s[0:1], s[2:3], 0x30
	s_mov_b32 s19, 0
	s_mov_b32 s12, 0
	s_waitcnt lgkmcnt(0)
	s_cmp_lt_i32 s14, s10
	s_cselect_b32 s18, -1, 0
	s_cmp_ge_i32 s14, s10
	s_cbranch_scc1 .LBB37_9
; %bb.8:
	s_ashr_i32 s15, s14, 31
	s_delay_alu instid0(SALU_CYCLE_1) | instskip(NEXT) | instid1(SALU_CYCLE_1)
	s_lshl_b64 s[6:7], s[14:15], 2
	s_add_u32 s6, s0, s6
	s_addc_u32 s7, s1, s7
	s_load_b32 s5, s[6:7], 0x0
	s_waitcnt lgkmcnt(0)
	s_sub_i32 s12, s5, s17
.LBB37_9:
	s_and_not1_b32 vcc_lo, exec_lo, s18
	s_cbranch_vccnz .LBB37_11
; %bb.10:
	s_ashr_i32 s15, s14, 31
	s_delay_alu instid0(SALU_CYCLE_1) | instskip(NEXT) | instid1(SALU_CYCLE_1)
	s_lshl_b64 s[6:7], s[14:15], 2
	s_add_u32 s0, s0, s6
	s_addc_u32 s1, s1, s7
	s_load_b32 s0, s[0:1], 0x4
	s_waitcnt lgkmcnt(0)
	s_sub_i32 s19, s0, s17
.LBB37_11:
	s_clause 0x1
	s_load_b32 s10, s[2:3], 0x48
	s_load_b64 s[6:7], s[2:3], 0x78
	v_lshl_add_u32 v14, s4, 5, v2
	v_mov_b32_e32 v24, 0
	v_mov_b32_e32 v25, 0
	s_cmp_ge_i32 s12, s19
	s_delay_alu instid0(VALU_DEP_3) | instskip(SKIP_1) | instid1(VALU_DEP_3)
	v_add_nc_u32_e32 v12, 16, v14
	v_cmp_gt_i32_e64 s1, s11, v14
	v_dual_mov_b32 v29, v25 :: v_dual_mov_b32 v28, v24
	v_dual_mov_b32 v18, v24 :: v_dual_mov_b32 v19, v25
	s_delay_alu instid0(VALU_DEP_4)
	v_cmp_gt_i32_e64 s4, s11, v12
	v_dual_mov_b32 v16, v24 :: v_dual_mov_b32 v17, v25
	s_waitcnt lgkmcnt(0)
	v_cmp_gt_i32_e64 s0, s10, v1
	s_cbranch_scc1 .LBB37_39
; %bb.12:
	s_clause 0x1
	s_load_b128 s[20:23], s[2:3], 0x50
	s_load_b128 s[24:27], s[2:3], 0x38
	v_cmp_gt_i32_e32 vcc_lo, s10, v2
	v_lshl_add_u32 v3, v1, 2, v2
	v_ashrrev_i32_e32 v15, 31, v14
	v_ashrrev_i32_e32 v13, 31, v12
	v_mad_u64_u32 v[16:17], null, v2, s10, v[1:2]
	s_and_b32 s15, s0, vcc_lo
	s_bitcmp1_b32 s8, 0
	v_mad_u64_u32 v[17:18], null, v1, s10, v[2:3]
	s_cselect_b32 s5, -1, 0
	s_cmp_eq_u32 s9, 0
	v_lshlrev_b32_e32 v0, 2, v2
	s_cselect_b32 vcc_lo, -1, 0
	v_lshlrev_b32_e32 v33, 6, v2
	s_add_i32 s9, s10, -1
	s_and_b32 s8, s10, 7
	v_add_lshl_u32 v30, v0, v1, 4
	v_cndmask_b32_e32 v0, v16, v17, vcc_lo
	s_waitcnt lgkmcnt(0)
	v_mul_lo_u32 v20, v14, s23
	v_mul_lo_u32 v21, v15, s22
	v_mad_u64_u32 v[18:19], null, v14, s22, 0
	v_mul_lo_u32 v24, v12, s23
	v_mul_lo_u32 v25, v13, s22
	v_mad_u64_u32 v[22:23], null, v12, s22, 0
	v_dual_mov_b32 v16, 0 :: v_dual_add_nc_u32 v35, 0x400, v33
	v_add3_u32 v19, v19, v20, v21
	v_dual_mov_b32 v17, 0 :: v_dual_add_nc_u32 v32, 0x400, v30
	s_cmp_gt_u32 s9, 6
	s_delay_alu instid0(VALU_DEP_4) | instskip(NEXT) | instid1(VALU_DEP_3)
	v_add3_u32 v23, v23, v24, v25
	v_lshlrev_b64 v[20:21], 4, v[18:19]
	s_delay_alu instid0(VALU_DEP_3)
	v_dual_mov_b32 v19, v17 :: v_dual_mov_b32 v18, v16
	v_mov_b32_e32 v29, v17
	v_lshl_add_u32 v31, v3, 4, 0x800
	v_lshlrev_b64 v[2:3], 4, v[14:15]
	v_lshlrev_b64 v[22:23], 4, v[22:23]
	;; [unrolled: 1-line block ×3, first 2 shown]
	v_dual_mov_b32 v28, v16 :: v_dual_mov_b32 v25, v17
	s_cselect_b32 s9, -1, 0
	s_and_b32 s28, s10, -8
	v_lshl_add_u32 v34, v1, 6, 0x800
	v_mov_b32_e32 v24, v16
	s_cmp_lg_u32 s8, 0
	s_mul_i32 s29, s10, s10
	s_cselect_b32 s30, -1, 0
	s_branch .LBB37_15
.LBB37_13:                              ;   in Loop: Header=BB37_15 Depth=1
	s_or_b32 exec_lo, exec_lo, s31
.LBB37_14:                              ;   in Loop: Header=BB37_15 Depth=1
	s_delay_alu instid0(SALU_CYCLE_1) | instskip(SKIP_1) | instid1(SALU_CYCLE_1)
	s_or_b32 exec_lo, exec_lo, s13
	s_add_i32 s12, s12, 1
	s_cmp_ge_i32 s12, s19
	s_barrier
	buffer_gl0_inv
	s_cbranch_scc1 .LBB37_39
.LBB37_15:                              ; =>This Loop Header: Depth=1
                                        ;     Child Loop BB37_26 Depth 2
                                        ;     Child Loop BB37_30 Depth 2
                                        ;     Child Loop BB37_34 Depth 2
                                        ;     Child Loop BB37_38 Depth 2
	s_and_saveexec_b32 s31, s0
	s_cbranch_execz .LBB37_20
; %bb.16:                               ;   in Loop: Header=BB37_15 Depth=1
	s_ashr_i32 s13, s12, 31
	s_delay_alu instid0(SALU_CYCLE_1) | instskip(NEXT) | instid1(SALU_CYCLE_1)
	s_lshl_b64 s[34:35], s[12:13], 2
	s_add_u32 s34, s24, s34
	s_addc_u32 s35, s25, s35
	s_load_b32 s13, s[34:35], 0x0
	s_waitcnt lgkmcnt(0)
	s_sub_i32 s13, s13, s17
	s_delay_alu instid0(SALU_CYCLE_1) | instskip(NEXT) | instid1(VALU_DEP_1)
	v_mad_u64_u32 v[36:37], null, s13, s10, v[1:2]
	v_ashrrev_i32_e32 v37, 31, v36
	v_mul_lo_u32 v13, v36, s23
	v_mad_u64_u32 v[38:39], null, v36, s22, 0
	s_delay_alu instid0(VALU_DEP_3) | instskip(SKIP_1) | instid1(VALU_DEP_2)
	v_mul_lo_u32 v15, v37, s22
	v_lshlrev_b64 v[36:37], 4, v[36:37]
	v_add3_u32 v39, v39, v13, v15
	s_delay_alu instid0(VALU_DEP_1) | instskip(NEXT) | instid1(VALU_DEP_1)
	v_lshlrev_b64 v[38:39], 4, v[38:39]
	v_add_co_u32 v13, vcc_lo, s20, v38
	s_delay_alu instid0(VALU_DEP_2)
	v_add_co_ci_u32_e32 v15, vcc_lo, s21, v39, vcc_lo
	v_add_co_u32 v36, vcc_lo, s20, v36
	v_add_co_ci_u32_e32 v37, vcc_lo, s21, v37, vcc_lo
	s_and_saveexec_b32 s13, s1
	s_cbranch_execz .LBB37_18
; %bb.17:                               ;   in Loop: Header=BB37_15 Depth=1
	v_add_co_u32 v38, vcc_lo, v13, v2
	v_add_co_ci_u32_e32 v39, vcc_lo, v15, v3, vcc_lo
	v_add_co_u32 v40, vcc_lo, v36, v20
	v_add_co_ci_u32_e32 v41, vcc_lo, v37, v21, vcc_lo
	s_delay_alu instid0(VALU_DEP_2) | instskip(NEXT) | instid1(VALU_DEP_2)
	v_cndmask_b32_e64 v38, v38, v40, s5
	v_cndmask_b32_e64 v39, v39, v41, s5
	global_load_b128 v[38:41], v[38:39], off
	s_waitcnt vmcnt(0)
	ds_store_2addr_b64 v30, v[38:39], v[40:41] offset1:1
.LBB37_18:                              ;   in Loop: Header=BB37_15 Depth=1
	s_or_b32 exec_lo, exec_lo, s13
	s_delay_alu instid0(SALU_CYCLE_1)
	s_and_b32 exec_lo, exec_lo, s4
	s_cbranch_execz .LBB37_20
; %bb.19:                               ;   in Loop: Header=BB37_15 Depth=1
	v_add_co_u32 v36, vcc_lo, v36, v22
	v_add_co_ci_u32_e32 v37, vcc_lo, v37, v23, vcc_lo
	v_add_co_u32 v13, vcc_lo, v13, v26
	v_add_co_ci_u32_e32 v15, vcc_lo, v15, v27, vcc_lo
	s_delay_alu instid0(VALU_DEP_2) | instskip(NEXT) | instid1(VALU_DEP_2)
	v_cndmask_b32_e64 v36, v13, v36, s5
	v_cndmask_b32_e64 v37, v15, v37, s5
	global_load_b128 v[36:39], v[36:37], off
	s_waitcnt vmcnt(0)
	ds_store_2addr_b64 v32, v[36:37], v[38:39] offset1:1
.LBB37_20:                              ;   in Loop: Header=BB37_15 Depth=1
	s_or_b32 exec_lo, exec_lo, s31
	s_and_saveexec_b32 s13, s15
	s_cbranch_execz .LBB37_22
; %bb.21:                               ;   in Loop: Header=BB37_15 Depth=1
	v_mad_u64_u32 v[36:37], null, s29, s12, v[0:1]
	s_delay_alu instid0(VALU_DEP_1) | instskip(NEXT) | instid1(VALU_DEP_1)
	v_ashrrev_i32_e32 v37, 31, v36
	v_lshlrev_b64 v[36:37], 4, v[36:37]
	s_delay_alu instid0(VALU_DEP_1) | instskip(NEXT) | instid1(VALU_DEP_2)
	v_add_co_u32 v36, vcc_lo, s26, v36
	v_add_co_ci_u32_e32 v37, vcc_lo, s27, v37, vcc_lo
	global_load_b128 v[36:39], v[36:37], off
	s_waitcnt vmcnt(0)
	ds_store_2addr_b64 v31, v[36:37], v[38:39] offset1:1
.LBB37_22:                              ;   in Loop: Header=BB37_15 Depth=1
	s_or_b32 exec_lo, exec_lo, s13
	s_waitcnt vmcnt(0) lgkmcnt(0)
	s_barrier
	buffer_gl0_inv
	s_and_saveexec_b32 s13, s0
	s_cbranch_execz .LBB37_14
; %bb.23:                               ;   in Loop: Header=BB37_15 Depth=1
	s_and_saveexec_b32 s31, s1
	s_cbranch_execz .LBB37_31
; %bb.24:                               ;   in Loop: Header=BB37_15 Depth=1
	s_and_not1_b32 vcc_lo, exec_lo, s9
	s_cbranch_vccnz .LBB37_28
; %bb.25:                               ;   in Loop: Header=BB37_15 Depth=1
	v_mov_b32_e32 v13, v34
	v_mov_b32_e32 v15, v33
	s_mov_b32 s33, 0
.LBB37_26:                              ;   Parent Loop BB37_15 Depth=1
                                        ; =>  This Inner Loop Header: Depth=2
	ds_load_b128 v[36:39], v15
	ds_load_b128 v[40:43], v13
	ds_load_b128 v[44:47], v13 offset:16
	ds_load_b128 v[48:51], v15 offset:16
	s_add_i32 s33, s33, 8
	s_delay_alu instid0(SALU_CYCLE_1) | instskip(SKIP_3) | instid1(VALU_DEP_2)
	s_cmp_lg_u32 s28, s33
	s_waitcnt lgkmcnt(2)
	v_fma_f64 v[24:25], v[40:41], v[36:37], v[24:25]
	v_fma_f64 v[28:29], v[42:43], v[36:37], v[28:29]
	v_fma_f64 v[24:25], -v[42:43], v[38:39], v[24:25]
	s_delay_alu instid0(VALU_DEP_2) | instskip(SKIP_1) | instid1(VALU_DEP_2)
	v_fma_f64 v[28:29], v[40:41], v[38:39], v[28:29]
	s_waitcnt lgkmcnt(0)
	v_fma_f64 v[24:25], v[44:45], v[48:49], v[24:25]
	s_delay_alu instid0(VALU_DEP_2) | instskip(NEXT) | instid1(VALU_DEP_2)
	v_fma_f64 v[28:29], v[46:47], v[48:49], v[28:29]
	v_fma_f64 v[24:25], -v[46:47], v[50:51], v[24:25]
	s_delay_alu instid0(VALU_DEP_2)
	v_fma_f64 v[28:29], v[44:45], v[50:51], v[28:29]
	ds_load_b128 v[36:39], v15 offset:32
	ds_load_b128 v[40:43], v13 offset:32
	;; [unrolled: 1-line block ×4, first 2 shown]
	s_waitcnt lgkmcnt(2)
	v_fma_f64 v[24:25], v[40:41], v[36:37], v[24:25]
	v_fma_f64 v[28:29], v[42:43], v[36:37], v[28:29]
	s_delay_alu instid0(VALU_DEP_2) | instskip(NEXT) | instid1(VALU_DEP_2)
	v_fma_f64 v[24:25], -v[42:43], v[38:39], v[24:25]
	v_fma_f64 v[28:29], v[40:41], v[38:39], v[28:29]
	s_waitcnt lgkmcnt(0)
	s_delay_alu instid0(VALU_DEP_2) | instskip(NEXT) | instid1(VALU_DEP_2)
	v_fma_f64 v[24:25], v[44:45], v[48:49], v[24:25]
	v_fma_f64 v[28:29], v[46:47], v[48:49], v[28:29]
	s_delay_alu instid0(VALU_DEP_2) | instskip(NEXT) | instid1(VALU_DEP_2)
	v_fma_f64 v[24:25], -v[46:47], v[50:51], v[24:25]
	v_fma_f64 v[28:29], v[44:45], v[50:51], v[28:29]
	ds_load_b128 v[36:39], v15 offset:64
	ds_load_b128 v[40:43], v13 offset:64
	;; [unrolled: 1-line block ×4, first 2 shown]
	s_waitcnt lgkmcnt(2)
	v_fma_f64 v[24:25], v[40:41], v[36:37], v[24:25]
	v_fma_f64 v[28:29], v[42:43], v[36:37], v[28:29]
	s_delay_alu instid0(VALU_DEP_2) | instskip(NEXT) | instid1(VALU_DEP_2)
	v_fma_f64 v[24:25], -v[42:43], v[38:39], v[24:25]
	v_fma_f64 v[28:29], v[40:41], v[38:39], v[28:29]
	s_waitcnt lgkmcnt(0)
	s_delay_alu instid0(VALU_DEP_2) | instskip(NEXT) | instid1(VALU_DEP_2)
	v_fma_f64 v[24:25], v[44:45], v[48:49], v[24:25]
	v_fma_f64 v[28:29], v[46:47], v[48:49], v[28:29]
	s_delay_alu instid0(VALU_DEP_2) | instskip(NEXT) | instid1(VALU_DEP_2)
	v_fma_f64 v[24:25], -v[46:47], v[50:51], v[24:25]
	v_fma_f64 v[28:29], v[44:45], v[50:51], v[28:29]
	ds_load_b128 v[36:39], v15 offset:96
	ds_load_b128 v[40:43], v13 offset:96
	;; [unrolled: 1-line block ×4, first 2 shown]
	v_add_nc_u32_e32 v15, 0x80, v15
	v_add_nc_u32_e32 v13, 0x80, v13
	s_waitcnt lgkmcnt(2)
	v_fma_f64 v[24:25], v[40:41], v[36:37], v[24:25]
	v_fma_f64 v[28:29], v[42:43], v[36:37], v[28:29]
	s_delay_alu instid0(VALU_DEP_2) | instskip(NEXT) | instid1(VALU_DEP_2)
	v_fma_f64 v[24:25], -v[42:43], v[38:39], v[24:25]
	v_fma_f64 v[28:29], v[40:41], v[38:39], v[28:29]
	s_waitcnt lgkmcnt(0)
	s_delay_alu instid0(VALU_DEP_2) | instskip(NEXT) | instid1(VALU_DEP_2)
	v_fma_f64 v[24:25], v[44:45], v[48:49], v[24:25]
	v_fma_f64 v[28:29], v[46:47], v[48:49], v[28:29]
	s_delay_alu instid0(VALU_DEP_2) | instskip(NEXT) | instid1(VALU_DEP_2)
	v_fma_f64 v[24:25], -v[46:47], v[50:51], v[24:25]
	v_fma_f64 v[28:29], v[44:45], v[50:51], v[28:29]
	s_cbranch_scc1 .LBB37_26
; %bb.27:                               ;   in Loop: Header=BB37_15 Depth=1
	s_mov_b32 s33, s28
	s_and_not1_b32 vcc_lo, exec_lo, s30
	s_cbranch_vccz .LBB37_29
	s_branch .LBB37_31
.LBB37_28:                              ;   in Loop: Header=BB37_15 Depth=1
	s_mov_b32 s33, 0
	s_and_not1_b32 vcc_lo, exec_lo, s30
	s_cbranch_vccnz .LBB37_31
.LBB37_29:                              ;   in Loop: Header=BB37_15 Depth=1
	s_lshl_b32 s33, s33, 4
	s_delay_alu instid0(SALU_CYCLE_1)
	v_add_nc_u32_e32 v13, s33, v33
	v_add_nc_u32_e32 v15, s33, v34
	s_mov_b32 s33, s8
	.p2align	6
.LBB37_30:                              ;   Parent Loop BB37_15 Depth=1
                                        ; =>  This Inner Loop Header: Depth=2
	ds_load_b128 v[36:39], v15
	ds_load_b128 v[40:43], v13
	v_add_nc_u32_e32 v13, 16, v13
	v_add_nc_u32_e32 v15, 16, v15
	s_add_i32 s33, s33, -1
	s_delay_alu instid0(SALU_CYCLE_1) | instskip(SKIP_3) | instid1(VALU_DEP_2)
	s_cmp_lg_u32 s33, 0
	s_waitcnt lgkmcnt(0)
	v_fma_f64 v[24:25], v[36:37], v[40:41], v[24:25]
	v_fma_f64 v[28:29], v[38:39], v[40:41], v[28:29]
	v_fma_f64 v[24:25], -v[38:39], v[42:43], v[24:25]
	s_delay_alu instid0(VALU_DEP_2)
	v_fma_f64 v[28:29], v[36:37], v[42:43], v[28:29]
	s_cbranch_scc1 .LBB37_30
.LBB37_31:                              ;   in Loop: Header=BB37_15 Depth=1
	s_or_b32 exec_lo, exec_lo, s31
	s_and_saveexec_b32 s31, s4
	s_cbranch_execz .LBB37_13
; %bb.32:                               ;   in Loop: Header=BB37_15 Depth=1
	s_and_not1_b32 vcc_lo, exec_lo, s9
	s_cbranch_vccnz .LBB37_36
; %bb.33:                               ;   in Loop: Header=BB37_15 Depth=1
	v_mov_b32_e32 v13, v34
	v_mov_b32_e32 v15, v35
	s_mov_b32 s33, 0
.LBB37_34:                              ;   Parent Loop BB37_15 Depth=1
                                        ; =>  This Inner Loop Header: Depth=2
	ds_load_b128 v[36:39], v15
	ds_load_b128 v[40:43], v13
	ds_load_b128 v[44:47], v13 offset:16
	ds_load_b128 v[48:51], v15 offset:16
	s_add_i32 s33, s33, 8
	s_delay_alu instid0(SALU_CYCLE_1) | instskip(SKIP_3) | instid1(VALU_DEP_2)
	s_cmp_lg_u32 s28, s33
	s_waitcnt lgkmcnt(2)
	v_fma_f64 v[18:19], v[40:41], v[36:37], v[18:19]
	v_fma_f64 v[16:17], v[42:43], v[36:37], v[16:17]
	v_fma_f64 v[18:19], -v[42:43], v[38:39], v[18:19]
	s_delay_alu instid0(VALU_DEP_2) | instskip(SKIP_1) | instid1(VALU_DEP_2)
	v_fma_f64 v[16:17], v[40:41], v[38:39], v[16:17]
	s_waitcnt lgkmcnt(0)
	v_fma_f64 v[18:19], v[44:45], v[48:49], v[18:19]
	s_delay_alu instid0(VALU_DEP_2) | instskip(NEXT) | instid1(VALU_DEP_2)
	v_fma_f64 v[16:17], v[46:47], v[48:49], v[16:17]
	v_fma_f64 v[48:49], -v[46:47], v[50:51], v[18:19]
	s_delay_alu instid0(VALU_DEP_2)
	v_fma_f64 v[50:51], v[44:45], v[50:51], v[16:17]
	ds_load_b128 v[16:19], v15 offset:32
	ds_load_b128 v[36:39], v13 offset:32
	ds_load_b128 v[40:43], v13 offset:48
	ds_load_b128 v[44:47], v15 offset:48
	s_waitcnt lgkmcnt(2)
	v_fma_f64 v[48:49], v[36:37], v[16:17], v[48:49]
	v_fma_f64 v[16:17], v[38:39], v[16:17], v[50:51]
	s_delay_alu instid0(VALU_DEP_2) | instskip(NEXT) | instid1(VALU_DEP_2)
	v_fma_f64 v[38:39], -v[38:39], v[18:19], v[48:49]
	v_fma_f64 v[16:17], v[36:37], v[18:19], v[16:17]
	s_waitcnt lgkmcnt(0)
	s_delay_alu instid0(VALU_DEP_2) | instskip(NEXT) | instid1(VALU_DEP_2)
	v_fma_f64 v[18:19], v[40:41], v[44:45], v[38:39]
	v_fma_f64 v[16:17], v[42:43], v[44:45], v[16:17]
	s_delay_alu instid0(VALU_DEP_2) | instskip(NEXT) | instid1(VALU_DEP_2)
	v_fma_f64 v[48:49], -v[42:43], v[46:47], v[18:19]
	v_fma_f64 v[50:51], v[40:41], v[46:47], v[16:17]
	ds_load_b128 v[16:19], v15 offset:64
	ds_load_b128 v[36:39], v13 offset:64
	;; [unrolled: 1-line block ×4, first 2 shown]
	s_waitcnt lgkmcnt(2)
	v_fma_f64 v[48:49], v[36:37], v[16:17], v[48:49]
	v_fma_f64 v[16:17], v[38:39], v[16:17], v[50:51]
	s_delay_alu instid0(VALU_DEP_2) | instskip(NEXT) | instid1(VALU_DEP_2)
	v_fma_f64 v[38:39], -v[38:39], v[18:19], v[48:49]
	v_fma_f64 v[16:17], v[36:37], v[18:19], v[16:17]
	s_waitcnt lgkmcnt(0)
	s_delay_alu instid0(VALU_DEP_2) | instskip(NEXT) | instid1(VALU_DEP_2)
	v_fma_f64 v[18:19], v[40:41], v[44:45], v[38:39]
	v_fma_f64 v[16:17], v[42:43], v[44:45], v[16:17]
	s_delay_alu instid0(VALU_DEP_2) | instskip(NEXT) | instid1(VALU_DEP_2)
	v_fma_f64 v[48:49], -v[42:43], v[46:47], v[18:19]
	v_fma_f64 v[50:51], v[40:41], v[46:47], v[16:17]
	ds_load_b128 v[16:19], v15 offset:96
	ds_load_b128 v[36:39], v13 offset:96
	ds_load_b128 v[40:43], v13 offset:112
	ds_load_b128 v[44:47], v15 offset:112
	v_add_nc_u32_e32 v15, 0x80, v15
	v_add_nc_u32_e32 v13, 0x80, v13
	s_waitcnt lgkmcnt(2)
	v_fma_f64 v[48:49], v[36:37], v[16:17], v[48:49]
	v_fma_f64 v[16:17], v[38:39], v[16:17], v[50:51]
	s_delay_alu instid0(VALU_DEP_2) | instskip(NEXT) | instid1(VALU_DEP_2)
	v_fma_f64 v[38:39], -v[38:39], v[18:19], v[48:49]
	v_fma_f64 v[16:17], v[36:37], v[18:19], v[16:17]
	s_waitcnt lgkmcnt(0)
	s_delay_alu instid0(VALU_DEP_2) | instskip(NEXT) | instid1(VALU_DEP_2)
	v_fma_f64 v[18:19], v[40:41], v[44:45], v[38:39]
	v_fma_f64 v[16:17], v[42:43], v[44:45], v[16:17]
	s_delay_alu instid0(VALU_DEP_2) | instskip(NEXT) | instid1(VALU_DEP_2)
	v_fma_f64 v[18:19], -v[42:43], v[46:47], v[18:19]
	v_fma_f64 v[16:17], v[40:41], v[46:47], v[16:17]
	s_cbranch_scc1 .LBB37_34
; %bb.35:                               ;   in Loop: Header=BB37_15 Depth=1
	s_mov_b32 s33, s28
	s_and_not1_b32 vcc_lo, exec_lo, s30
	s_cbranch_vccz .LBB37_37
	s_branch .LBB37_13
.LBB37_36:                              ;   in Loop: Header=BB37_15 Depth=1
	s_mov_b32 s33, 0
	s_and_not1_b32 vcc_lo, exec_lo, s30
	s_cbranch_vccnz .LBB37_13
.LBB37_37:                              ;   in Loop: Header=BB37_15 Depth=1
	s_lshl_b32 s33, s33, 4
	s_delay_alu instid0(SALU_CYCLE_1)
	v_add_nc_u32_e32 v13, s33, v35
	v_add_nc_u32_e32 v15, s33, v34
	s_mov_b32 s33, s8
	.p2align	6
.LBB37_38:                              ;   Parent Loop BB37_15 Depth=1
                                        ; =>  This Inner Loop Header: Depth=2
	ds_load_b128 v[36:39], v15
	ds_load_b128 v[40:43], v13
	v_add_nc_u32_e32 v13, 16, v13
	v_add_nc_u32_e32 v15, 16, v15
	s_add_i32 s33, s33, -1
	s_delay_alu instid0(SALU_CYCLE_1) | instskip(SKIP_3) | instid1(VALU_DEP_2)
	s_cmp_lg_u32 s33, 0
	s_waitcnt lgkmcnt(0)
	v_fma_f64 v[18:19], v[36:37], v[40:41], v[18:19]
	v_fma_f64 v[16:17], v[38:39], v[40:41], v[16:17]
	v_fma_f64 v[18:19], -v[38:39], v[42:43], v[18:19]
	s_delay_alu instid0(VALU_DEP_2)
	v_fma_f64 v[16:17], v[36:37], v[42:43], v[16:17]
	s_cbranch_scc1 .LBB37_38
	s_branch .LBB37_13
.LBB37_39:
	s_delay_alu instid0(VALU_DEP_1) | instskip(NEXT) | instid1(SALU_CYCLE_1)
	s_and_b32 s0, s18, s0
	s_and_b32 exec_lo, exec_lo, s0
	s_cbranch_execz .LBB37_62
; %bb.40:
	s_load_b64 s[2:3], s[2:3], 0x80
	s_waitcnt vmcnt(0)
	v_cmp_neq_f64_e32 vcc_lo, 0, v[8:9]
	v_cmp_neq_f64_e64 s0, 0, v[10:11]
	v_mad_u64_u32 v[2:3], null, s14, s10, v[1:2]
	s_mov_b32 s4, exec_lo
	s_delay_alu instid0(VALU_DEP_1) | instskip(SKIP_1) | instid1(VALU_DEP_1)
	v_ashrrev_i32_e32 v3, 31, v2
	s_waitcnt lgkmcnt(0)
	v_mul_lo_u32 v13, v3, s2
	v_mul_lo_u32 v15, v2, s3
	v_mad_u64_u32 v[0:1], null, v2, s2, 0
	v_lshlrev_b64 v[2:3], 4, v[2:3]
	s_delay_alu instid0(VALU_DEP_1) | instskip(NEXT) | instid1(VALU_DEP_3)
	v_add_co_u32 v20, s1, s6, v2
	v_add3_u32 v1, v1, v15, v13
	s_delay_alu instid0(VALU_DEP_3) | instskip(NEXT) | instid1(VALU_DEP_2)
	v_add_co_ci_u32_e64 v21, s1, s7, v3, s1
	v_lshlrev_b64 v[0:1], 4, v[0:1]
	s_or_b32 s1, vcc_lo, s0
	s_cmp_lg_u32 s16, 1
	s_delay_alu instid0(VALU_DEP_1) | instskip(NEXT) | instid1(VALU_DEP_2)
	v_add_co_u32 v22, vcc_lo, s6, v0
	v_add_co_ci_u32_e32 v23, vcc_lo, s7, v1, vcc_lo
	s_cselect_b32 s0, -1, 0
	v_cmpx_gt_i32_e64 s11, v14
	s_cbranch_execz .LBB37_51
; %bb.41:
	s_and_saveexec_b32 s5, s1
	s_delay_alu instid0(SALU_CYCLE_1)
	s_xor_b32 s5, exec_lo, s5
	s_cbranch_execz .LBB37_46
; %bb.42:
	v_ashrrev_i32_e32 v15, 31, v14
	s_and_b32 vcc_lo, exec_lo, s0
	s_mov_b32 s6, -1
	s_cbranch_vccz .LBB37_44
; %bb.43:
	s_delay_alu instid0(VALU_DEP_1) | instskip(SKIP_3) | instid1(VALU_DEP_3)
	v_lshlrev_b64 v[0:1], 4, v[14:15]
	v_mul_f64 v[30:31], v[28:29], -v[6:7]
	v_mul_f64 v[32:33], v[4:5], v[28:29]
	s_mov_b32 s6, 0
	v_add_co_u32 v26, vcc_lo, v22, v0
	s_delay_alu instid0(VALU_DEP_4) | instskip(SKIP_4) | instid1(VALU_DEP_2)
	v_add_co_ci_u32_e32 v27, vcc_lo, v23, v1, vcc_lo
	global_load_b128 v[0:3], v[26:27], off
	v_fma_f64 v[30:31], v[4:5], v[24:25], v[30:31]
	v_fma_f64 v[32:33], v[6:7], v[24:25], v[32:33]
	s_waitcnt vmcnt(0)
	v_fma_f64 v[30:31], v[8:9], v[0:1], v[30:31]
	s_delay_alu instid0(VALU_DEP_2) | instskip(NEXT) | instid1(VALU_DEP_2)
	v_fma_f64 v[32:33], v[10:11], v[0:1], v[32:33]
	v_fma_f64 v[0:1], -v[10:11], v[2:3], v[30:31]
	s_delay_alu instid0(VALU_DEP_2)
	v_fma_f64 v[2:3], v[8:9], v[2:3], v[32:33]
	global_store_b128 v[26:27], v[0:3], off
.LBB37_44:
	s_and_not1_b32 vcc_lo, exec_lo, s6
	s_cbranch_vccnz .LBB37_46
; %bb.45:
	v_mul_lo_u32 v2, v15, s2
	v_mul_lo_u32 v3, v14, s3
	v_mad_u64_u32 v[0:1], null, v14, s2, 0
	v_mul_f64 v[26:27], v[28:29], -v[6:7]
	v_mul_f64 v[28:29], v[4:5], v[28:29]
	s_delay_alu instid0(VALU_DEP_3) | instskip(NEXT) | instid1(VALU_DEP_1)
	v_add3_u32 v1, v1, v3, v2
	v_lshlrev_b64 v[0:1], 4, v[0:1]
	s_delay_alu instid0(VALU_DEP_1) | instskip(NEXT) | instid1(VALU_DEP_2)
	v_add_co_u32 v13, vcc_lo, v20, v0
	v_add_co_ci_u32_e32 v14, vcc_lo, v21, v1, vcc_lo
	global_load_b128 v[0:3], v[13:14], off
	v_fma_f64 v[26:27], v[4:5], v[24:25], v[26:27]
	v_fma_f64 v[24:25], v[6:7], v[24:25], v[28:29]
                                        ; implicit-def: $vgpr28_vgpr29
	s_waitcnt vmcnt(0)
	s_delay_alu instid0(VALU_DEP_2) | instskip(NEXT) | instid1(VALU_DEP_2)
	v_fma_f64 v[26:27], v[8:9], v[0:1], v[26:27]
	v_fma_f64 v[24:25], v[10:11], v[0:1], v[24:25]
	s_delay_alu instid0(VALU_DEP_2) | instskip(NEXT) | instid1(VALU_DEP_2)
	v_fma_f64 v[0:1], -v[10:11], v[2:3], v[26:27]
	v_fma_f64 v[2:3], v[8:9], v[2:3], v[24:25]
                                        ; implicit-def: $vgpr24_vgpr25
	global_store_b128 v[13:14], v[0:3], off
                                        ; implicit-def: $vgpr14
.LBB37_46:
	s_and_not1_saveexec_b32 s5, s5
	s_cbranch_execz .LBB37_51
; %bb.47:
	v_mul_f64 v[0:1], v[28:29], -v[6:7]
	v_mul_f64 v[2:3], v[4:5], v[28:29]
	v_ashrrev_i32_e32 v15, 31, v14
	s_and_b32 vcc_lo, exec_lo, s0
	s_mov_b32 s5, -1
	s_delay_alu instid0(VALU_DEP_3) | instskip(NEXT) | instid1(VALU_DEP_3)
	v_fma_f64 v[0:1], v[4:5], v[24:25], v[0:1]
	v_fma_f64 v[2:3], v[6:7], v[24:25], v[2:3]
	s_cbranch_vccz .LBB37_49
; %bb.48:
	v_lshlrev_b64 v[24:25], 4, v[14:15]
	s_mov_b32 s5, 0
	s_delay_alu instid0(VALU_DEP_1) | instskip(NEXT) | instid1(VALU_DEP_2)
	v_add_co_u32 v24, vcc_lo, v22, v24
	v_add_co_ci_u32_e32 v25, vcc_lo, v23, v25, vcc_lo
	global_store_b128 v[24:25], v[0:3], off
.LBB37_49:
	s_and_not1_b32 vcc_lo, exec_lo, s5
	s_cbranch_vccnz .LBB37_51
; %bb.50:
	v_mul_lo_u32 v13, v15, s2
	v_mul_lo_u32 v15, v14, s3
	v_mad_u64_u32 v[24:25], null, v14, s2, 0
	s_delay_alu instid0(VALU_DEP_1) | instskip(NEXT) | instid1(VALU_DEP_1)
	v_add3_u32 v25, v25, v15, v13
	v_lshlrev_b64 v[13:14], 4, v[24:25]
	s_delay_alu instid0(VALU_DEP_1) | instskip(NEXT) | instid1(VALU_DEP_2)
	v_add_co_u32 v13, vcc_lo, v20, v13
	v_add_co_ci_u32_e32 v14, vcc_lo, v21, v14, vcc_lo
	global_store_b128 v[13:14], v[0:3], off
.LBB37_51:
	s_or_b32 exec_lo, exec_lo, s4
	v_cmp_gt_i32_e32 vcc_lo, s11, v12
	s_and_b32 exec_lo, exec_lo, vcc_lo
	s_cbranch_execz .LBB37_62
; %bb.52:
	s_and_saveexec_b32 s4, s1
	s_delay_alu instid0(SALU_CYCLE_1)
	s_xor_b32 s1, exec_lo, s4
	s_cbranch_execz .LBB37_57
; %bb.53:
	v_ashrrev_i32_e32 v13, 31, v12
	s_and_not1_b32 vcc_lo, exec_lo, s0
	s_mov_b32 s4, -1
	s_cbranch_vccnz .LBB37_55
; %bb.54:
	s_delay_alu instid0(VALU_DEP_1) | instskip(SKIP_2) | instid1(VALU_DEP_2)
	v_lshlrev_b64 v[0:1], 4, v[12:13]
	v_mul_f64 v[24:25], v[4:5], v[16:17]
	s_mov_b32 s4, 0
	v_add_co_u32 v14, vcc_lo, v22, v0
	s_delay_alu instid0(VALU_DEP_3)
	v_add_co_ci_u32_e32 v15, vcc_lo, v23, v1, vcc_lo
	v_mul_f64 v[22:23], v[16:17], -v[6:7]
	global_load_b128 v[0:3], v[14:15], off
	v_fma_f64 v[24:25], v[6:7], v[18:19], v[24:25]
	v_fma_f64 v[22:23], v[4:5], v[18:19], v[22:23]
	s_waitcnt vmcnt(0)
	s_delay_alu instid0(VALU_DEP_1) | instskip(NEXT) | instid1(VALU_DEP_3)
	v_fma_f64 v[22:23], v[8:9], v[0:1], v[22:23]
	v_fma_f64 v[24:25], v[10:11], v[0:1], v[24:25]
	s_delay_alu instid0(VALU_DEP_2) | instskip(NEXT) | instid1(VALU_DEP_2)
	v_fma_f64 v[0:1], -v[10:11], v[2:3], v[22:23]
	v_fma_f64 v[2:3], v[8:9], v[2:3], v[24:25]
	global_store_b128 v[14:15], v[0:3], off
.LBB37_55:
	s_and_not1_b32 vcc_lo, exec_lo, s4
                                        ; implicit-def: $vgpr22
                                        ; implicit-def: $vgpr23
	s_cbranch_vccnz .LBB37_57
; %bb.56:
	v_mul_lo_u32 v2, v13, s2
	v_mul_lo_u32 v3, v12, s3
	v_mad_u64_u32 v[0:1], null, v12, s2, 0
	v_mul_f64 v[14:15], v[16:17], -v[6:7]
	v_mul_f64 v[16:17], v[4:5], v[16:17]
                                        ; implicit-def: $vgpr22
                                        ; implicit-def: $vgpr23
	s_delay_alu instid0(VALU_DEP_3) | instskip(NEXT) | instid1(VALU_DEP_1)
	v_add3_u32 v1, v1, v3, v2
	v_lshlrev_b64 v[0:1], 4, v[0:1]
	s_delay_alu instid0(VALU_DEP_1) | instskip(NEXT) | instid1(VALU_DEP_2)
	v_add_co_u32 v12, vcc_lo, v20, v0
	v_add_co_ci_u32_e32 v13, vcc_lo, v21, v1, vcc_lo
                                        ; implicit-def: $vgpr20
                                        ; implicit-def: $vgpr21
	global_load_b128 v[0:3], v[12:13], off
	v_fma_f64 v[4:5], v[4:5], v[18:19], v[14:15]
	v_fma_f64 v[6:7], v[6:7], v[18:19], v[16:17]
                                        ; implicit-def: $vgpr18_vgpr19
                                        ; implicit-def: $vgpr16_vgpr17
	s_waitcnt vmcnt(0)
	s_delay_alu instid0(VALU_DEP_2) | instskip(NEXT) | instid1(VALU_DEP_2)
	v_fma_f64 v[4:5], v[8:9], v[0:1], v[4:5]
	v_fma_f64 v[6:7], v[10:11], v[0:1], v[6:7]
	s_delay_alu instid0(VALU_DEP_2) | instskip(NEXT) | instid1(VALU_DEP_2)
	v_fma_f64 v[0:1], -v[10:11], v[2:3], v[4:5]
	v_fma_f64 v[2:3], v[8:9], v[2:3], v[6:7]
                                        ; implicit-def: $vgpr4_vgpr5
                                        ; implicit-def: $vgpr6_vgpr7
	global_store_b128 v[12:13], v[0:3], off
                                        ; implicit-def: $vgpr12
.LBB37_57:
	s_and_not1_saveexec_b32 s1, s1
	s_cbranch_execz .LBB37_62
; %bb.58:
	v_mul_f64 v[0:1], v[16:17], -v[6:7]
	v_mul_f64 v[2:3], v[4:5], v[16:17]
	v_ashrrev_i32_e32 v13, 31, v12
	s_and_not1_b32 vcc_lo, exec_lo, s0
	s_mov_b32 s0, -1
	s_delay_alu instid0(VALU_DEP_3) | instskip(NEXT) | instid1(VALU_DEP_3)
	v_fma_f64 v[0:1], v[4:5], v[18:19], v[0:1]
	v_fma_f64 v[2:3], v[6:7], v[18:19], v[2:3]
	s_cbranch_vccnz .LBB37_60
; %bb.59:
	v_lshlrev_b64 v[4:5], 4, v[12:13]
	s_mov_b32 s0, 0
	s_delay_alu instid0(VALU_DEP_1) | instskip(NEXT) | instid1(VALU_DEP_2)
	v_add_co_u32 v4, vcc_lo, v22, v4
	v_add_co_ci_u32_e32 v5, vcc_lo, v23, v5, vcc_lo
	global_store_b128 v[4:5], v[0:3], off
.LBB37_60:
	s_and_not1_b32 vcc_lo, exec_lo, s0
	s_cbranch_vccnz .LBB37_62
; %bb.61:
	v_mul_lo_u32 v6, v13, s2
	v_mul_lo_u32 v7, v12, s3
	v_mad_u64_u32 v[4:5], null, v12, s2, 0
	s_delay_alu instid0(VALU_DEP_1) | instskip(NEXT) | instid1(VALU_DEP_1)
	v_add3_u32 v5, v5, v7, v6
	v_lshlrev_b64 v[4:5], 4, v[4:5]
	s_delay_alu instid0(VALU_DEP_1) | instskip(NEXT) | instid1(VALU_DEP_2)
	v_add_co_u32 v4, vcc_lo, v20, v4
	v_add_co_ci_u32_e32 v5, vcc_lo, v21, v5, vcc_lo
	global_store_b128 v[4:5], v[0:3], off
.LBB37_62:
	s_nop 0
	s_sendmsg sendmsg(MSG_DEALLOC_VGPRS)
	s_endpgm
	.section	.rodata,"a",@progbits
	.p2align	6, 0x0
	.amdhsa_kernel _ZN9rocsparseL31bsrmm_large_blockdim_kernel_extILj4ELj16ELj2Eii21rocsparse_complex_numIdES2_S2_S2_EEvb20rocsparse_direction_T3_S4_llNS_24const_host_device_scalarIT7_EEPKT2_PKS4_PKT4_S4_PKT5_llS7_PT6_ll16rocsparse_order_21rocsparse_index_base_b
		.amdhsa_group_segment_fixed_size 3328
		.amdhsa_private_segment_fixed_size 0
		.amdhsa_kernarg_size 156
		.amdhsa_user_sgpr_count 14
		.amdhsa_user_sgpr_dispatch_ptr 1
		.amdhsa_user_sgpr_queue_ptr 0
		.amdhsa_user_sgpr_kernarg_segment_ptr 1
		.amdhsa_user_sgpr_dispatch_id 0
		.amdhsa_user_sgpr_private_segment_size 0
		.amdhsa_wavefront_size32 1
		.amdhsa_uses_dynamic_stack 0
		.amdhsa_enable_private_segment 0
		.amdhsa_system_sgpr_workgroup_id_x 1
		.amdhsa_system_sgpr_workgroup_id_y 1
		.amdhsa_system_sgpr_workgroup_id_z 0
		.amdhsa_system_sgpr_workgroup_info 0
		.amdhsa_system_vgpr_workitem_id 2
		.amdhsa_next_free_vgpr 52
		.amdhsa_next_free_sgpr 36
		.amdhsa_reserve_vcc 1
		.amdhsa_float_round_mode_32 0
		.amdhsa_float_round_mode_16_64 0
		.amdhsa_float_denorm_mode_32 3
		.amdhsa_float_denorm_mode_16_64 3
		.amdhsa_dx10_clamp 1
		.amdhsa_ieee_mode 1
		.amdhsa_fp16_overflow 0
		.amdhsa_workgroup_processor_mode 1
		.amdhsa_memory_ordered 1
		.amdhsa_forward_progress 0
		.amdhsa_shared_vgpr_count 0
		.amdhsa_exception_fp_ieee_invalid_op 0
		.amdhsa_exception_fp_denorm_src 0
		.amdhsa_exception_fp_ieee_div_zero 0
		.amdhsa_exception_fp_ieee_overflow 0
		.amdhsa_exception_fp_ieee_underflow 0
		.amdhsa_exception_fp_ieee_inexact 0
		.amdhsa_exception_int_div_zero 0
	.end_amdhsa_kernel
	.section	.text._ZN9rocsparseL31bsrmm_large_blockdim_kernel_extILj4ELj16ELj2Eii21rocsparse_complex_numIdES2_S2_S2_EEvb20rocsparse_direction_T3_S4_llNS_24const_host_device_scalarIT7_EEPKT2_PKS4_PKT4_S4_PKT5_llS7_PT6_ll16rocsparse_order_21rocsparse_index_base_b,"axG",@progbits,_ZN9rocsparseL31bsrmm_large_blockdim_kernel_extILj4ELj16ELj2Eii21rocsparse_complex_numIdES2_S2_S2_EEvb20rocsparse_direction_T3_S4_llNS_24const_host_device_scalarIT7_EEPKT2_PKS4_PKT4_S4_PKT5_llS7_PT6_ll16rocsparse_order_21rocsparse_index_base_b,comdat
.Lfunc_end37:
	.size	_ZN9rocsparseL31bsrmm_large_blockdim_kernel_extILj4ELj16ELj2Eii21rocsparse_complex_numIdES2_S2_S2_EEvb20rocsparse_direction_T3_S4_llNS_24const_host_device_scalarIT7_EEPKT2_PKS4_PKT4_S4_PKT5_llS7_PT6_ll16rocsparse_order_21rocsparse_index_base_b, .Lfunc_end37-_ZN9rocsparseL31bsrmm_large_blockdim_kernel_extILj4ELj16ELj2Eii21rocsparse_complex_numIdES2_S2_S2_EEvb20rocsparse_direction_T3_S4_llNS_24const_host_device_scalarIT7_EEPKT2_PKS4_PKT4_S4_PKT5_llS7_PT6_ll16rocsparse_order_21rocsparse_index_base_b
                                        ; -- End function
	.section	.AMDGPU.csdata,"",@progbits
; Kernel info:
; codeLenInByte = 3832
; NumSgprs: 38
; NumVgprs: 52
; ScratchSize: 0
; MemoryBound: 0
; FloatMode: 240
; IeeeMode: 1
; LDSByteSize: 3328 bytes/workgroup (compile time only)
; SGPRBlocks: 4
; VGPRBlocks: 6
; NumSGPRsForWavesPerEU: 38
; NumVGPRsForWavesPerEU: 52
; Occupancy: 16
; WaveLimiterHint : 1
; COMPUTE_PGM_RSRC2:SCRATCH_EN: 0
; COMPUTE_PGM_RSRC2:USER_SGPR: 14
; COMPUTE_PGM_RSRC2:TRAP_HANDLER: 0
; COMPUTE_PGM_RSRC2:TGID_X_EN: 1
; COMPUTE_PGM_RSRC2:TGID_Y_EN: 1
; COMPUTE_PGM_RSRC2:TGID_Z_EN: 0
; COMPUTE_PGM_RSRC2:TIDIG_COMP_CNT: 2
	.section	.text._ZN9rocsparseL31bsrmm_large_blockdim_kernel_extILj16ELj16ELj2Eii21rocsparse_complex_numIdES2_S2_S2_EEvb20rocsparse_direction_T3_S4_llNS_24const_host_device_scalarIT7_EEPKT2_PKS4_PKT4_S4_PKT5_llS7_PT6_ll16rocsparse_order_21rocsparse_index_base_b,"axG",@progbits,_ZN9rocsparseL31bsrmm_large_blockdim_kernel_extILj16ELj16ELj2Eii21rocsparse_complex_numIdES2_S2_S2_EEvb20rocsparse_direction_T3_S4_llNS_24const_host_device_scalarIT7_EEPKT2_PKS4_PKT4_S4_PKT5_llS7_PT6_ll16rocsparse_order_21rocsparse_index_base_b,comdat
	.globl	_ZN9rocsparseL31bsrmm_large_blockdim_kernel_extILj16ELj16ELj2Eii21rocsparse_complex_numIdES2_S2_S2_EEvb20rocsparse_direction_T3_S4_llNS_24const_host_device_scalarIT7_EEPKT2_PKS4_PKT4_S4_PKT5_llS7_PT6_ll16rocsparse_order_21rocsparse_index_base_b ; -- Begin function _ZN9rocsparseL31bsrmm_large_blockdim_kernel_extILj16ELj16ELj2Eii21rocsparse_complex_numIdES2_S2_S2_EEvb20rocsparse_direction_T3_S4_llNS_24const_host_device_scalarIT7_EEPKT2_PKS4_PKT4_S4_PKT5_llS7_PT6_ll16rocsparse_order_21rocsparse_index_base_b
	.p2align	8
	.type	_ZN9rocsparseL31bsrmm_large_blockdim_kernel_extILj16ELj16ELj2Eii21rocsparse_complex_numIdES2_S2_S2_EEvb20rocsparse_direction_T3_S4_llNS_24const_host_device_scalarIT7_EEPKT2_PKS4_PKT4_S4_PKT5_llS7_PT6_ll16rocsparse_order_21rocsparse_index_base_b,@function
_ZN9rocsparseL31bsrmm_large_blockdim_kernel_extILj16ELj16ELj2Eii21rocsparse_complex_numIdES2_S2_S2_EEvb20rocsparse_direction_T3_S4_llNS_24const_host_device_scalarIT7_EEPKT2_PKS4_PKT4_S4_PKT5_llS7_PT6_ll16rocsparse_order_21rocsparse_index_base_b: ; @_ZN9rocsparseL31bsrmm_large_blockdim_kernel_extILj16ELj16ELj2Eii21rocsparse_complex_numIdES2_S2_S2_EEvb20rocsparse_direction_T3_S4_llNS_24const_host_device_scalarIT7_EEPKT2_PKS4_PKT4_S4_PKT5_llS7_PT6_ll16rocsparse_order_21rocsparse_index_base_b
; %bb.0:
	s_clause 0x1
	s_load_b128 s[16:19], s[2:3], 0x90
	s_load_b128 s[8:11], s[2:3], 0x20
	s_load_b64 s[6:7], s[0:1], 0x4
	s_mov_b64 s[0:1], src_shared_base
	v_and_b32_e32 v1, 0x3ff, v0
	s_load_b128 s[20:23], s[2:3], 0x68
	v_bfe_u32 v2, v0, 10, 10
	v_bfe_u32 v0, v0, 20, 10
	s_mov_b32 s4, s15
	s_waitcnt lgkmcnt(0)
	s_bitcmp1_b32 s18, 0
	s_cselect_b32 s0, -1, 0
	s_delay_alu instid0(SALU_CYCLE_1)
	s_and_b32 vcc_lo, s0, exec_lo
	s_cselect_b32 s5, s1, s9
	s_lshr_b32 s6, s6, 16
	v_mov_b32_e32 v8, s5
	s_mul_i32 s6, s6, s7
	s_xor_b32 s5, s0, -1
	v_mul_lo_u32 v3, s6, v1
	s_delay_alu instid0(VALU_DEP_1) | instskip(NEXT) | instid1(VALU_DEP_1)
	v_mad_u32_u24 v3, v2, s7, v3
	v_add_lshl_u32 v0, v3, v0, 3
	v_mov_b32_e32 v3, s8
	v_dual_mov_b32 v5, s20 :: v_dual_mov_b32 v4, s9
	s_delay_alu instid0(VALU_DEP_3)
	v_dual_mov_b32 v6, s21 :: v_dual_add_nc_u32 v7, 0x3800, v0
	ds_store_2addr_stride64_b64 v0, v[5:6], v[3:4] offset0:24 offset1:28
	v_cndmask_b32_e64 v7, s8, v7, s0
	v_add_nc_u32_e32 v0, 0x3000, v0
	flat_load_b64 v[4:5], v[7:8]
	v_dual_mov_b32 v6, s10 :: v_dual_mov_b32 v7, s11
	s_cbranch_vccnz .LBB38_2
; %bb.1:
	v_dual_mov_b32 v6, s8 :: v_dual_mov_b32 v7, s9
	flat_load_b64 v[6:7], v[6:7] offset:8
.LBB38_2:
	s_and_b32 s6, s0, exec_lo
	s_cselect_b32 s1, s1, s21
	v_cndmask_b32_e64 v8, s20, v0, s0
	v_dual_mov_b32 v9, s1 :: v_dual_mov_b32 v10, s22
	v_mov_b32_e32 v11, s23
	s_and_not1_b32 vcc_lo, exec_lo, s5
	flat_load_b64 v[8:9], v[8:9]
	s_cbranch_vccnz .LBB38_4
; %bb.3:
	v_dual_mov_b32 v10, s20 :: v_dual_mov_b32 v11, s21
	flat_load_b64 v[10:11], v[10:11] offset:8
.LBB38_4:
	s_waitcnt vmcnt(1) lgkmcnt(1)
	v_cmp_eq_f64_e32 vcc_lo, 0, v[4:5]
	v_cmp_eq_f64_e64 s0, 0, v[6:7]
	s_delay_alu instid0(VALU_DEP_1)
	s_and_b32 s5, vcc_lo, s0
	s_mov_b32 s0, -1
	s_and_saveexec_b32 s1, s5
	s_cbranch_execz .LBB38_6
; %bb.5:
	s_waitcnt vmcnt(0) lgkmcnt(0)
	v_cmp_neq_f64_e32 vcc_lo, 1.0, v[8:9]
	v_cmp_neq_f64_e64 s0, 0, v[10:11]
	s_delay_alu instid0(VALU_DEP_1) | instskip(NEXT) | instid1(SALU_CYCLE_1)
	s_or_b32 s0, vcc_lo, s0
	s_or_not1_b32 s0, s0, exec_lo
.LBB38_6:
	s_or_b32 exec_lo, exec_lo, s1
	s_and_saveexec_b32 s1, s0
	s_cbranch_execz .LBB38_62
; %bb.7:
	s_clause 0x1
	s_load_b128 s[8:11], s[2:3], 0x0
	s_load_b64 s[0:1], s[2:3], 0x30
	s_mov_b32 s19, 0
	s_mov_b32 s12, 0
	s_waitcnt lgkmcnt(0)
	s_cmp_lt_i32 s14, s10
	s_cselect_b32 s18, -1, 0
	s_cmp_ge_i32 s14, s10
	s_cbranch_scc1 .LBB38_9
; %bb.8:
	s_ashr_i32 s15, s14, 31
	s_delay_alu instid0(SALU_CYCLE_1) | instskip(NEXT) | instid1(SALU_CYCLE_1)
	s_lshl_b64 s[6:7], s[14:15], 2
	s_add_u32 s6, s0, s6
	s_addc_u32 s7, s1, s7
	s_load_b32 s5, s[6:7], 0x0
	s_waitcnt lgkmcnt(0)
	s_sub_i32 s12, s5, s17
.LBB38_9:
	s_and_not1_b32 vcc_lo, exec_lo, s18
	s_cbranch_vccnz .LBB38_11
; %bb.10:
	s_ashr_i32 s15, s14, 31
	s_delay_alu instid0(SALU_CYCLE_1) | instskip(NEXT) | instid1(SALU_CYCLE_1)
	s_lshl_b64 s[6:7], s[14:15], 2
	s_add_u32 s0, s0, s6
	s_addc_u32 s1, s1, s7
	s_load_b32 s0, s[0:1], 0x4
	s_waitcnt lgkmcnt(0)
	s_sub_i32 s19, s0, s17
.LBB38_11:
	s_clause 0x1
	s_load_b32 s10, s[2:3], 0x48
	s_load_b64 s[6:7], s[2:3], 0x78
	v_lshl_add_u32 v14, s4, 5, v2
	v_mov_b32_e32 v24, 0
	v_mov_b32_e32 v25, 0
	s_cmp_ge_i32 s12, s19
	s_delay_alu instid0(VALU_DEP_3) | instskip(SKIP_1) | instid1(VALU_DEP_3)
	v_add_nc_u32_e32 v12, 16, v14
	v_cmp_gt_i32_e64 s1, s11, v14
	v_dual_mov_b32 v29, v25 :: v_dual_mov_b32 v28, v24
	v_dual_mov_b32 v18, v24 :: v_dual_mov_b32 v19, v25
	s_delay_alu instid0(VALU_DEP_4)
	v_cmp_gt_i32_e64 s4, s11, v12
	v_dual_mov_b32 v16, v24 :: v_dual_mov_b32 v17, v25
	s_waitcnt lgkmcnt(0)
	v_cmp_gt_i32_e64 s0, s10, v1
	s_cbranch_scc1 .LBB38_39
; %bb.12:
	s_clause 0x1
	s_load_b128 s[20:23], s[2:3], 0x50
	s_load_b128 s[24:27], s[2:3], 0x38
	v_cmp_gt_i32_e32 vcc_lo, s10, v2
	v_lshl_add_u32 v3, v1, 4, v2
	v_ashrrev_i32_e32 v15, 31, v14
	v_ashrrev_i32_e32 v13, 31, v12
	v_mad_u64_u32 v[16:17], null, v2, s10, v[1:2]
	s_and_b32 s15, s0, vcc_lo
	s_bitcmp1_b32 s8, 0
	v_mad_u64_u32 v[17:18], null, v1, s10, v[2:3]
	s_cselect_b32 s5, -1, 0
	s_cmp_eq_u32 s9, 0
	v_lshlrev_b32_e32 v0, 4, v2
	s_cselect_b32 vcc_lo, -1, 0
	v_lshlrev_b32_e32 v33, 8, v2
	s_add_i32 s9, s10, -1
	s_and_b32 s8, s10, 7
	v_add_lshl_u32 v30, v0, v1, 4
	v_cndmask_b32_e32 v0, v16, v17, vcc_lo
	s_waitcnt lgkmcnt(0)
	v_mul_lo_u32 v20, v14, s23
	v_mul_lo_u32 v21, v15, s22
	v_mad_u64_u32 v[18:19], null, v14, s22, 0
	v_mul_lo_u32 v24, v12, s23
	v_mul_lo_u32 v25, v13, s22
	v_mad_u64_u32 v[22:23], null, v12, s22, 0
	v_dual_mov_b32 v16, 0 :: v_dual_add_nc_u32 v35, 0x1000, v33
	v_add3_u32 v19, v19, v20, v21
	v_dual_mov_b32 v17, 0 :: v_dual_add_nc_u32 v32, 0x1000, v30
	s_cmp_gt_u32 s9, 6
	s_delay_alu instid0(VALU_DEP_4) | instskip(NEXT) | instid1(VALU_DEP_3)
	v_add3_u32 v23, v23, v24, v25
	v_lshlrev_b64 v[20:21], 4, v[18:19]
	s_delay_alu instid0(VALU_DEP_3)
	v_dual_mov_b32 v19, v17 :: v_dual_mov_b32 v18, v16
	v_mov_b32_e32 v29, v17
	v_lshl_add_u32 v31, v3, 4, 0x2000
	v_lshlrev_b64 v[2:3], 4, v[14:15]
	v_lshlrev_b64 v[22:23], 4, v[22:23]
	v_lshlrev_b64 v[26:27], 4, v[12:13]
	v_dual_mov_b32 v28, v16 :: v_dual_mov_b32 v25, v17
	s_cselect_b32 s9, -1, 0
	s_and_b32 s28, s10, -8
	v_lshl_add_u32 v34, v1, 8, 0x2000
	v_mov_b32_e32 v24, v16
	s_cmp_lg_u32 s8, 0
	s_mul_i32 s29, s10, s10
	s_cselect_b32 s30, -1, 0
	s_branch .LBB38_15
.LBB38_13:                              ;   in Loop: Header=BB38_15 Depth=1
	s_or_b32 exec_lo, exec_lo, s31
.LBB38_14:                              ;   in Loop: Header=BB38_15 Depth=1
	s_delay_alu instid0(SALU_CYCLE_1) | instskip(SKIP_1) | instid1(SALU_CYCLE_1)
	s_or_b32 exec_lo, exec_lo, s13
	s_add_i32 s12, s12, 1
	s_cmp_ge_i32 s12, s19
	s_barrier
	buffer_gl0_inv
	s_cbranch_scc1 .LBB38_39
.LBB38_15:                              ; =>This Loop Header: Depth=1
                                        ;     Child Loop BB38_26 Depth 2
                                        ;     Child Loop BB38_30 Depth 2
	;; [unrolled: 1-line block ×4, first 2 shown]
	s_and_saveexec_b32 s31, s0
	s_cbranch_execz .LBB38_20
; %bb.16:                               ;   in Loop: Header=BB38_15 Depth=1
	s_ashr_i32 s13, s12, 31
	s_delay_alu instid0(SALU_CYCLE_1) | instskip(NEXT) | instid1(SALU_CYCLE_1)
	s_lshl_b64 s[34:35], s[12:13], 2
	s_add_u32 s34, s24, s34
	s_addc_u32 s35, s25, s35
	s_load_b32 s13, s[34:35], 0x0
	s_waitcnt lgkmcnt(0)
	s_sub_i32 s13, s13, s17
	s_delay_alu instid0(SALU_CYCLE_1) | instskip(NEXT) | instid1(VALU_DEP_1)
	v_mad_u64_u32 v[36:37], null, s13, s10, v[1:2]
	v_ashrrev_i32_e32 v37, 31, v36
	v_mul_lo_u32 v13, v36, s23
	v_mad_u64_u32 v[38:39], null, v36, s22, 0
	s_delay_alu instid0(VALU_DEP_3) | instskip(SKIP_1) | instid1(VALU_DEP_2)
	v_mul_lo_u32 v15, v37, s22
	v_lshlrev_b64 v[36:37], 4, v[36:37]
	v_add3_u32 v39, v39, v13, v15
	s_delay_alu instid0(VALU_DEP_1) | instskip(NEXT) | instid1(VALU_DEP_1)
	v_lshlrev_b64 v[38:39], 4, v[38:39]
	v_add_co_u32 v13, vcc_lo, s20, v38
	s_delay_alu instid0(VALU_DEP_2)
	v_add_co_ci_u32_e32 v15, vcc_lo, s21, v39, vcc_lo
	v_add_co_u32 v36, vcc_lo, s20, v36
	v_add_co_ci_u32_e32 v37, vcc_lo, s21, v37, vcc_lo
	s_and_saveexec_b32 s13, s1
	s_cbranch_execz .LBB38_18
; %bb.17:                               ;   in Loop: Header=BB38_15 Depth=1
	v_add_co_u32 v38, vcc_lo, v13, v2
	v_add_co_ci_u32_e32 v39, vcc_lo, v15, v3, vcc_lo
	v_add_co_u32 v40, vcc_lo, v36, v20
	v_add_co_ci_u32_e32 v41, vcc_lo, v37, v21, vcc_lo
	s_delay_alu instid0(VALU_DEP_2) | instskip(NEXT) | instid1(VALU_DEP_2)
	v_cndmask_b32_e64 v38, v38, v40, s5
	v_cndmask_b32_e64 v39, v39, v41, s5
	global_load_b128 v[38:41], v[38:39], off
	s_waitcnt vmcnt(0)
	ds_store_2addr_b64 v30, v[38:39], v[40:41] offset1:1
.LBB38_18:                              ;   in Loop: Header=BB38_15 Depth=1
	s_or_b32 exec_lo, exec_lo, s13
	s_delay_alu instid0(SALU_CYCLE_1)
	s_and_b32 exec_lo, exec_lo, s4
	s_cbranch_execz .LBB38_20
; %bb.19:                               ;   in Loop: Header=BB38_15 Depth=1
	v_add_co_u32 v36, vcc_lo, v36, v22
	v_add_co_ci_u32_e32 v37, vcc_lo, v37, v23, vcc_lo
	v_add_co_u32 v13, vcc_lo, v13, v26
	v_add_co_ci_u32_e32 v15, vcc_lo, v15, v27, vcc_lo
	s_delay_alu instid0(VALU_DEP_2) | instskip(NEXT) | instid1(VALU_DEP_2)
	v_cndmask_b32_e64 v36, v13, v36, s5
	v_cndmask_b32_e64 v37, v15, v37, s5
	global_load_b128 v[36:39], v[36:37], off
	s_waitcnt vmcnt(0)
	ds_store_2addr_b64 v32, v[36:37], v[38:39] offset1:1
.LBB38_20:                              ;   in Loop: Header=BB38_15 Depth=1
	s_or_b32 exec_lo, exec_lo, s31
	s_and_saveexec_b32 s13, s15
	s_cbranch_execz .LBB38_22
; %bb.21:                               ;   in Loop: Header=BB38_15 Depth=1
	v_mad_u64_u32 v[36:37], null, s29, s12, v[0:1]
	s_delay_alu instid0(VALU_DEP_1) | instskip(NEXT) | instid1(VALU_DEP_1)
	v_ashrrev_i32_e32 v37, 31, v36
	v_lshlrev_b64 v[36:37], 4, v[36:37]
	s_delay_alu instid0(VALU_DEP_1) | instskip(NEXT) | instid1(VALU_DEP_2)
	v_add_co_u32 v36, vcc_lo, s26, v36
	v_add_co_ci_u32_e32 v37, vcc_lo, s27, v37, vcc_lo
	global_load_b128 v[36:39], v[36:37], off
	s_waitcnt vmcnt(0)
	ds_store_2addr_b64 v31, v[36:37], v[38:39] offset1:1
.LBB38_22:                              ;   in Loop: Header=BB38_15 Depth=1
	s_or_b32 exec_lo, exec_lo, s13
	s_waitcnt vmcnt(0) lgkmcnt(0)
	s_barrier
	buffer_gl0_inv
	s_and_saveexec_b32 s13, s0
	s_cbranch_execz .LBB38_14
; %bb.23:                               ;   in Loop: Header=BB38_15 Depth=1
	s_and_saveexec_b32 s31, s1
	s_cbranch_execz .LBB38_31
; %bb.24:                               ;   in Loop: Header=BB38_15 Depth=1
	s_and_not1_b32 vcc_lo, exec_lo, s9
	s_cbranch_vccnz .LBB38_28
; %bb.25:                               ;   in Loop: Header=BB38_15 Depth=1
	v_mov_b32_e32 v13, v34
	v_mov_b32_e32 v15, v33
	s_mov_b32 s33, 0
.LBB38_26:                              ;   Parent Loop BB38_15 Depth=1
                                        ; =>  This Inner Loop Header: Depth=2
	ds_load_b128 v[36:39], v15
	ds_load_b128 v[40:43], v13
	ds_load_b128 v[44:47], v13 offset:16
	ds_load_b128 v[48:51], v15 offset:16
	s_add_i32 s33, s33, 8
	s_delay_alu instid0(SALU_CYCLE_1) | instskip(SKIP_3) | instid1(VALU_DEP_2)
	s_cmp_lg_u32 s28, s33
	s_waitcnt lgkmcnt(2)
	v_fma_f64 v[24:25], v[40:41], v[36:37], v[24:25]
	v_fma_f64 v[28:29], v[42:43], v[36:37], v[28:29]
	v_fma_f64 v[24:25], -v[42:43], v[38:39], v[24:25]
	s_delay_alu instid0(VALU_DEP_2) | instskip(SKIP_1) | instid1(VALU_DEP_2)
	v_fma_f64 v[28:29], v[40:41], v[38:39], v[28:29]
	s_waitcnt lgkmcnt(0)
	v_fma_f64 v[24:25], v[44:45], v[48:49], v[24:25]
	s_delay_alu instid0(VALU_DEP_2) | instskip(NEXT) | instid1(VALU_DEP_2)
	v_fma_f64 v[28:29], v[46:47], v[48:49], v[28:29]
	v_fma_f64 v[24:25], -v[46:47], v[50:51], v[24:25]
	s_delay_alu instid0(VALU_DEP_2)
	v_fma_f64 v[28:29], v[44:45], v[50:51], v[28:29]
	ds_load_b128 v[36:39], v15 offset:32
	ds_load_b128 v[40:43], v13 offset:32
	;; [unrolled: 1-line block ×4, first 2 shown]
	s_waitcnt lgkmcnt(2)
	v_fma_f64 v[24:25], v[40:41], v[36:37], v[24:25]
	v_fma_f64 v[28:29], v[42:43], v[36:37], v[28:29]
	s_delay_alu instid0(VALU_DEP_2) | instskip(NEXT) | instid1(VALU_DEP_2)
	v_fma_f64 v[24:25], -v[42:43], v[38:39], v[24:25]
	v_fma_f64 v[28:29], v[40:41], v[38:39], v[28:29]
	s_waitcnt lgkmcnt(0)
	s_delay_alu instid0(VALU_DEP_2) | instskip(NEXT) | instid1(VALU_DEP_2)
	v_fma_f64 v[24:25], v[44:45], v[48:49], v[24:25]
	v_fma_f64 v[28:29], v[46:47], v[48:49], v[28:29]
	s_delay_alu instid0(VALU_DEP_2) | instskip(NEXT) | instid1(VALU_DEP_2)
	v_fma_f64 v[24:25], -v[46:47], v[50:51], v[24:25]
	v_fma_f64 v[28:29], v[44:45], v[50:51], v[28:29]
	ds_load_b128 v[36:39], v15 offset:64
	ds_load_b128 v[40:43], v13 offset:64
	;; [unrolled: 1-line block ×4, first 2 shown]
	s_waitcnt lgkmcnt(2)
	v_fma_f64 v[24:25], v[40:41], v[36:37], v[24:25]
	v_fma_f64 v[28:29], v[42:43], v[36:37], v[28:29]
	s_delay_alu instid0(VALU_DEP_2) | instskip(NEXT) | instid1(VALU_DEP_2)
	v_fma_f64 v[24:25], -v[42:43], v[38:39], v[24:25]
	v_fma_f64 v[28:29], v[40:41], v[38:39], v[28:29]
	s_waitcnt lgkmcnt(0)
	s_delay_alu instid0(VALU_DEP_2) | instskip(NEXT) | instid1(VALU_DEP_2)
	v_fma_f64 v[24:25], v[44:45], v[48:49], v[24:25]
	v_fma_f64 v[28:29], v[46:47], v[48:49], v[28:29]
	s_delay_alu instid0(VALU_DEP_2) | instskip(NEXT) | instid1(VALU_DEP_2)
	v_fma_f64 v[24:25], -v[46:47], v[50:51], v[24:25]
	v_fma_f64 v[28:29], v[44:45], v[50:51], v[28:29]
	ds_load_b128 v[36:39], v15 offset:96
	ds_load_b128 v[40:43], v13 offset:96
	;; [unrolled: 1-line block ×4, first 2 shown]
	v_add_nc_u32_e32 v15, 0x80, v15
	v_add_nc_u32_e32 v13, 0x80, v13
	s_waitcnt lgkmcnt(2)
	v_fma_f64 v[24:25], v[40:41], v[36:37], v[24:25]
	v_fma_f64 v[28:29], v[42:43], v[36:37], v[28:29]
	s_delay_alu instid0(VALU_DEP_2) | instskip(NEXT) | instid1(VALU_DEP_2)
	v_fma_f64 v[24:25], -v[42:43], v[38:39], v[24:25]
	v_fma_f64 v[28:29], v[40:41], v[38:39], v[28:29]
	s_waitcnt lgkmcnt(0)
	s_delay_alu instid0(VALU_DEP_2) | instskip(NEXT) | instid1(VALU_DEP_2)
	v_fma_f64 v[24:25], v[44:45], v[48:49], v[24:25]
	v_fma_f64 v[28:29], v[46:47], v[48:49], v[28:29]
	s_delay_alu instid0(VALU_DEP_2) | instskip(NEXT) | instid1(VALU_DEP_2)
	v_fma_f64 v[24:25], -v[46:47], v[50:51], v[24:25]
	v_fma_f64 v[28:29], v[44:45], v[50:51], v[28:29]
	s_cbranch_scc1 .LBB38_26
; %bb.27:                               ;   in Loop: Header=BB38_15 Depth=1
	s_mov_b32 s33, s28
	s_and_not1_b32 vcc_lo, exec_lo, s30
	s_cbranch_vccz .LBB38_29
	s_branch .LBB38_31
.LBB38_28:                              ;   in Loop: Header=BB38_15 Depth=1
	s_mov_b32 s33, 0
	s_and_not1_b32 vcc_lo, exec_lo, s30
	s_cbranch_vccnz .LBB38_31
.LBB38_29:                              ;   in Loop: Header=BB38_15 Depth=1
	s_lshl_b32 s33, s33, 4
	s_delay_alu instid0(SALU_CYCLE_1)
	v_add_nc_u32_e32 v13, s33, v33
	v_add_nc_u32_e32 v15, s33, v34
	s_mov_b32 s33, s8
	.p2align	6
.LBB38_30:                              ;   Parent Loop BB38_15 Depth=1
                                        ; =>  This Inner Loop Header: Depth=2
	ds_load_b128 v[36:39], v15
	ds_load_b128 v[40:43], v13
	v_add_nc_u32_e32 v13, 16, v13
	v_add_nc_u32_e32 v15, 16, v15
	s_add_i32 s33, s33, -1
	s_delay_alu instid0(SALU_CYCLE_1) | instskip(SKIP_3) | instid1(VALU_DEP_2)
	s_cmp_lg_u32 s33, 0
	s_waitcnt lgkmcnt(0)
	v_fma_f64 v[24:25], v[36:37], v[40:41], v[24:25]
	v_fma_f64 v[28:29], v[38:39], v[40:41], v[28:29]
	v_fma_f64 v[24:25], -v[38:39], v[42:43], v[24:25]
	s_delay_alu instid0(VALU_DEP_2)
	v_fma_f64 v[28:29], v[36:37], v[42:43], v[28:29]
	s_cbranch_scc1 .LBB38_30
.LBB38_31:                              ;   in Loop: Header=BB38_15 Depth=1
	s_or_b32 exec_lo, exec_lo, s31
	s_and_saveexec_b32 s31, s4
	s_cbranch_execz .LBB38_13
; %bb.32:                               ;   in Loop: Header=BB38_15 Depth=1
	s_and_not1_b32 vcc_lo, exec_lo, s9
	s_cbranch_vccnz .LBB38_36
; %bb.33:                               ;   in Loop: Header=BB38_15 Depth=1
	v_mov_b32_e32 v13, v34
	v_mov_b32_e32 v15, v35
	s_mov_b32 s33, 0
.LBB38_34:                              ;   Parent Loop BB38_15 Depth=1
                                        ; =>  This Inner Loop Header: Depth=2
	ds_load_b128 v[36:39], v15
	ds_load_b128 v[40:43], v13
	ds_load_b128 v[44:47], v13 offset:16
	ds_load_b128 v[48:51], v15 offset:16
	s_add_i32 s33, s33, 8
	s_delay_alu instid0(SALU_CYCLE_1) | instskip(SKIP_3) | instid1(VALU_DEP_2)
	s_cmp_lg_u32 s28, s33
	s_waitcnt lgkmcnt(2)
	v_fma_f64 v[18:19], v[40:41], v[36:37], v[18:19]
	v_fma_f64 v[16:17], v[42:43], v[36:37], v[16:17]
	v_fma_f64 v[18:19], -v[42:43], v[38:39], v[18:19]
	s_delay_alu instid0(VALU_DEP_2) | instskip(SKIP_1) | instid1(VALU_DEP_2)
	v_fma_f64 v[16:17], v[40:41], v[38:39], v[16:17]
	s_waitcnt lgkmcnt(0)
	v_fma_f64 v[18:19], v[44:45], v[48:49], v[18:19]
	s_delay_alu instid0(VALU_DEP_2) | instskip(NEXT) | instid1(VALU_DEP_2)
	v_fma_f64 v[16:17], v[46:47], v[48:49], v[16:17]
	v_fma_f64 v[48:49], -v[46:47], v[50:51], v[18:19]
	s_delay_alu instid0(VALU_DEP_2)
	v_fma_f64 v[50:51], v[44:45], v[50:51], v[16:17]
	ds_load_b128 v[16:19], v15 offset:32
	ds_load_b128 v[36:39], v13 offset:32
	;; [unrolled: 1-line block ×4, first 2 shown]
	s_waitcnt lgkmcnt(2)
	v_fma_f64 v[48:49], v[36:37], v[16:17], v[48:49]
	v_fma_f64 v[16:17], v[38:39], v[16:17], v[50:51]
	s_delay_alu instid0(VALU_DEP_2) | instskip(NEXT) | instid1(VALU_DEP_2)
	v_fma_f64 v[38:39], -v[38:39], v[18:19], v[48:49]
	v_fma_f64 v[16:17], v[36:37], v[18:19], v[16:17]
	s_waitcnt lgkmcnt(0)
	s_delay_alu instid0(VALU_DEP_2) | instskip(NEXT) | instid1(VALU_DEP_2)
	v_fma_f64 v[18:19], v[40:41], v[44:45], v[38:39]
	v_fma_f64 v[16:17], v[42:43], v[44:45], v[16:17]
	s_delay_alu instid0(VALU_DEP_2) | instskip(NEXT) | instid1(VALU_DEP_2)
	v_fma_f64 v[48:49], -v[42:43], v[46:47], v[18:19]
	v_fma_f64 v[50:51], v[40:41], v[46:47], v[16:17]
	ds_load_b128 v[16:19], v15 offset:64
	ds_load_b128 v[36:39], v13 offset:64
	;; [unrolled: 1-line block ×4, first 2 shown]
	s_waitcnt lgkmcnt(2)
	v_fma_f64 v[48:49], v[36:37], v[16:17], v[48:49]
	v_fma_f64 v[16:17], v[38:39], v[16:17], v[50:51]
	s_delay_alu instid0(VALU_DEP_2) | instskip(NEXT) | instid1(VALU_DEP_2)
	v_fma_f64 v[38:39], -v[38:39], v[18:19], v[48:49]
	v_fma_f64 v[16:17], v[36:37], v[18:19], v[16:17]
	s_waitcnt lgkmcnt(0)
	s_delay_alu instid0(VALU_DEP_2) | instskip(NEXT) | instid1(VALU_DEP_2)
	v_fma_f64 v[18:19], v[40:41], v[44:45], v[38:39]
	v_fma_f64 v[16:17], v[42:43], v[44:45], v[16:17]
	s_delay_alu instid0(VALU_DEP_2) | instskip(NEXT) | instid1(VALU_DEP_2)
	v_fma_f64 v[48:49], -v[42:43], v[46:47], v[18:19]
	v_fma_f64 v[50:51], v[40:41], v[46:47], v[16:17]
	ds_load_b128 v[16:19], v15 offset:96
	ds_load_b128 v[36:39], v13 offset:96
	;; [unrolled: 1-line block ×4, first 2 shown]
	v_add_nc_u32_e32 v15, 0x80, v15
	v_add_nc_u32_e32 v13, 0x80, v13
	s_waitcnt lgkmcnt(2)
	v_fma_f64 v[48:49], v[36:37], v[16:17], v[48:49]
	v_fma_f64 v[16:17], v[38:39], v[16:17], v[50:51]
	s_delay_alu instid0(VALU_DEP_2) | instskip(NEXT) | instid1(VALU_DEP_2)
	v_fma_f64 v[38:39], -v[38:39], v[18:19], v[48:49]
	v_fma_f64 v[16:17], v[36:37], v[18:19], v[16:17]
	s_waitcnt lgkmcnt(0)
	s_delay_alu instid0(VALU_DEP_2) | instskip(NEXT) | instid1(VALU_DEP_2)
	v_fma_f64 v[18:19], v[40:41], v[44:45], v[38:39]
	v_fma_f64 v[16:17], v[42:43], v[44:45], v[16:17]
	s_delay_alu instid0(VALU_DEP_2) | instskip(NEXT) | instid1(VALU_DEP_2)
	v_fma_f64 v[18:19], -v[42:43], v[46:47], v[18:19]
	v_fma_f64 v[16:17], v[40:41], v[46:47], v[16:17]
	s_cbranch_scc1 .LBB38_34
; %bb.35:                               ;   in Loop: Header=BB38_15 Depth=1
	s_mov_b32 s33, s28
	s_and_not1_b32 vcc_lo, exec_lo, s30
	s_cbranch_vccz .LBB38_37
	s_branch .LBB38_13
.LBB38_36:                              ;   in Loop: Header=BB38_15 Depth=1
	s_mov_b32 s33, 0
	s_and_not1_b32 vcc_lo, exec_lo, s30
	s_cbranch_vccnz .LBB38_13
.LBB38_37:                              ;   in Loop: Header=BB38_15 Depth=1
	s_lshl_b32 s33, s33, 4
	s_delay_alu instid0(SALU_CYCLE_1)
	v_add_nc_u32_e32 v13, s33, v35
	v_add_nc_u32_e32 v15, s33, v34
	s_mov_b32 s33, s8
	.p2align	6
.LBB38_38:                              ;   Parent Loop BB38_15 Depth=1
                                        ; =>  This Inner Loop Header: Depth=2
	ds_load_b128 v[36:39], v15
	ds_load_b128 v[40:43], v13
	v_add_nc_u32_e32 v13, 16, v13
	v_add_nc_u32_e32 v15, 16, v15
	s_add_i32 s33, s33, -1
	s_delay_alu instid0(SALU_CYCLE_1) | instskip(SKIP_3) | instid1(VALU_DEP_2)
	s_cmp_lg_u32 s33, 0
	s_waitcnt lgkmcnt(0)
	v_fma_f64 v[18:19], v[36:37], v[40:41], v[18:19]
	v_fma_f64 v[16:17], v[38:39], v[40:41], v[16:17]
	v_fma_f64 v[18:19], -v[38:39], v[42:43], v[18:19]
	s_delay_alu instid0(VALU_DEP_2)
	v_fma_f64 v[16:17], v[36:37], v[42:43], v[16:17]
	s_cbranch_scc1 .LBB38_38
	s_branch .LBB38_13
.LBB38_39:
	s_delay_alu instid0(VALU_DEP_1) | instskip(NEXT) | instid1(SALU_CYCLE_1)
	s_and_b32 s0, s18, s0
	s_and_b32 exec_lo, exec_lo, s0
	s_cbranch_execz .LBB38_62
; %bb.40:
	s_load_b64 s[2:3], s[2:3], 0x80
	s_waitcnt vmcnt(0)
	v_cmp_neq_f64_e32 vcc_lo, 0, v[8:9]
	v_cmp_neq_f64_e64 s0, 0, v[10:11]
	v_mad_u64_u32 v[2:3], null, s14, s10, v[1:2]
	s_mov_b32 s4, exec_lo
	s_delay_alu instid0(VALU_DEP_1) | instskip(SKIP_1) | instid1(VALU_DEP_1)
	v_ashrrev_i32_e32 v3, 31, v2
	s_waitcnt lgkmcnt(0)
	v_mul_lo_u32 v13, v3, s2
	v_mul_lo_u32 v15, v2, s3
	v_mad_u64_u32 v[0:1], null, v2, s2, 0
	v_lshlrev_b64 v[2:3], 4, v[2:3]
	s_delay_alu instid0(VALU_DEP_1) | instskip(NEXT) | instid1(VALU_DEP_3)
	v_add_co_u32 v20, s1, s6, v2
	v_add3_u32 v1, v1, v15, v13
	s_delay_alu instid0(VALU_DEP_3) | instskip(NEXT) | instid1(VALU_DEP_2)
	v_add_co_ci_u32_e64 v21, s1, s7, v3, s1
	v_lshlrev_b64 v[0:1], 4, v[0:1]
	s_or_b32 s1, vcc_lo, s0
	s_cmp_lg_u32 s16, 1
	s_delay_alu instid0(VALU_DEP_1) | instskip(NEXT) | instid1(VALU_DEP_2)
	v_add_co_u32 v22, vcc_lo, s6, v0
	v_add_co_ci_u32_e32 v23, vcc_lo, s7, v1, vcc_lo
	s_cselect_b32 s0, -1, 0
	v_cmpx_gt_i32_e64 s11, v14
	s_cbranch_execz .LBB38_51
; %bb.41:
	s_and_saveexec_b32 s5, s1
	s_delay_alu instid0(SALU_CYCLE_1)
	s_xor_b32 s5, exec_lo, s5
	s_cbranch_execz .LBB38_46
; %bb.42:
	v_ashrrev_i32_e32 v15, 31, v14
	s_and_b32 vcc_lo, exec_lo, s0
	s_mov_b32 s6, -1
	s_cbranch_vccz .LBB38_44
; %bb.43:
	s_delay_alu instid0(VALU_DEP_1) | instskip(SKIP_3) | instid1(VALU_DEP_3)
	v_lshlrev_b64 v[0:1], 4, v[14:15]
	v_mul_f64 v[30:31], v[28:29], -v[6:7]
	v_mul_f64 v[32:33], v[4:5], v[28:29]
	s_mov_b32 s6, 0
	v_add_co_u32 v26, vcc_lo, v22, v0
	s_delay_alu instid0(VALU_DEP_4) | instskip(SKIP_4) | instid1(VALU_DEP_2)
	v_add_co_ci_u32_e32 v27, vcc_lo, v23, v1, vcc_lo
	global_load_b128 v[0:3], v[26:27], off
	v_fma_f64 v[30:31], v[4:5], v[24:25], v[30:31]
	v_fma_f64 v[32:33], v[6:7], v[24:25], v[32:33]
	s_waitcnt vmcnt(0)
	v_fma_f64 v[30:31], v[8:9], v[0:1], v[30:31]
	s_delay_alu instid0(VALU_DEP_2) | instskip(NEXT) | instid1(VALU_DEP_2)
	v_fma_f64 v[32:33], v[10:11], v[0:1], v[32:33]
	v_fma_f64 v[0:1], -v[10:11], v[2:3], v[30:31]
	s_delay_alu instid0(VALU_DEP_2)
	v_fma_f64 v[2:3], v[8:9], v[2:3], v[32:33]
	global_store_b128 v[26:27], v[0:3], off
.LBB38_44:
	s_and_not1_b32 vcc_lo, exec_lo, s6
	s_cbranch_vccnz .LBB38_46
; %bb.45:
	v_mul_lo_u32 v2, v15, s2
	v_mul_lo_u32 v3, v14, s3
	v_mad_u64_u32 v[0:1], null, v14, s2, 0
	v_mul_f64 v[26:27], v[28:29], -v[6:7]
	v_mul_f64 v[28:29], v[4:5], v[28:29]
	s_delay_alu instid0(VALU_DEP_3) | instskip(NEXT) | instid1(VALU_DEP_1)
	v_add3_u32 v1, v1, v3, v2
	v_lshlrev_b64 v[0:1], 4, v[0:1]
	s_delay_alu instid0(VALU_DEP_1) | instskip(NEXT) | instid1(VALU_DEP_2)
	v_add_co_u32 v13, vcc_lo, v20, v0
	v_add_co_ci_u32_e32 v14, vcc_lo, v21, v1, vcc_lo
	global_load_b128 v[0:3], v[13:14], off
	v_fma_f64 v[26:27], v[4:5], v[24:25], v[26:27]
	v_fma_f64 v[24:25], v[6:7], v[24:25], v[28:29]
                                        ; implicit-def: $vgpr28_vgpr29
	s_waitcnt vmcnt(0)
	s_delay_alu instid0(VALU_DEP_2) | instskip(NEXT) | instid1(VALU_DEP_2)
	v_fma_f64 v[26:27], v[8:9], v[0:1], v[26:27]
	v_fma_f64 v[24:25], v[10:11], v[0:1], v[24:25]
	s_delay_alu instid0(VALU_DEP_2) | instskip(NEXT) | instid1(VALU_DEP_2)
	v_fma_f64 v[0:1], -v[10:11], v[2:3], v[26:27]
	v_fma_f64 v[2:3], v[8:9], v[2:3], v[24:25]
                                        ; implicit-def: $vgpr24_vgpr25
	global_store_b128 v[13:14], v[0:3], off
                                        ; implicit-def: $vgpr14
.LBB38_46:
	s_and_not1_saveexec_b32 s5, s5
	s_cbranch_execz .LBB38_51
; %bb.47:
	v_mul_f64 v[0:1], v[28:29], -v[6:7]
	v_mul_f64 v[2:3], v[4:5], v[28:29]
	v_ashrrev_i32_e32 v15, 31, v14
	s_and_b32 vcc_lo, exec_lo, s0
	s_mov_b32 s5, -1
	s_delay_alu instid0(VALU_DEP_3) | instskip(NEXT) | instid1(VALU_DEP_3)
	v_fma_f64 v[0:1], v[4:5], v[24:25], v[0:1]
	v_fma_f64 v[2:3], v[6:7], v[24:25], v[2:3]
	s_cbranch_vccz .LBB38_49
; %bb.48:
	v_lshlrev_b64 v[24:25], 4, v[14:15]
	s_mov_b32 s5, 0
	s_delay_alu instid0(VALU_DEP_1) | instskip(NEXT) | instid1(VALU_DEP_2)
	v_add_co_u32 v24, vcc_lo, v22, v24
	v_add_co_ci_u32_e32 v25, vcc_lo, v23, v25, vcc_lo
	global_store_b128 v[24:25], v[0:3], off
.LBB38_49:
	s_and_not1_b32 vcc_lo, exec_lo, s5
	s_cbranch_vccnz .LBB38_51
; %bb.50:
	v_mul_lo_u32 v13, v15, s2
	v_mul_lo_u32 v15, v14, s3
	v_mad_u64_u32 v[24:25], null, v14, s2, 0
	s_delay_alu instid0(VALU_DEP_1) | instskip(NEXT) | instid1(VALU_DEP_1)
	v_add3_u32 v25, v25, v15, v13
	v_lshlrev_b64 v[13:14], 4, v[24:25]
	s_delay_alu instid0(VALU_DEP_1) | instskip(NEXT) | instid1(VALU_DEP_2)
	v_add_co_u32 v13, vcc_lo, v20, v13
	v_add_co_ci_u32_e32 v14, vcc_lo, v21, v14, vcc_lo
	global_store_b128 v[13:14], v[0:3], off
.LBB38_51:
	s_or_b32 exec_lo, exec_lo, s4
	v_cmp_gt_i32_e32 vcc_lo, s11, v12
	s_and_b32 exec_lo, exec_lo, vcc_lo
	s_cbranch_execz .LBB38_62
; %bb.52:
	s_and_saveexec_b32 s4, s1
	s_delay_alu instid0(SALU_CYCLE_1)
	s_xor_b32 s1, exec_lo, s4
	s_cbranch_execz .LBB38_57
; %bb.53:
	v_ashrrev_i32_e32 v13, 31, v12
	s_and_not1_b32 vcc_lo, exec_lo, s0
	s_mov_b32 s4, -1
	s_cbranch_vccnz .LBB38_55
; %bb.54:
	s_delay_alu instid0(VALU_DEP_1) | instskip(SKIP_2) | instid1(VALU_DEP_2)
	v_lshlrev_b64 v[0:1], 4, v[12:13]
	v_mul_f64 v[24:25], v[4:5], v[16:17]
	s_mov_b32 s4, 0
	v_add_co_u32 v14, vcc_lo, v22, v0
	s_delay_alu instid0(VALU_DEP_3)
	v_add_co_ci_u32_e32 v15, vcc_lo, v23, v1, vcc_lo
	v_mul_f64 v[22:23], v[16:17], -v[6:7]
	global_load_b128 v[0:3], v[14:15], off
	v_fma_f64 v[24:25], v[6:7], v[18:19], v[24:25]
	v_fma_f64 v[22:23], v[4:5], v[18:19], v[22:23]
	s_waitcnt vmcnt(0)
	s_delay_alu instid0(VALU_DEP_1) | instskip(NEXT) | instid1(VALU_DEP_3)
	v_fma_f64 v[22:23], v[8:9], v[0:1], v[22:23]
	v_fma_f64 v[24:25], v[10:11], v[0:1], v[24:25]
	s_delay_alu instid0(VALU_DEP_2) | instskip(NEXT) | instid1(VALU_DEP_2)
	v_fma_f64 v[0:1], -v[10:11], v[2:3], v[22:23]
	v_fma_f64 v[2:3], v[8:9], v[2:3], v[24:25]
	global_store_b128 v[14:15], v[0:3], off
.LBB38_55:
	s_and_not1_b32 vcc_lo, exec_lo, s4
                                        ; implicit-def: $vgpr22
                                        ; implicit-def: $vgpr23
	s_cbranch_vccnz .LBB38_57
; %bb.56:
	v_mul_lo_u32 v2, v13, s2
	v_mul_lo_u32 v3, v12, s3
	v_mad_u64_u32 v[0:1], null, v12, s2, 0
	v_mul_f64 v[14:15], v[16:17], -v[6:7]
	v_mul_f64 v[16:17], v[4:5], v[16:17]
                                        ; implicit-def: $vgpr22
                                        ; implicit-def: $vgpr23
	s_delay_alu instid0(VALU_DEP_3) | instskip(NEXT) | instid1(VALU_DEP_1)
	v_add3_u32 v1, v1, v3, v2
	v_lshlrev_b64 v[0:1], 4, v[0:1]
	s_delay_alu instid0(VALU_DEP_1) | instskip(NEXT) | instid1(VALU_DEP_2)
	v_add_co_u32 v12, vcc_lo, v20, v0
	v_add_co_ci_u32_e32 v13, vcc_lo, v21, v1, vcc_lo
                                        ; implicit-def: $vgpr20
                                        ; implicit-def: $vgpr21
	global_load_b128 v[0:3], v[12:13], off
	v_fma_f64 v[4:5], v[4:5], v[18:19], v[14:15]
	v_fma_f64 v[6:7], v[6:7], v[18:19], v[16:17]
                                        ; implicit-def: $vgpr18_vgpr19
                                        ; implicit-def: $vgpr16_vgpr17
	s_waitcnt vmcnt(0)
	s_delay_alu instid0(VALU_DEP_2) | instskip(NEXT) | instid1(VALU_DEP_2)
	v_fma_f64 v[4:5], v[8:9], v[0:1], v[4:5]
	v_fma_f64 v[6:7], v[10:11], v[0:1], v[6:7]
	s_delay_alu instid0(VALU_DEP_2) | instskip(NEXT) | instid1(VALU_DEP_2)
	v_fma_f64 v[0:1], -v[10:11], v[2:3], v[4:5]
	v_fma_f64 v[2:3], v[8:9], v[2:3], v[6:7]
                                        ; implicit-def: $vgpr4_vgpr5
                                        ; implicit-def: $vgpr6_vgpr7
	global_store_b128 v[12:13], v[0:3], off
                                        ; implicit-def: $vgpr12
.LBB38_57:
	s_and_not1_saveexec_b32 s1, s1
	s_cbranch_execz .LBB38_62
; %bb.58:
	v_mul_f64 v[0:1], v[16:17], -v[6:7]
	v_mul_f64 v[2:3], v[4:5], v[16:17]
	v_ashrrev_i32_e32 v13, 31, v12
	s_and_not1_b32 vcc_lo, exec_lo, s0
	s_mov_b32 s0, -1
	s_delay_alu instid0(VALU_DEP_3) | instskip(NEXT) | instid1(VALU_DEP_3)
	v_fma_f64 v[0:1], v[4:5], v[18:19], v[0:1]
	v_fma_f64 v[2:3], v[6:7], v[18:19], v[2:3]
	s_cbranch_vccnz .LBB38_60
; %bb.59:
	v_lshlrev_b64 v[4:5], 4, v[12:13]
	s_mov_b32 s0, 0
	s_delay_alu instid0(VALU_DEP_1) | instskip(NEXT) | instid1(VALU_DEP_2)
	v_add_co_u32 v4, vcc_lo, v22, v4
	v_add_co_ci_u32_e32 v5, vcc_lo, v23, v5, vcc_lo
	global_store_b128 v[4:5], v[0:3], off
.LBB38_60:
	s_and_not1_b32 vcc_lo, exec_lo, s0
	s_cbranch_vccnz .LBB38_62
; %bb.61:
	v_mul_lo_u32 v6, v13, s2
	v_mul_lo_u32 v7, v12, s3
	v_mad_u64_u32 v[4:5], null, v12, s2, 0
	s_delay_alu instid0(VALU_DEP_1) | instskip(NEXT) | instid1(VALU_DEP_1)
	v_add3_u32 v5, v5, v7, v6
	v_lshlrev_b64 v[4:5], 4, v[4:5]
	s_delay_alu instid0(VALU_DEP_1) | instskip(NEXT) | instid1(VALU_DEP_2)
	v_add_co_u32 v4, vcc_lo, v20, v4
	v_add_co_ci_u32_e32 v5, vcc_lo, v21, v5, vcc_lo
	global_store_b128 v[4:5], v[0:3], off
.LBB38_62:
	s_nop 0
	s_sendmsg sendmsg(MSG_DEALLOC_VGPRS)
	s_endpgm
	.section	.rodata,"a",@progbits
	.p2align	6, 0x0
	.amdhsa_kernel _ZN9rocsparseL31bsrmm_large_blockdim_kernel_extILj16ELj16ELj2Eii21rocsparse_complex_numIdES2_S2_S2_EEvb20rocsparse_direction_T3_S4_llNS_24const_host_device_scalarIT7_EEPKT2_PKS4_PKT4_S4_PKT5_llS7_PT6_ll16rocsparse_order_21rocsparse_index_base_b
		.amdhsa_group_segment_fixed_size 16384
		.amdhsa_private_segment_fixed_size 0
		.amdhsa_kernarg_size 156
		.amdhsa_user_sgpr_count 14
		.amdhsa_user_sgpr_dispatch_ptr 1
		.amdhsa_user_sgpr_queue_ptr 0
		.amdhsa_user_sgpr_kernarg_segment_ptr 1
		.amdhsa_user_sgpr_dispatch_id 0
		.amdhsa_user_sgpr_private_segment_size 0
		.amdhsa_wavefront_size32 1
		.amdhsa_uses_dynamic_stack 0
		.amdhsa_enable_private_segment 0
		.amdhsa_system_sgpr_workgroup_id_x 1
		.amdhsa_system_sgpr_workgroup_id_y 1
		.amdhsa_system_sgpr_workgroup_id_z 0
		.amdhsa_system_sgpr_workgroup_info 0
		.amdhsa_system_vgpr_workitem_id 2
		.amdhsa_next_free_vgpr 52
		.amdhsa_next_free_sgpr 36
		.amdhsa_reserve_vcc 1
		.amdhsa_float_round_mode_32 0
		.amdhsa_float_round_mode_16_64 0
		.amdhsa_float_denorm_mode_32 3
		.amdhsa_float_denorm_mode_16_64 3
		.amdhsa_dx10_clamp 1
		.amdhsa_ieee_mode 1
		.amdhsa_fp16_overflow 0
		.amdhsa_workgroup_processor_mode 1
		.amdhsa_memory_ordered 1
		.amdhsa_forward_progress 0
		.amdhsa_shared_vgpr_count 0
		.amdhsa_exception_fp_ieee_invalid_op 0
		.amdhsa_exception_fp_denorm_src 0
		.amdhsa_exception_fp_ieee_div_zero 0
		.amdhsa_exception_fp_ieee_overflow 0
		.amdhsa_exception_fp_ieee_underflow 0
		.amdhsa_exception_fp_ieee_inexact 0
		.amdhsa_exception_int_div_zero 0
	.end_amdhsa_kernel
	.section	.text._ZN9rocsparseL31bsrmm_large_blockdim_kernel_extILj16ELj16ELj2Eii21rocsparse_complex_numIdES2_S2_S2_EEvb20rocsparse_direction_T3_S4_llNS_24const_host_device_scalarIT7_EEPKT2_PKS4_PKT4_S4_PKT5_llS7_PT6_ll16rocsparse_order_21rocsparse_index_base_b,"axG",@progbits,_ZN9rocsparseL31bsrmm_large_blockdim_kernel_extILj16ELj16ELj2Eii21rocsparse_complex_numIdES2_S2_S2_EEvb20rocsparse_direction_T3_S4_llNS_24const_host_device_scalarIT7_EEPKT2_PKS4_PKT4_S4_PKT5_llS7_PT6_ll16rocsparse_order_21rocsparse_index_base_b,comdat
.Lfunc_end38:
	.size	_ZN9rocsparseL31bsrmm_large_blockdim_kernel_extILj16ELj16ELj2Eii21rocsparse_complex_numIdES2_S2_S2_EEvb20rocsparse_direction_T3_S4_llNS_24const_host_device_scalarIT7_EEPKT2_PKS4_PKT4_S4_PKT5_llS7_PT6_ll16rocsparse_order_21rocsparse_index_base_b, .Lfunc_end38-_ZN9rocsparseL31bsrmm_large_blockdim_kernel_extILj16ELj16ELj2Eii21rocsparse_complex_numIdES2_S2_S2_EEvb20rocsparse_direction_T3_S4_llNS_24const_host_device_scalarIT7_EEPKT2_PKS4_PKT4_S4_PKT5_llS7_PT6_ll16rocsparse_order_21rocsparse_index_base_b
                                        ; -- End function
	.section	.AMDGPU.csdata,"",@progbits
; Kernel info:
; codeLenInByte = 3832
; NumSgprs: 38
; NumVgprs: 52
; ScratchSize: 0
; MemoryBound: 0
; FloatMode: 240
; IeeeMode: 1
; LDSByteSize: 16384 bytes/workgroup (compile time only)
; SGPRBlocks: 4
; VGPRBlocks: 6
; NumSGPRsForWavesPerEU: 38
; NumVGPRsForWavesPerEU: 52
; Occupancy: 16
; WaveLimiterHint : 1
; COMPUTE_PGM_RSRC2:SCRATCH_EN: 0
; COMPUTE_PGM_RSRC2:USER_SGPR: 14
; COMPUTE_PGM_RSRC2:TRAP_HANDLER: 0
; COMPUTE_PGM_RSRC2:TGID_X_EN: 1
; COMPUTE_PGM_RSRC2:TGID_Y_EN: 1
; COMPUTE_PGM_RSRC2:TGID_Z_EN: 0
; COMPUTE_PGM_RSRC2:TIDIG_COMP_CNT: 2
	.section	.text._ZN9rocsparseL31bsrmm_large_blockdim_kernel_extILj32ELj32ELj2Eii21rocsparse_complex_numIdES2_S2_S2_EEvb20rocsparse_direction_T3_S4_llNS_24const_host_device_scalarIT7_EEPKT2_PKS4_PKT4_S4_PKT5_llS7_PT6_ll16rocsparse_order_21rocsparse_index_base_b,"axG",@progbits,_ZN9rocsparseL31bsrmm_large_blockdim_kernel_extILj32ELj32ELj2Eii21rocsparse_complex_numIdES2_S2_S2_EEvb20rocsparse_direction_T3_S4_llNS_24const_host_device_scalarIT7_EEPKT2_PKS4_PKT4_S4_PKT5_llS7_PT6_ll16rocsparse_order_21rocsparse_index_base_b,comdat
	.globl	_ZN9rocsparseL31bsrmm_large_blockdim_kernel_extILj32ELj32ELj2Eii21rocsparse_complex_numIdES2_S2_S2_EEvb20rocsparse_direction_T3_S4_llNS_24const_host_device_scalarIT7_EEPKT2_PKS4_PKT4_S4_PKT5_llS7_PT6_ll16rocsparse_order_21rocsparse_index_base_b ; -- Begin function _ZN9rocsparseL31bsrmm_large_blockdim_kernel_extILj32ELj32ELj2Eii21rocsparse_complex_numIdES2_S2_S2_EEvb20rocsparse_direction_T3_S4_llNS_24const_host_device_scalarIT7_EEPKT2_PKS4_PKT4_S4_PKT5_llS7_PT6_ll16rocsparse_order_21rocsparse_index_base_b
	.p2align	8
	.type	_ZN9rocsparseL31bsrmm_large_blockdim_kernel_extILj32ELj32ELj2Eii21rocsparse_complex_numIdES2_S2_S2_EEvb20rocsparse_direction_T3_S4_llNS_24const_host_device_scalarIT7_EEPKT2_PKS4_PKT4_S4_PKT5_llS7_PT6_ll16rocsparse_order_21rocsparse_index_base_b,@function
_ZN9rocsparseL31bsrmm_large_blockdim_kernel_extILj32ELj32ELj2Eii21rocsparse_complex_numIdES2_S2_S2_EEvb20rocsparse_direction_T3_S4_llNS_24const_host_device_scalarIT7_EEPKT2_PKS4_PKT4_S4_PKT5_llS7_PT6_ll16rocsparse_order_21rocsparse_index_base_b: ; @_ZN9rocsparseL31bsrmm_large_blockdim_kernel_extILj32ELj32ELj2Eii21rocsparse_complex_numIdES2_S2_S2_EEvb20rocsparse_direction_T3_S4_llNS_24const_host_device_scalarIT7_EEPKT2_PKS4_PKT4_S4_PKT5_llS7_PT6_ll16rocsparse_order_21rocsparse_index_base_b
; %bb.0:
	s_clause 0x1
	s_load_b128 s[16:19], s[2:3], 0x90
	s_load_b128 s[8:11], s[2:3], 0x20
	s_load_b64 s[6:7], s[0:1], 0x4
	s_mov_b64 s[0:1], src_shared_base
	v_and_b32_e32 v1, 0x3ff, v0
	s_load_b128 s[20:23], s[2:3], 0x68
	v_bfe_u32 v2, v0, 10, 10
	v_bfe_u32 v0, v0, 20, 10
	s_mov_b32 s4, s15
	s_waitcnt lgkmcnt(0)
	s_bitcmp1_b32 s18, 0
	s_cselect_b32 s0, -1, 0
	s_delay_alu instid0(SALU_CYCLE_1)
	s_and_b32 vcc_lo, s0, exec_lo
	s_cselect_b32 s5, s1, s9
	s_lshr_b32 s6, s6, 16
	v_mov_b32_e32 v8, s5
	s_mul_i32 s6, s6, s7
	s_xor_b32 s5, s0, -1
	v_mul_lo_u32 v3, s6, v1
	s_delay_alu instid0(VALU_DEP_1) | instskip(NEXT) | instid1(VALU_DEP_1)
	v_mad_u32_u24 v3, v2, s7, v3
	v_add_lshl_u32 v0, v3, v0, 3
	v_mov_b32_e32 v3, s8
	v_dual_mov_b32 v5, s20 :: v_dual_mov_b32 v4, s9
	s_delay_alu instid0(VALU_DEP_3)
	v_dual_mov_b32 v6, s21 :: v_dual_add_nc_u32 v7, 0xe000, v0
	ds_store_2addr_stride64_b64 v0, v[5:6], v[3:4] offset0:96 offset1:112
	v_cndmask_b32_e64 v7, s8, v7, s0
	v_add_nc_u32_e32 v0, 0xc000, v0
	flat_load_b64 v[4:5], v[7:8]
	v_dual_mov_b32 v6, s10 :: v_dual_mov_b32 v7, s11
	s_cbranch_vccnz .LBB39_2
; %bb.1:
	v_dual_mov_b32 v6, s8 :: v_dual_mov_b32 v7, s9
	flat_load_b64 v[6:7], v[6:7] offset:8
.LBB39_2:
	s_and_b32 s6, s0, exec_lo
	s_cselect_b32 s1, s1, s21
	v_cndmask_b32_e64 v8, s20, v0, s0
	v_dual_mov_b32 v9, s1 :: v_dual_mov_b32 v10, s22
	v_mov_b32_e32 v11, s23
	s_and_not1_b32 vcc_lo, exec_lo, s5
	flat_load_b64 v[8:9], v[8:9]
	s_cbranch_vccnz .LBB39_4
; %bb.3:
	v_dual_mov_b32 v10, s20 :: v_dual_mov_b32 v11, s21
	flat_load_b64 v[10:11], v[10:11] offset:8
.LBB39_4:
	s_waitcnt vmcnt(1) lgkmcnt(1)
	v_cmp_eq_f64_e32 vcc_lo, 0, v[4:5]
	v_cmp_eq_f64_e64 s0, 0, v[6:7]
	s_delay_alu instid0(VALU_DEP_1)
	s_and_b32 s5, vcc_lo, s0
	s_mov_b32 s0, -1
	s_and_saveexec_b32 s1, s5
	s_cbranch_execz .LBB39_6
; %bb.5:
	s_waitcnt vmcnt(0) lgkmcnt(0)
	v_cmp_neq_f64_e32 vcc_lo, 1.0, v[8:9]
	v_cmp_neq_f64_e64 s0, 0, v[10:11]
	s_delay_alu instid0(VALU_DEP_1) | instskip(NEXT) | instid1(SALU_CYCLE_1)
	s_or_b32 s0, vcc_lo, s0
	s_or_not1_b32 s0, s0, exec_lo
.LBB39_6:
	s_or_b32 exec_lo, exec_lo, s1
	s_and_saveexec_b32 s1, s0
	s_cbranch_execz .LBB39_62
; %bb.7:
	s_clause 0x1
	s_load_b128 s[8:11], s[2:3], 0x0
	s_load_b64 s[0:1], s[2:3], 0x30
	s_mov_b32 s19, 0
	s_mov_b32 s12, 0
	s_waitcnt lgkmcnt(0)
	s_cmp_lt_i32 s14, s10
	s_cselect_b32 s18, -1, 0
	s_cmp_ge_i32 s14, s10
	s_cbranch_scc1 .LBB39_9
; %bb.8:
	s_ashr_i32 s15, s14, 31
	s_delay_alu instid0(SALU_CYCLE_1) | instskip(NEXT) | instid1(SALU_CYCLE_1)
	s_lshl_b64 s[6:7], s[14:15], 2
	s_add_u32 s6, s0, s6
	s_addc_u32 s7, s1, s7
	s_load_b32 s5, s[6:7], 0x0
	s_waitcnt lgkmcnt(0)
	s_sub_i32 s12, s5, s17
.LBB39_9:
	s_and_not1_b32 vcc_lo, exec_lo, s18
	s_cbranch_vccnz .LBB39_11
; %bb.10:
	s_ashr_i32 s15, s14, 31
	s_delay_alu instid0(SALU_CYCLE_1) | instskip(NEXT) | instid1(SALU_CYCLE_1)
	s_lshl_b64 s[6:7], s[14:15], 2
	s_add_u32 s0, s0, s6
	s_addc_u32 s1, s1, s7
	s_load_b32 s0, s[0:1], 0x4
	s_waitcnt lgkmcnt(0)
	s_sub_i32 s19, s0, s17
.LBB39_11:
	s_clause 0x1
	s_load_b32 s10, s[2:3], 0x48
	s_load_b64 s[6:7], s[2:3], 0x78
	v_lshl_add_u32 v14, s4, 6, v2
	v_mov_b32_e32 v24, 0
	v_mov_b32_e32 v25, 0
	s_cmp_ge_i32 s12, s19
	s_delay_alu instid0(VALU_DEP_3) | instskip(SKIP_1) | instid1(VALU_DEP_3)
	v_add_nc_u32_e32 v12, 32, v14
	v_cmp_gt_i32_e64 s1, s11, v14
	v_dual_mov_b32 v29, v25 :: v_dual_mov_b32 v28, v24
	v_dual_mov_b32 v18, v24 :: v_dual_mov_b32 v19, v25
	s_delay_alu instid0(VALU_DEP_4)
	v_cmp_gt_i32_e64 s4, s11, v12
	v_dual_mov_b32 v16, v24 :: v_dual_mov_b32 v17, v25
	s_waitcnt lgkmcnt(0)
	v_cmp_gt_i32_e64 s0, s10, v1
	s_cbranch_scc1 .LBB39_39
; %bb.12:
	s_clause 0x1
	s_load_b128 s[20:23], s[2:3], 0x50
	s_load_b128 s[24:27], s[2:3], 0x38
	v_cmp_gt_i32_e32 vcc_lo, s10, v2
	v_lshl_add_u32 v3, v1, 5, v2
	v_ashrrev_i32_e32 v15, 31, v14
	v_ashrrev_i32_e32 v13, 31, v12
	v_mad_u64_u32 v[16:17], null, v2, s10, v[1:2]
	s_and_b32 s15, s0, vcc_lo
	s_bitcmp1_b32 s8, 0
	v_mad_u64_u32 v[17:18], null, v1, s10, v[2:3]
	s_cselect_b32 s5, -1, 0
	s_cmp_eq_u32 s9, 0
	v_lshlrev_b32_e32 v0, 5, v2
	s_cselect_b32 vcc_lo, -1, 0
	v_lshlrev_b32_e32 v33, 9, v2
	s_add_i32 s9, s10, -1
	s_and_b32 s8, s10, 7
	v_add_lshl_u32 v30, v0, v1, 4
	v_cndmask_b32_e32 v0, v16, v17, vcc_lo
	s_waitcnt lgkmcnt(0)
	v_mul_lo_u32 v20, v14, s23
	v_mul_lo_u32 v21, v15, s22
	v_mad_u64_u32 v[18:19], null, v14, s22, 0
	v_mul_lo_u32 v24, v12, s23
	v_mul_lo_u32 v25, v13, s22
	v_mad_u64_u32 v[22:23], null, v12, s22, 0
	v_dual_mov_b32 v16, 0 :: v_dual_add_nc_u32 v35, 0x4000, v33
	v_add3_u32 v19, v19, v20, v21
	v_dual_mov_b32 v17, 0 :: v_dual_add_nc_u32 v32, 0x4000, v30
	s_cmp_gt_u32 s9, 6
	s_delay_alu instid0(VALU_DEP_4) | instskip(NEXT) | instid1(VALU_DEP_3)
	v_add3_u32 v23, v23, v24, v25
	v_lshlrev_b64 v[20:21], 4, v[18:19]
	s_delay_alu instid0(VALU_DEP_3)
	v_dual_mov_b32 v19, v17 :: v_dual_mov_b32 v18, v16
	v_mov_b32_e32 v29, v17
	v_lshl_add_u32 v31, v3, 4, 0x8000
	v_lshlrev_b64 v[2:3], 4, v[14:15]
	v_lshlrev_b64 v[22:23], 4, v[22:23]
	;; [unrolled: 1-line block ×3, first 2 shown]
	v_dual_mov_b32 v28, v16 :: v_dual_mov_b32 v25, v17
	s_cselect_b32 s9, -1, 0
	s_and_b32 s28, s10, -8
	v_lshl_add_u32 v34, v1, 9, 0x8000
	v_mov_b32_e32 v24, v16
	s_cmp_lg_u32 s8, 0
	s_mul_i32 s29, s10, s10
	s_cselect_b32 s30, -1, 0
	s_branch .LBB39_15
.LBB39_13:                              ;   in Loop: Header=BB39_15 Depth=1
	s_or_b32 exec_lo, exec_lo, s31
.LBB39_14:                              ;   in Loop: Header=BB39_15 Depth=1
	s_delay_alu instid0(SALU_CYCLE_1) | instskip(SKIP_1) | instid1(SALU_CYCLE_1)
	s_or_b32 exec_lo, exec_lo, s13
	s_add_i32 s12, s12, 1
	s_cmp_ge_i32 s12, s19
	s_barrier
	buffer_gl0_inv
	s_cbranch_scc1 .LBB39_39
.LBB39_15:                              ; =>This Loop Header: Depth=1
                                        ;     Child Loop BB39_26 Depth 2
                                        ;     Child Loop BB39_30 Depth 2
	;; [unrolled: 1-line block ×4, first 2 shown]
	s_and_saveexec_b32 s31, s0
	s_cbranch_execz .LBB39_20
; %bb.16:                               ;   in Loop: Header=BB39_15 Depth=1
	s_ashr_i32 s13, s12, 31
	s_delay_alu instid0(SALU_CYCLE_1) | instskip(NEXT) | instid1(SALU_CYCLE_1)
	s_lshl_b64 s[34:35], s[12:13], 2
	s_add_u32 s34, s24, s34
	s_addc_u32 s35, s25, s35
	s_load_b32 s13, s[34:35], 0x0
	s_waitcnt lgkmcnt(0)
	s_sub_i32 s13, s13, s17
	s_delay_alu instid0(SALU_CYCLE_1) | instskip(NEXT) | instid1(VALU_DEP_1)
	v_mad_u64_u32 v[36:37], null, s13, s10, v[1:2]
	v_ashrrev_i32_e32 v37, 31, v36
	v_mul_lo_u32 v13, v36, s23
	v_mad_u64_u32 v[38:39], null, v36, s22, 0
	s_delay_alu instid0(VALU_DEP_3) | instskip(SKIP_1) | instid1(VALU_DEP_2)
	v_mul_lo_u32 v15, v37, s22
	v_lshlrev_b64 v[36:37], 4, v[36:37]
	v_add3_u32 v39, v39, v13, v15
	s_delay_alu instid0(VALU_DEP_1) | instskip(NEXT) | instid1(VALU_DEP_1)
	v_lshlrev_b64 v[38:39], 4, v[38:39]
	v_add_co_u32 v13, vcc_lo, s20, v38
	s_delay_alu instid0(VALU_DEP_2)
	v_add_co_ci_u32_e32 v15, vcc_lo, s21, v39, vcc_lo
	v_add_co_u32 v36, vcc_lo, s20, v36
	v_add_co_ci_u32_e32 v37, vcc_lo, s21, v37, vcc_lo
	s_and_saveexec_b32 s13, s1
	s_cbranch_execz .LBB39_18
; %bb.17:                               ;   in Loop: Header=BB39_15 Depth=1
	v_add_co_u32 v38, vcc_lo, v13, v2
	v_add_co_ci_u32_e32 v39, vcc_lo, v15, v3, vcc_lo
	v_add_co_u32 v40, vcc_lo, v36, v20
	v_add_co_ci_u32_e32 v41, vcc_lo, v37, v21, vcc_lo
	s_delay_alu instid0(VALU_DEP_2) | instskip(NEXT) | instid1(VALU_DEP_2)
	v_cndmask_b32_e64 v38, v38, v40, s5
	v_cndmask_b32_e64 v39, v39, v41, s5
	global_load_b128 v[38:41], v[38:39], off
	s_waitcnt vmcnt(0)
	ds_store_2addr_b64 v30, v[38:39], v[40:41] offset1:1
.LBB39_18:                              ;   in Loop: Header=BB39_15 Depth=1
	s_or_b32 exec_lo, exec_lo, s13
	s_delay_alu instid0(SALU_CYCLE_1)
	s_and_b32 exec_lo, exec_lo, s4
	s_cbranch_execz .LBB39_20
; %bb.19:                               ;   in Loop: Header=BB39_15 Depth=1
	v_add_co_u32 v36, vcc_lo, v36, v22
	v_add_co_ci_u32_e32 v37, vcc_lo, v37, v23, vcc_lo
	v_add_co_u32 v13, vcc_lo, v13, v26
	v_add_co_ci_u32_e32 v15, vcc_lo, v15, v27, vcc_lo
	s_delay_alu instid0(VALU_DEP_2) | instskip(NEXT) | instid1(VALU_DEP_2)
	v_cndmask_b32_e64 v36, v13, v36, s5
	v_cndmask_b32_e64 v37, v15, v37, s5
	global_load_b128 v[36:39], v[36:37], off
	s_waitcnt vmcnt(0)
	ds_store_2addr_b64 v32, v[36:37], v[38:39] offset1:1
.LBB39_20:                              ;   in Loop: Header=BB39_15 Depth=1
	s_or_b32 exec_lo, exec_lo, s31
	s_and_saveexec_b32 s13, s15
	s_cbranch_execz .LBB39_22
; %bb.21:                               ;   in Loop: Header=BB39_15 Depth=1
	v_mad_u64_u32 v[36:37], null, s29, s12, v[0:1]
	s_delay_alu instid0(VALU_DEP_1) | instskip(NEXT) | instid1(VALU_DEP_1)
	v_ashrrev_i32_e32 v37, 31, v36
	v_lshlrev_b64 v[36:37], 4, v[36:37]
	s_delay_alu instid0(VALU_DEP_1) | instskip(NEXT) | instid1(VALU_DEP_2)
	v_add_co_u32 v36, vcc_lo, s26, v36
	v_add_co_ci_u32_e32 v37, vcc_lo, s27, v37, vcc_lo
	global_load_b128 v[36:39], v[36:37], off
	s_waitcnt vmcnt(0)
	ds_store_2addr_b64 v31, v[36:37], v[38:39] offset1:1
.LBB39_22:                              ;   in Loop: Header=BB39_15 Depth=1
	s_or_b32 exec_lo, exec_lo, s13
	s_waitcnt vmcnt(0) lgkmcnt(0)
	s_barrier
	buffer_gl0_inv
	s_and_saveexec_b32 s13, s0
	s_cbranch_execz .LBB39_14
; %bb.23:                               ;   in Loop: Header=BB39_15 Depth=1
	s_and_saveexec_b32 s31, s1
	s_cbranch_execz .LBB39_31
; %bb.24:                               ;   in Loop: Header=BB39_15 Depth=1
	s_and_not1_b32 vcc_lo, exec_lo, s9
	s_cbranch_vccnz .LBB39_28
; %bb.25:                               ;   in Loop: Header=BB39_15 Depth=1
	v_mov_b32_e32 v13, v34
	v_mov_b32_e32 v15, v33
	s_mov_b32 s33, 0
.LBB39_26:                              ;   Parent Loop BB39_15 Depth=1
                                        ; =>  This Inner Loop Header: Depth=2
	ds_load_b128 v[36:39], v15
	ds_load_b128 v[40:43], v13
	ds_load_b128 v[44:47], v13 offset:16
	ds_load_b128 v[48:51], v15 offset:16
	s_add_i32 s33, s33, 8
	s_delay_alu instid0(SALU_CYCLE_1) | instskip(SKIP_3) | instid1(VALU_DEP_2)
	s_cmp_lg_u32 s28, s33
	s_waitcnt lgkmcnt(2)
	v_fma_f64 v[24:25], v[40:41], v[36:37], v[24:25]
	v_fma_f64 v[28:29], v[42:43], v[36:37], v[28:29]
	v_fma_f64 v[24:25], -v[42:43], v[38:39], v[24:25]
	s_delay_alu instid0(VALU_DEP_2) | instskip(SKIP_1) | instid1(VALU_DEP_2)
	v_fma_f64 v[28:29], v[40:41], v[38:39], v[28:29]
	s_waitcnt lgkmcnt(0)
	v_fma_f64 v[24:25], v[44:45], v[48:49], v[24:25]
	s_delay_alu instid0(VALU_DEP_2) | instskip(NEXT) | instid1(VALU_DEP_2)
	v_fma_f64 v[28:29], v[46:47], v[48:49], v[28:29]
	v_fma_f64 v[24:25], -v[46:47], v[50:51], v[24:25]
	s_delay_alu instid0(VALU_DEP_2)
	v_fma_f64 v[28:29], v[44:45], v[50:51], v[28:29]
	ds_load_b128 v[36:39], v15 offset:32
	ds_load_b128 v[40:43], v13 offset:32
	;; [unrolled: 1-line block ×4, first 2 shown]
	s_waitcnt lgkmcnt(2)
	v_fma_f64 v[24:25], v[40:41], v[36:37], v[24:25]
	v_fma_f64 v[28:29], v[42:43], v[36:37], v[28:29]
	s_delay_alu instid0(VALU_DEP_2) | instskip(NEXT) | instid1(VALU_DEP_2)
	v_fma_f64 v[24:25], -v[42:43], v[38:39], v[24:25]
	v_fma_f64 v[28:29], v[40:41], v[38:39], v[28:29]
	s_waitcnt lgkmcnt(0)
	s_delay_alu instid0(VALU_DEP_2) | instskip(NEXT) | instid1(VALU_DEP_2)
	v_fma_f64 v[24:25], v[44:45], v[48:49], v[24:25]
	v_fma_f64 v[28:29], v[46:47], v[48:49], v[28:29]
	s_delay_alu instid0(VALU_DEP_2) | instskip(NEXT) | instid1(VALU_DEP_2)
	v_fma_f64 v[24:25], -v[46:47], v[50:51], v[24:25]
	v_fma_f64 v[28:29], v[44:45], v[50:51], v[28:29]
	ds_load_b128 v[36:39], v15 offset:64
	ds_load_b128 v[40:43], v13 offset:64
	;; [unrolled: 1-line block ×4, first 2 shown]
	s_waitcnt lgkmcnt(2)
	v_fma_f64 v[24:25], v[40:41], v[36:37], v[24:25]
	v_fma_f64 v[28:29], v[42:43], v[36:37], v[28:29]
	s_delay_alu instid0(VALU_DEP_2) | instskip(NEXT) | instid1(VALU_DEP_2)
	v_fma_f64 v[24:25], -v[42:43], v[38:39], v[24:25]
	v_fma_f64 v[28:29], v[40:41], v[38:39], v[28:29]
	s_waitcnt lgkmcnt(0)
	s_delay_alu instid0(VALU_DEP_2) | instskip(NEXT) | instid1(VALU_DEP_2)
	v_fma_f64 v[24:25], v[44:45], v[48:49], v[24:25]
	v_fma_f64 v[28:29], v[46:47], v[48:49], v[28:29]
	s_delay_alu instid0(VALU_DEP_2) | instskip(NEXT) | instid1(VALU_DEP_2)
	v_fma_f64 v[24:25], -v[46:47], v[50:51], v[24:25]
	v_fma_f64 v[28:29], v[44:45], v[50:51], v[28:29]
	ds_load_b128 v[36:39], v15 offset:96
	ds_load_b128 v[40:43], v13 offset:96
	;; [unrolled: 1-line block ×4, first 2 shown]
	v_add_nc_u32_e32 v15, 0x80, v15
	v_add_nc_u32_e32 v13, 0x80, v13
	s_waitcnt lgkmcnt(2)
	v_fma_f64 v[24:25], v[40:41], v[36:37], v[24:25]
	v_fma_f64 v[28:29], v[42:43], v[36:37], v[28:29]
	s_delay_alu instid0(VALU_DEP_2) | instskip(NEXT) | instid1(VALU_DEP_2)
	v_fma_f64 v[24:25], -v[42:43], v[38:39], v[24:25]
	v_fma_f64 v[28:29], v[40:41], v[38:39], v[28:29]
	s_waitcnt lgkmcnt(0)
	s_delay_alu instid0(VALU_DEP_2) | instskip(NEXT) | instid1(VALU_DEP_2)
	v_fma_f64 v[24:25], v[44:45], v[48:49], v[24:25]
	v_fma_f64 v[28:29], v[46:47], v[48:49], v[28:29]
	s_delay_alu instid0(VALU_DEP_2) | instskip(NEXT) | instid1(VALU_DEP_2)
	v_fma_f64 v[24:25], -v[46:47], v[50:51], v[24:25]
	v_fma_f64 v[28:29], v[44:45], v[50:51], v[28:29]
	s_cbranch_scc1 .LBB39_26
; %bb.27:                               ;   in Loop: Header=BB39_15 Depth=1
	s_mov_b32 s33, s28
	s_and_not1_b32 vcc_lo, exec_lo, s30
	s_cbranch_vccz .LBB39_29
	s_branch .LBB39_31
.LBB39_28:                              ;   in Loop: Header=BB39_15 Depth=1
	s_mov_b32 s33, 0
	s_and_not1_b32 vcc_lo, exec_lo, s30
	s_cbranch_vccnz .LBB39_31
.LBB39_29:                              ;   in Loop: Header=BB39_15 Depth=1
	s_lshl_b32 s33, s33, 4
	s_delay_alu instid0(SALU_CYCLE_1)
	v_add_nc_u32_e32 v13, s33, v33
	v_add_nc_u32_e32 v15, s33, v34
	s_mov_b32 s33, s8
	.p2align	6
.LBB39_30:                              ;   Parent Loop BB39_15 Depth=1
                                        ; =>  This Inner Loop Header: Depth=2
	ds_load_b128 v[36:39], v15
	ds_load_b128 v[40:43], v13
	v_add_nc_u32_e32 v13, 16, v13
	v_add_nc_u32_e32 v15, 16, v15
	s_add_i32 s33, s33, -1
	s_delay_alu instid0(SALU_CYCLE_1) | instskip(SKIP_3) | instid1(VALU_DEP_2)
	s_cmp_lg_u32 s33, 0
	s_waitcnt lgkmcnt(0)
	v_fma_f64 v[24:25], v[36:37], v[40:41], v[24:25]
	v_fma_f64 v[28:29], v[38:39], v[40:41], v[28:29]
	v_fma_f64 v[24:25], -v[38:39], v[42:43], v[24:25]
	s_delay_alu instid0(VALU_DEP_2)
	v_fma_f64 v[28:29], v[36:37], v[42:43], v[28:29]
	s_cbranch_scc1 .LBB39_30
.LBB39_31:                              ;   in Loop: Header=BB39_15 Depth=1
	s_or_b32 exec_lo, exec_lo, s31
	s_and_saveexec_b32 s31, s4
	s_cbranch_execz .LBB39_13
; %bb.32:                               ;   in Loop: Header=BB39_15 Depth=1
	s_and_not1_b32 vcc_lo, exec_lo, s9
	s_cbranch_vccnz .LBB39_36
; %bb.33:                               ;   in Loop: Header=BB39_15 Depth=1
	v_mov_b32_e32 v13, v34
	v_mov_b32_e32 v15, v35
	s_mov_b32 s33, 0
.LBB39_34:                              ;   Parent Loop BB39_15 Depth=1
                                        ; =>  This Inner Loop Header: Depth=2
	ds_load_b128 v[36:39], v15
	ds_load_b128 v[40:43], v13
	ds_load_b128 v[44:47], v13 offset:16
	ds_load_b128 v[48:51], v15 offset:16
	s_add_i32 s33, s33, 8
	s_delay_alu instid0(SALU_CYCLE_1) | instskip(SKIP_3) | instid1(VALU_DEP_2)
	s_cmp_lg_u32 s28, s33
	s_waitcnt lgkmcnt(2)
	v_fma_f64 v[18:19], v[40:41], v[36:37], v[18:19]
	v_fma_f64 v[16:17], v[42:43], v[36:37], v[16:17]
	v_fma_f64 v[18:19], -v[42:43], v[38:39], v[18:19]
	s_delay_alu instid0(VALU_DEP_2) | instskip(SKIP_1) | instid1(VALU_DEP_2)
	v_fma_f64 v[16:17], v[40:41], v[38:39], v[16:17]
	s_waitcnt lgkmcnt(0)
	v_fma_f64 v[18:19], v[44:45], v[48:49], v[18:19]
	s_delay_alu instid0(VALU_DEP_2) | instskip(NEXT) | instid1(VALU_DEP_2)
	v_fma_f64 v[16:17], v[46:47], v[48:49], v[16:17]
	v_fma_f64 v[48:49], -v[46:47], v[50:51], v[18:19]
	s_delay_alu instid0(VALU_DEP_2)
	v_fma_f64 v[50:51], v[44:45], v[50:51], v[16:17]
	ds_load_b128 v[16:19], v15 offset:32
	ds_load_b128 v[36:39], v13 offset:32
	;; [unrolled: 1-line block ×4, first 2 shown]
	s_waitcnt lgkmcnt(2)
	v_fma_f64 v[48:49], v[36:37], v[16:17], v[48:49]
	v_fma_f64 v[16:17], v[38:39], v[16:17], v[50:51]
	s_delay_alu instid0(VALU_DEP_2) | instskip(NEXT) | instid1(VALU_DEP_2)
	v_fma_f64 v[38:39], -v[38:39], v[18:19], v[48:49]
	v_fma_f64 v[16:17], v[36:37], v[18:19], v[16:17]
	s_waitcnt lgkmcnt(0)
	s_delay_alu instid0(VALU_DEP_2) | instskip(NEXT) | instid1(VALU_DEP_2)
	v_fma_f64 v[18:19], v[40:41], v[44:45], v[38:39]
	v_fma_f64 v[16:17], v[42:43], v[44:45], v[16:17]
	s_delay_alu instid0(VALU_DEP_2) | instskip(NEXT) | instid1(VALU_DEP_2)
	v_fma_f64 v[48:49], -v[42:43], v[46:47], v[18:19]
	v_fma_f64 v[50:51], v[40:41], v[46:47], v[16:17]
	ds_load_b128 v[16:19], v15 offset:64
	ds_load_b128 v[36:39], v13 offset:64
	;; [unrolled: 1-line block ×4, first 2 shown]
	s_waitcnt lgkmcnt(2)
	v_fma_f64 v[48:49], v[36:37], v[16:17], v[48:49]
	v_fma_f64 v[16:17], v[38:39], v[16:17], v[50:51]
	s_delay_alu instid0(VALU_DEP_2) | instskip(NEXT) | instid1(VALU_DEP_2)
	v_fma_f64 v[38:39], -v[38:39], v[18:19], v[48:49]
	v_fma_f64 v[16:17], v[36:37], v[18:19], v[16:17]
	s_waitcnt lgkmcnt(0)
	s_delay_alu instid0(VALU_DEP_2) | instskip(NEXT) | instid1(VALU_DEP_2)
	v_fma_f64 v[18:19], v[40:41], v[44:45], v[38:39]
	v_fma_f64 v[16:17], v[42:43], v[44:45], v[16:17]
	s_delay_alu instid0(VALU_DEP_2) | instskip(NEXT) | instid1(VALU_DEP_2)
	v_fma_f64 v[48:49], -v[42:43], v[46:47], v[18:19]
	v_fma_f64 v[50:51], v[40:41], v[46:47], v[16:17]
	ds_load_b128 v[16:19], v15 offset:96
	ds_load_b128 v[36:39], v13 offset:96
	;; [unrolled: 1-line block ×4, first 2 shown]
	v_add_nc_u32_e32 v15, 0x80, v15
	v_add_nc_u32_e32 v13, 0x80, v13
	s_waitcnt lgkmcnt(2)
	v_fma_f64 v[48:49], v[36:37], v[16:17], v[48:49]
	v_fma_f64 v[16:17], v[38:39], v[16:17], v[50:51]
	s_delay_alu instid0(VALU_DEP_2) | instskip(NEXT) | instid1(VALU_DEP_2)
	v_fma_f64 v[38:39], -v[38:39], v[18:19], v[48:49]
	v_fma_f64 v[16:17], v[36:37], v[18:19], v[16:17]
	s_waitcnt lgkmcnt(0)
	s_delay_alu instid0(VALU_DEP_2) | instskip(NEXT) | instid1(VALU_DEP_2)
	v_fma_f64 v[18:19], v[40:41], v[44:45], v[38:39]
	v_fma_f64 v[16:17], v[42:43], v[44:45], v[16:17]
	s_delay_alu instid0(VALU_DEP_2) | instskip(NEXT) | instid1(VALU_DEP_2)
	v_fma_f64 v[18:19], -v[42:43], v[46:47], v[18:19]
	v_fma_f64 v[16:17], v[40:41], v[46:47], v[16:17]
	s_cbranch_scc1 .LBB39_34
; %bb.35:                               ;   in Loop: Header=BB39_15 Depth=1
	s_mov_b32 s33, s28
	s_and_not1_b32 vcc_lo, exec_lo, s30
	s_cbranch_vccz .LBB39_37
	s_branch .LBB39_13
.LBB39_36:                              ;   in Loop: Header=BB39_15 Depth=1
	s_mov_b32 s33, 0
	s_and_not1_b32 vcc_lo, exec_lo, s30
	s_cbranch_vccnz .LBB39_13
.LBB39_37:                              ;   in Loop: Header=BB39_15 Depth=1
	s_lshl_b32 s33, s33, 4
	s_delay_alu instid0(SALU_CYCLE_1)
	v_add_nc_u32_e32 v13, s33, v35
	v_add_nc_u32_e32 v15, s33, v34
	s_mov_b32 s33, s8
	.p2align	6
.LBB39_38:                              ;   Parent Loop BB39_15 Depth=1
                                        ; =>  This Inner Loop Header: Depth=2
	ds_load_b128 v[36:39], v15
	ds_load_b128 v[40:43], v13
	v_add_nc_u32_e32 v13, 16, v13
	v_add_nc_u32_e32 v15, 16, v15
	s_add_i32 s33, s33, -1
	s_delay_alu instid0(SALU_CYCLE_1) | instskip(SKIP_3) | instid1(VALU_DEP_2)
	s_cmp_lg_u32 s33, 0
	s_waitcnt lgkmcnt(0)
	v_fma_f64 v[18:19], v[36:37], v[40:41], v[18:19]
	v_fma_f64 v[16:17], v[38:39], v[40:41], v[16:17]
	v_fma_f64 v[18:19], -v[38:39], v[42:43], v[18:19]
	s_delay_alu instid0(VALU_DEP_2)
	v_fma_f64 v[16:17], v[36:37], v[42:43], v[16:17]
	s_cbranch_scc1 .LBB39_38
	s_branch .LBB39_13
.LBB39_39:
	s_delay_alu instid0(VALU_DEP_1) | instskip(NEXT) | instid1(SALU_CYCLE_1)
	s_and_b32 s0, s18, s0
	s_and_b32 exec_lo, exec_lo, s0
	s_cbranch_execz .LBB39_62
; %bb.40:
	s_load_b64 s[2:3], s[2:3], 0x80
	s_waitcnt vmcnt(0)
	v_cmp_neq_f64_e32 vcc_lo, 0, v[8:9]
	v_cmp_neq_f64_e64 s0, 0, v[10:11]
	v_mad_u64_u32 v[2:3], null, s14, s10, v[1:2]
	s_mov_b32 s4, exec_lo
	s_delay_alu instid0(VALU_DEP_1) | instskip(SKIP_1) | instid1(VALU_DEP_1)
	v_ashrrev_i32_e32 v3, 31, v2
	s_waitcnt lgkmcnt(0)
	v_mul_lo_u32 v13, v3, s2
	v_mul_lo_u32 v15, v2, s3
	v_mad_u64_u32 v[0:1], null, v2, s2, 0
	v_lshlrev_b64 v[2:3], 4, v[2:3]
	s_delay_alu instid0(VALU_DEP_1) | instskip(NEXT) | instid1(VALU_DEP_3)
	v_add_co_u32 v20, s1, s6, v2
	v_add3_u32 v1, v1, v15, v13
	s_delay_alu instid0(VALU_DEP_3) | instskip(NEXT) | instid1(VALU_DEP_2)
	v_add_co_ci_u32_e64 v21, s1, s7, v3, s1
	v_lshlrev_b64 v[0:1], 4, v[0:1]
	s_or_b32 s1, vcc_lo, s0
	s_cmp_lg_u32 s16, 1
	s_delay_alu instid0(VALU_DEP_1) | instskip(NEXT) | instid1(VALU_DEP_2)
	v_add_co_u32 v22, vcc_lo, s6, v0
	v_add_co_ci_u32_e32 v23, vcc_lo, s7, v1, vcc_lo
	s_cselect_b32 s0, -1, 0
	v_cmpx_gt_i32_e64 s11, v14
	s_cbranch_execz .LBB39_51
; %bb.41:
	s_and_saveexec_b32 s5, s1
	s_delay_alu instid0(SALU_CYCLE_1)
	s_xor_b32 s5, exec_lo, s5
	s_cbranch_execz .LBB39_46
; %bb.42:
	v_ashrrev_i32_e32 v15, 31, v14
	s_and_b32 vcc_lo, exec_lo, s0
	s_mov_b32 s6, -1
	s_cbranch_vccz .LBB39_44
; %bb.43:
	s_delay_alu instid0(VALU_DEP_1) | instskip(SKIP_3) | instid1(VALU_DEP_3)
	v_lshlrev_b64 v[0:1], 4, v[14:15]
	v_mul_f64 v[30:31], v[28:29], -v[6:7]
	v_mul_f64 v[32:33], v[4:5], v[28:29]
	s_mov_b32 s6, 0
	v_add_co_u32 v26, vcc_lo, v22, v0
	s_delay_alu instid0(VALU_DEP_4) | instskip(SKIP_4) | instid1(VALU_DEP_2)
	v_add_co_ci_u32_e32 v27, vcc_lo, v23, v1, vcc_lo
	global_load_b128 v[0:3], v[26:27], off
	v_fma_f64 v[30:31], v[4:5], v[24:25], v[30:31]
	v_fma_f64 v[32:33], v[6:7], v[24:25], v[32:33]
	s_waitcnt vmcnt(0)
	v_fma_f64 v[30:31], v[8:9], v[0:1], v[30:31]
	s_delay_alu instid0(VALU_DEP_2) | instskip(NEXT) | instid1(VALU_DEP_2)
	v_fma_f64 v[32:33], v[10:11], v[0:1], v[32:33]
	v_fma_f64 v[0:1], -v[10:11], v[2:3], v[30:31]
	s_delay_alu instid0(VALU_DEP_2)
	v_fma_f64 v[2:3], v[8:9], v[2:3], v[32:33]
	global_store_b128 v[26:27], v[0:3], off
.LBB39_44:
	s_and_not1_b32 vcc_lo, exec_lo, s6
	s_cbranch_vccnz .LBB39_46
; %bb.45:
	v_mul_lo_u32 v2, v15, s2
	v_mul_lo_u32 v3, v14, s3
	v_mad_u64_u32 v[0:1], null, v14, s2, 0
	v_mul_f64 v[26:27], v[28:29], -v[6:7]
	v_mul_f64 v[28:29], v[4:5], v[28:29]
	s_delay_alu instid0(VALU_DEP_3) | instskip(NEXT) | instid1(VALU_DEP_1)
	v_add3_u32 v1, v1, v3, v2
	v_lshlrev_b64 v[0:1], 4, v[0:1]
	s_delay_alu instid0(VALU_DEP_1) | instskip(NEXT) | instid1(VALU_DEP_2)
	v_add_co_u32 v13, vcc_lo, v20, v0
	v_add_co_ci_u32_e32 v14, vcc_lo, v21, v1, vcc_lo
	global_load_b128 v[0:3], v[13:14], off
	v_fma_f64 v[26:27], v[4:5], v[24:25], v[26:27]
	v_fma_f64 v[24:25], v[6:7], v[24:25], v[28:29]
                                        ; implicit-def: $vgpr28_vgpr29
	s_waitcnt vmcnt(0)
	s_delay_alu instid0(VALU_DEP_2) | instskip(NEXT) | instid1(VALU_DEP_2)
	v_fma_f64 v[26:27], v[8:9], v[0:1], v[26:27]
	v_fma_f64 v[24:25], v[10:11], v[0:1], v[24:25]
	s_delay_alu instid0(VALU_DEP_2) | instskip(NEXT) | instid1(VALU_DEP_2)
	v_fma_f64 v[0:1], -v[10:11], v[2:3], v[26:27]
	v_fma_f64 v[2:3], v[8:9], v[2:3], v[24:25]
                                        ; implicit-def: $vgpr24_vgpr25
	global_store_b128 v[13:14], v[0:3], off
                                        ; implicit-def: $vgpr14
.LBB39_46:
	s_and_not1_saveexec_b32 s5, s5
	s_cbranch_execz .LBB39_51
; %bb.47:
	v_mul_f64 v[0:1], v[28:29], -v[6:7]
	v_mul_f64 v[2:3], v[4:5], v[28:29]
	v_ashrrev_i32_e32 v15, 31, v14
	s_and_b32 vcc_lo, exec_lo, s0
	s_mov_b32 s5, -1
	s_delay_alu instid0(VALU_DEP_3) | instskip(NEXT) | instid1(VALU_DEP_3)
	v_fma_f64 v[0:1], v[4:5], v[24:25], v[0:1]
	v_fma_f64 v[2:3], v[6:7], v[24:25], v[2:3]
	s_cbranch_vccz .LBB39_49
; %bb.48:
	v_lshlrev_b64 v[24:25], 4, v[14:15]
	s_mov_b32 s5, 0
	s_delay_alu instid0(VALU_DEP_1) | instskip(NEXT) | instid1(VALU_DEP_2)
	v_add_co_u32 v24, vcc_lo, v22, v24
	v_add_co_ci_u32_e32 v25, vcc_lo, v23, v25, vcc_lo
	global_store_b128 v[24:25], v[0:3], off
.LBB39_49:
	s_and_not1_b32 vcc_lo, exec_lo, s5
	s_cbranch_vccnz .LBB39_51
; %bb.50:
	v_mul_lo_u32 v13, v15, s2
	v_mul_lo_u32 v15, v14, s3
	v_mad_u64_u32 v[24:25], null, v14, s2, 0
	s_delay_alu instid0(VALU_DEP_1) | instskip(NEXT) | instid1(VALU_DEP_1)
	v_add3_u32 v25, v25, v15, v13
	v_lshlrev_b64 v[13:14], 4, v[24:25]
	s_delay_alu instid0(VALU_DEP_1) | instskip(NEXT) | instid1(VALU_DEP_2)
	v_add_co_u32 v13, vcc_lo, v20, v13
	v_add_co_ci_u32_e32 v14, vcc_lo, v21, v14, vcc_lo
	global_store_b128 v[13:14], v[0:3], off
.LBB39_51:
	s_or_b32 exec_lo, exec_lo, s4
	v_cmp_gt_i32_e32 vcc_lo, s11, v12
	s_and_b32 exec_lo, exec_lo, vcc_lo
	s_cbranch_execz .LBB39_62
; %bb.52:
	s_and_saveexec_b32 s4, s1
	s_delay_alu instid0(SALU_CYCLE_1)
	s_xor_b32 s1, exec_lo, s4
	s_cbranch_execz .LBB39_57
; %bb.53:
	v_ashrrev_i32_e32 v13, 31, v12
	s_and_not1_b32 vcc_lo, exec_lo, s0
	s_mov_b32 s4, -1
	s_cbranch_vccnz .LBB39_55
; %bb.54:
	s_delay_alu instid0(VALU_DEP_1) | instskip(SKIP_2) | instid1(VALU_DEP_2)
	v_lshlrev_b64 v[0:1], 4, v[12:13]
	v_mul_f64 v[24:25], v[4:5], v[16:17]
	s_mov_b32 s4, 0
	v_add_co_u32 v14, vcc_lo, v22, v0
	s_delay_alu instid0(VALU_DEP_3)
	v_add_co_ci_u32_e32 v15, vcc_lo, v23, v1, vcc_lo
	v_mul_f64 v[22:23], v[16:17], -v[6:7]
	global_load_b128 v[0:3], v[14:15], off
	v_fma_f64 v[24:25], v[6:7], v[18:19], v[24:25]
	v_fma_f64 v[22:23], v[4:5], v[18:19], v[22:23]
	s_waitcnt vmcnt(0)
	s_delay_alu instid0(VALU_DEP_1) | instskip(NEXT) | instid1(VALU_DEP_3)
	v_fma_f64 v[22:23], v[8:9], v[0:1], v[22:23]
	v_fma_f64 v[24:25], v[10:11], v[0:1], v[24:25]
	s_delay_alu instid0(VALU_DEP_2) | instskip(NEXT) | instid1(VALU_DEP_2)
	v_fma_f64 v[0:1], -v[10:11], v[2:3], v[22:23]
	v_fma_f64 v[2:3], v[8:9], v[2:3], v[24:25]
	global_store_b128 v[14:15], v[0:3], off
.LBB39_55:
	s_and_not1_b32 vcc_lo, exec_lo, s4
                                        ; implicit-def: $vgpr22
                                        ; implicit-def: $vgpr23
	s_cbranch_vccnz .LBB39_57
; %bb.56:
	v_mul_lo_u32 v2, v13, s2
	v_mul_lo_u32 v3, v12, s3
	v_mad_u64_u32 v[0:1], null, v12, s2, 0
	v_mul_f64 v[14:15], v[16:17], -v[6:7]
	v_mul_f64 v[16:17], v[4:5], v[16:17]
                                        ; implicit-def: $vgpr22
                                        ; implicit-def: $vgpr23
	s_delay_alu instid0(VALU_DEP_3) | instskip(NEXT) | instid1(VALU_DEP_1)
	v_add3_u32 v1, v1, v3, v2
	v_lshlrev_b64 v[0:1], 4, v[0:1]
	s_delay_alu instid0(VALU_DEP_1) | instskip(NEXT) | instid1(VALU_DEP_2)
	v_add_co_u32 v12, vcc_lo, v20, v0
	v_add_co_ci_u32_e32 v13, vcc_lo, v21, v1, vcc_lo
                                        ; implicit-def: $vgpr20
                                        ; implicit-def: $vgpr21
	global_load_b128 v[0:3], v[12:13], off
	v_fma_f64 v[4:5], v[4:5], v[18:19], v[14:15]
	v_fma_f64 v[6:7], v[6:7], v[18:19], v[16:17]
                                        ; implicit-def: $vgpr18_vgpr19
                                        ; implicit-def: $vgpr16_vgpr17
	s_waitcnt vmcnt(0)
	s_delay_alu instid0(VALU_DEP_2) | instskip(NEXT) | instid1(VALU_DEP_2)
	v_fma_f64 v[4:5], v[8:9], v[0:1], v[4:5]
	v_fma_f64 v[6:7], v[10:11], v[0:1], v[6:7]
	s_delay_alu instid0(VALU_DEP_2) | instskip(NEXT) | instid1(VALU_DEP_2)
	v_fma_f64 v[0:1], -v[10:11], v[2:3], v[4:5]
	v_fma_f64 v[2:3], v[8:9], v[2:3], v[6:7]
                                        ; implicit-def: $vgpr4_vgpr5
                                        ; implicit-def: $vgpr6_vgpr7
	global_store_b128 v[12:13], v[0:3], off
                                        ; implicit-def: $vgpr12
.LBB39_57:
	s_and_not1_saveexec_b32 s1, s1
	s_cbranch_execz .LBB39_62
; %bb.58:
	v_mul_f64 v[0:1], v[16:17], -v[6:7]
	v_mul_f64 v[2:3], v[4:5], v[16:17]
	v_ashrrev_i32_e32 v13, 31, v12
	s_and_not1_b32 vcc_lo, exec_lo, s0
	s_mov_b32 s0, -1
	s_delay_alu instid0(VALU_DEP_3) | instskip(NEXT) | instid1(VALU_DEP_3)
	v_fma_f64 v[0:1], v[4:5], v[18:19], v[0:1]
	v_fma_f64 v[2:3], v[6:7], v[18:19], v[2:3]
	s_cbranch_vccnz .LBB39_60
; %bb.59:
	v_lshlrev_b64 v[4:5], 4, v[12:13]
	s_mov_b32 s0, 0
	s_delay_alu instid0(VALU_DEP_1) | instskip(NEXT) | instid1(VALU_DEP_2)
	v_add_co_u32 v4, vcc_lo, v22, v4
	v_add_co_ci_u32_e32 v5, vcc_lo, v23, v5, vcc_lo
	global_store_b128 v[4:5], v[0:3], off
.LBB39_60:
	s_and_not1_b32 vcc_lo, exec_lo, s0
	s_cbranch_vccnz .LBB39_62
; %bb.61:
	v_mul_lo_u32 v6, v13, s2
	v_mul_lo_u32 v7, v12, s3
	v_mad_u64_u32 v[4:5], null, v12, s2, 0
	s_delay_alu instid0(VALU_DEP_1) | instskip(NEXT) | instid1(VALU_DEP_1)
	v_add3_u32 v5, v5, v7, v6
	v_lshlrev_b64 v[4:5], 4, v[4:5]
	s_delay_alu instid0(VALU_DEP_1) | instskip(NEXT) | instid1(VALU_DEP_2)
	v_add_co_u32 v4, vcc_lo, v20, v4
	v_add_co_ci_u32_e32 v5, vcc_lo, v21, v5, vcc_lo
	global_store_b128 v[4:5], v[0:3], off
.LBB39_62:
	s_nop 0
	s_sendmsg sendmsg(MSG_DEALLOC_VGPRS)
	s_endpgm
	.section	.rodata,"a",@progbits
	.p2align	6, 0x0
	.amdhsa_kernel _ZN9rocsparseL31bsrmm_large_blockdim_kernel_extILj32ELj32ELj2Eii21rocsparse_complex_numIdES2_S2_S2_EEvb20rocsparse_direction_T3_S4_llNS_24const_host_device_scalarIT7_EEPKT2_PKS4_PKT4_S4_PKT5_llS7_PT6_ll16rocsparse_order_21rocsparse_index_base_b
		.amdhsa_group_segment_fixed_size 65536
		.amdhsa_private_segment_fixed_size 0
		.amdhsa_kernarg_size 156
		.amdhsa_user_sgpr_count 14
		.amdhsa_user_sgpr_dispatch_ptr 1
		.amdhsa_user_sgpr_queue_ptr 0
		.amdhsa_user_sgpr_kernarg_segment_ptr 1
		.amdhsa_user_sgpr_dispatch_id 0
		.amdhsa_user_sgpr_private_segment_size 0
		.amdhsa_wavefront_size32 1
		.amdhsa_uses_dynamic_stack 0
		.amdhsa_enable_private_segment 0
		.amdhsa_system_sgpr_workgroup_id_x 1
		.amdhsa_system_sgpr_workgroup_id_y 1
		.amdhsa_system_sgpr_workgroup_id_z 0
		.amdhsa_system_sgpr_workgroup_info 0
		.amdhsa_system_vgpr_workitem_id 2
		.amdhsa_next_free_vgpr 52
		.amdhsa_next_free_sgpr 36
		.amdhsa_reserve_vcc 1
		.amdhsa_float_round_mode_32 0
		.amdhsa_float_round_mode_16_64 0
		.amdhsa_float_denorm_mode_32 3
		.amdhsa_float_denorm_mode_16_64 3
		.amdhsa_dx10_clamp 1
		.amdhsa_ieee_mode 1
		.amdhsa_fp16_overflow 0
		.amdhsa_workgroup_processor_mode 1
		.amdhsa_memory_ordered 1
		.amdhsa_forward_progress 0
		.amdhsa_shared_vgpr_count 0
		.amdhsa_exception_fp_ieee_invalid_op 0
		.amdhsa_exception_fp_denorm_src 0
		.amdhsa_exception_fp_ieee_div_zero 0
		.amdhsa_exception_fp_ieee_overflow 0
		.amdhsa_exception_fp_ieee_underflow 0
		.amdhsa_exception_fp_ieee_inexact 0
		.amdhsa_exception_int_div_zero 0
	.end_amdhsa_kernel
	.section	.text._ZN9rocsparseL31bsrmm_large_blockdim_kernel_extILj32ELj32ELj2Eii21rocsparse_complex_numIdES2_S2_S2_EEvb20rocsparse_direction_T3_S4_llNS_24const_host_device_scalarIT7_EEPKT2_PKS4_PKT4_S4_PKT5_llS7_PT6_ll16rocsparse_order_21rocsparse_index_base_b,"axG",@progbits,_ZN9rocsparseL31bsrmm_large_blockdim_kernel_extILj32ELj32ELj2Eii21rocsparse_complex_numIdES2_S2_S2_EEvb20rocsparse_direction_T3_S4_llNS_24const_host_device_scalarIT7_EEPKT2_PKS4_PKT4_S4_PKT5_llS7_PT6_ll16rocsparse_order_21rocsparse_index_base_b,comdat
.Lfunc_end39:
	.size	_ZN9rocsparseL31bsrmm_large_blockdim_kernel_extILj32ELj32ELj2Eii21rocsparse_complex_numIdES2_S2_S2_EEvb20rocsparse_direction_T3_S4_llNS_24const_host_device_scalarIT7_EEPKT2_PKS4_PKT4_S4_PKT5_llS7_PT6_ll16rocsparse_order_21rocsparse_index_base_b, .Lfunc_end39-_ZN9rocsparseL31bsrmm_large_blockdim_kernel_extILj32ELj32ELj2Eii21rocsparse_complex_numIdES2_S2_S2_EEvb20rocsparse_direction_T3_S4_llNS_24const_host_device_scalarIT7_EEPKT2_PKS4_PKT4_S4_PKT5_llS7_PT6_ll16rocsparse_order_21rocsparse_index_base_b
                                        ; -- End function
	.section	.AMDGPU.csdata,"",@progbits
; Kernel info:
; codeLenInByte = 3832
; NumSgprs: 38
; NumVgprs: 52
; ScratchSize: 0
; MemoryBound: 0
; FloatMode: 240
; IeeeMode: 1
; LDSByteSize: 65536 bytes/workgroup (compile time only)
; SGPRBlocks: 4
; VGPRBlocks: 6
; NumSGPRsForWavesPerEU: 38
; NumVGPRsForWavesPerEU: 52
; Occupancy: 16
; WaveLimiterHint : 1
; COMPUTE_PGM_RSRC2:SCRATCH_EN: 0
; COMPUTE_PGM_RSRC2:USER_SGPR: 14
; COMPUTE_PGM_RSRC2:TRAP_HANDLER: 0
; COMPUTE_PGM_RSRC2:TGID_X_EN: 1
; COMPUTE_PGM_RSRC2:TGID_Y_EN: 1
; COMPUTE_PGM_RSRC2:TGID_Z_EN: 0
; COMPUTE_PGM_RSRC2:TIDIG_COMP_CNT: 2
	.section	.text._ZN9rocsparseL31bsrmm_large_blockdim_kernel_extILj8ELj8ELj2Eli21rocsparse_complex_numIdES2_S2_S2_EEvb20rocsparse_direction_T3_S4_llNS_24const_host_device_scalarIT7_EEPKT2_PKS4_PKT4_S4_PKT5_llS7_PT6_ll16rocsparse_order_21rocsparse_index_base_b,"axG",@progbits,_ZN9rocsparseL31bsrmm_large_blockdim_kernel_extILj8ELj8ELj2Eli21rocsparse_complex_numIdES2_S2_S2_EEvb20rocsparse_direction_T3_S4_llNS_24const_host_device_scalarIT7_EEPKT2_PKS4_PKT4_S4_PKT5_llS7_PT6_ll16rocsparse_order_21rocsparse_index_base_b,comdat
	.globl	_ZN9rocsparseL31bsrmm_large_blockdim_kernel_extILj8ELj8ELj2Eli21rocsparse_complex_numIdES2_S2_S2_EEvb20rocsparse_direction_T3_S4_llNS_24const_host_device_scalarIT7_EEPKT2_PKS4_PKT4_S4_PKT5_llS7_PT6_ll16rocsparse_order_21rocsparse_index_base_b ; -- Begin function _ZN9rocsparseL31bsrmm_large_blockdim_kernel_extILj8ELj8ELj2Eli21rocsparse_complex_numIdES2_S2_S2_EEvb20rocsparse_direction_T3_S4_llNS_24const_host_device_scalarIT7_EEPKT2_PKS4_PKT4_S4_PKT5_llS7_PT6_ll16rocsparse_order_21rocsparse_index_base_b
	.p2align	8
	.type	_ZN9rocsparseL31bsrmm_large_blockdim_kernel_extILj8ELj8ELj2Eli21rocsparse_complex_numIdES2_S2_S2_EEvb20rocsparse_direction_T3_S4_llNS_24const_host_device_scalarIT7_EEPKT2_PKS4_PKT4_S4_PKT5_llS7_PT6_ll16rocsparse_order_21rocsparse_index_base_b,@function
_ZN9rocsparseL31bsrmm_large_blockdim_kernel_extILj8ELj8ELj2Eli21rocsparse_complex_numIdES2_S2_S2_EEvb20rocsparse_direction_T3_S4_llNS_24const_host_device_scalarIT7_EEPKT2_PKS4_PKT4_S4_PKT5_llS7_PT6_ll16rocsparse_order_21rocsparse_index_base_b: ; @_ZN9rocsparseL31bsrmm_large_blockdim_kernel_extILj8ELj8ELj2Eli21rocsparse_complex_numIdES2_S2_S2_EEvb20rocsparse_direction_T3_S4_llNS_24const_host_device_scalarIT7_EEPKT2_PKS4_PKT4_S4_PKT5_llS7_PT6_ll16rocsparse_order_21rocsparse_index_base_b
; %bb.0:
	s_load_b128 s[16:19], s[2:3], 0x90
	s_load_b64 s[6:7], s[0:1], 0x4
	s_load_b128 s[20:23], s[2:3], 0x20
	v_bfe_u32 v2, v0, 10, 10
	s_mov_b64 s[0:1], src_shared_base
	s_load_b128 s[8:11], s[2:3], 0x68
	v_and_b32_e32 v1, 0x3ff, v0
	v_bfe_u32 v0, v0, 20, 10
	s_mov_b32 s4, s15
	s_waitcnt lgkmcnt(0)
	s_bitcmp1_b32 s18, 0
	v_mul_u32_u24_e32 v3, s7, v2
	s_cselect_b32 s0, -1, 0
	s_delay_alu instid0(SALU_CYCLE_1)
	s_and_b32 vcc_lo, s0, exec_lo
	s_cselect_b32 s5, s1, s21
	s_lshr_b32 s6, s6, 16
	v_mov_b32_e32 v8, s5
	s_mul_i32 s6, s6, s7
	s_xor_b32 s5, s0, -1
	v_mad_u32_u24 v3, s6, v1, v3
	s_delay_alu instid0(VALU_DEP_1) | instskip(SKIP_2) | instid1(VALU_DEP_3)
	v_add_lshl_u32 v0, v3, v0, 3
	v_mov_b32_e32 v3, s20
	v_dual_mov_b32 v5, s8 :: v_dual_mov_b32 v4, s21
	v_dual_mov_b32 v6, s9 :: v_dual_add_nc_u32 v7, 0xe00, v0
	ds_store_2addr_stride64_b64 v0, v[5:6], v[3:4] offset0:6 offset1:7
	v_cndmask_b32_e64 v7, s20, v7, s0
	v_add_nc_u32_e32 v0, 0xc00, v0
	flat_load_b64 v[4:5], v[7:8]
	v_dual_mov_b32 v6, s22 :: v_dual_mov_b32 v7, s23
	s_cbranch_vccnz .LBB40_2
; %bb.1:
	v_dual_mov_b32 v6, s20 :: v_dual_mov_b32 v7, s21
	flat_load_b64 v[6:7], v[6:7] offset:8
.LBB40_2:
	s_and_b32 s6, s0, exec_lo
	s_cselect_b32 s1, s1, s9
	v_cndmask_b32_e64 v8, s8, v0, s0
	v_dual_mov_b32 v9, s1 :: v_dual_mov_b32 v10, s10
	v_mov_b32_e32 v11, s11
	s_and_not1_b32 vcc_lo, exec_lo, s5
	flat_load_b64 v[8:9], v[8:9]
	s_cbranch_vccnz .LBB40_4
; %bb.3:
	v_dual_mov_b32 v11, s9 :: v_dual_mov_b32 v10, s8
	flat_load_b64 v[10:11], v[10:11] offset:8
.LBB40_4:
	s_waitcnt vmcnt(1) lgkmcnt(1)
	v_cmp_eq_f64_e32 vcc_lo, 0, v[4:5]
	v_cmp_eq_f64_e64 s0, 0, v[6:7]
	s_delay_alu instid0(VALU_DEP_1)
	s_and_b32 s5, vcc_lo, s0
	s_mov_b32 s0, -1
	s_and_saveexec_b32 s1, s5
	s_cbranch_execz .LBB40_6
; %bb.5:
	s_waitcnt vmcnt(0) lgkmcnt(0)
	v_cmp_neq_f64_e32 vcc_lo, 1.0, v[8:9]
	v_cmp_neq_f64_e64 s0, 0, v[10:11]
	s_delay_alu instid0(VALU_DEP_1) | instskip(NEXT) | instid1(SALU_CYCLE_1)
	s_or_b32 s0, vcc_lo, s0
	s_or_not1_b32 s0, s0, exec_lo
.LBB40_6:
	s_or_b32 exec_lo, exec_lo, s1
	s_and_saveexec_b32 s1, s0
	s_cbranch_execz .LBB40_62
; %bb.7:
	s_clause 0x1
	s_load_b128 s[8:11], s[2:3], 0x0
	s_load_b64 s[0:1], s[2:3], 0x30
	s_mov_b64 s[12:13], 0
	s_mov_b64 s[18:19], 0
	s_waitcnt lgkmcnt(0)
	s_cmp_lt_i32 s14, s10
	s_cselect_b32 s28, -1, 0
	s_cmp_ge_i32 s14, s10
	s_cbranch_scc1 .LBB40_9
; %bb.8:
	s_ashr_i32 s15, s14, 31
	s_delay_alu instid0(SALU_CYCLE_1) | instskip(NEXT) | instid1(SALU_CYCLE_1)
	s_lshl_b64 s[6:7], s[14:15], 3
	s_add_u32 s6, s0, s6
	s_addc_u32 s7, s1, s7
	s_load_b64 s[6:7], s[6:7], 0x0
	s_waitcnt lgkmcnt(0)
	s_sub_u32 s18, s6, s17
	s_subb_u32 s19, s7, 0
.LBB40_9:
	s_and_not1_b32 vcc_lo, exec_lo, s28
	s_cbranch_vccnz .LBB40_11
; %bb.10:
	s_ashr_i32 s15, s14, 31
	s_delay_alu instid0(SALU_CYCLE_1) | instskip(NEXT) | instid1(SALU_CYCLE_1)
	s_lshl_b64 s[6:7], s[14:15], 3
	s_add_u32 s0, s0, s6
	s_addc_u32 s1, s1, s7
	s_load_b64 s[0:1], s[0:1], 0x8
	s_waitcnt lgkmcnt(0)
	s_sub_u32 s12, s0, s17
	s_subb_u32 s13, s1, 0
.LBB40_11:
	s_clause 0x1
	s_load_b32 s10, s[2:3], 0x48
	s_load_b64 s[6:7], s[2:3], 0x78
	v_lshl_add_u32 v14, s4, 4, v2
	v_cmp_ge_i64_e64 s0, s[18:19], s[12:13]
	v_mov_b32_e32 v22, 0
	s_delay_alu instid0(VALU_DEP_3) | instskip(SKIP_1) | instid1(VALU_DEP_4)
	v_dual_mov_b32 v23, 0 :: v_dual_add_nc_u32 v12, 8, v14
	v_cmp_gt_i32_e64 s1, s11, v14
	s_and_b32 vcc_lo, exec_lo, s0
	s_delay_alu instid0(VALU_DEP_2)
	v_dual_mov_b32 v29, v23 :: v_dual_mov_b32 v28, v22
	v_dual_mov_b32 v18, v22 :: v_dual_mov_b32 v19, v23
	v_cmp_gt_i32_e64 s4, s11, v12
	v_dual_mov_b32 v16, v22 :: v_dual_mov_b32 v17, v23
	s_waitcnt lgkmcnt(0)
	v_cmp_gt_i32_e64 s0, s10, v1
	s_cbranch_vccnz .LBB40_39
; %bb.12:
	s_clause 0x1
	s_load_b128 s[20:23], s[2:3], 0x38
	s_load_b128 s[24:27], s[2:3], 0x50
	v_mul_lo_u32 v16, v2, s10
	v_dual_mov_b32 v17, 0 :: v_dual_lshlrev_b32 v24, 4, v2
	v_cmp_gt_i32_e32 vcc_lo, s10, v2
	v_lshlrev_b32_e32 v13, 4, v1
	v_ashrrev_i32_e32 v15, 31, v14
	v_lshl_add_u32 v0, v1, 3, v2
	v_lshl_add_u32 v35, v1, 7, 0x800
	v_lshlrev_b64 v[18:19], 4, v[16:17]
	v_mul_lo_u32 v16, v1, s10
	s_and_b32 s15, s0, vcc_lo
	s_bitcmp1_b32 s8, 0
	v_lshl_add_u32 v0, v0, 4, 0x800
	s_cselect_b32 s5, -1, 0
	s_cmp_eq_u32 s9, 0
	s_delay_alu instid0(VALU_DEP_2) | instskip(SKIP_4) | instid1(VALU_DEP_3)
	v_lshlrev_b64 v[16:17], 4, v[16:17]
	s_waitcnt lgkmcnt(0)
	v_add_co_u32 v18, vcc_lo, s22, v18
	v_add_co_ci_u32_e32 v19, vcc_lo, s23, v19, vcc_lo
	v_mul_lo_u32 v25, v14, s27
	v_add_co_u32 v20, vcc_lo, v18, v13
	s_delay_alu instid0(VALU_DEP_3)
	v_add_co_ci_u32_e32 v21, vcc_lo, 0, v19, vcc_lo
	v_lshlrev_b32_e32 v3, 3, v2
	v_add_co_u32 v16, vcc_lo, s22, v16
	v_ashrrev_i32_e32 v13, 31, v12
	v_add_co_ci_u32_e32 v17, vcc_lo, s23, v17, vcc_lo
	v_mul_lo_u32 v26, v15, s26
	v_mad_u64_u32 v[18:19], null, v14, s26, 0
	v_add_lshl_u32 v30, v3, v1, 4
	v_add_co_u32 v3, vcc_lo, v16, v24
	v_mul_lo_u32 v27, v12, s27
	v_mul_lo_u32 v28, v13, s26
	v_mad_u64_u32 v[22:23], null, v12, s26, 0
	v_add_co_ci_u32_e32 v16, vcc_lo, 0, v17, vcc_lo
	s_cselect_b32 vcc_lo, -1, 0
	v_add_nc_u32_e32 v31, 0x400, v30
	v_add3_u32 v19, v19, v25, v26
	s_delay_alu instid0(VALU_DEP_3)
	v_cndmask_b32_e32 v32, v21, v16, vcc_lo
	v_mov_b32_e32 v16, 0
	v_mov_b32_e32 v17, 0
	v_add3_u32 v23, v23, v27, v28
	v_lshlrev_b32_e32 v33, 7, v2
	s_add_i32 s9, s10, -1
	s_and_b32 s8, s10, 7
	s_cmp_gt_u32 s9, 6
	v_cndmask_b32_e32 v34, v20, v3, vcc_lo
	v_lshlrev_b64 v[20:21], 4, v[18:19]
	v_mov_b32_e32 v19, v17
	v_lshlrev_b64 v[2:3], 4, v[14:15]
	v_lshlrev_b64 v[24:25], 4, v[22:23]
	;; [unrolled: 1-line block ×3, first 2 shown]
	v_mov_b32_e32 v18, v16
	v_dual_mov_b32 v29, v17 :: v_dual_add_nc_u32 v36, 0x400, v33
	s_cselect_b32 s9, -1, 0
	s_and_b32 s22, s10, -8
	v_dual_mov_b32 v28, v16 :: v_dual_mov_b32 v23, v17
	v_mov_b32_e32 v22, v16
	s_cmp_lg_u32 s8, 0
	s_mul_i32 s23, s10, s10
	s_cselect_b32 s29, -1, 0
	s_branch .LBB40_15
.LBB40_13:                              ;   in Loop: Header=BB40_15 Depth=1
	s_or_b32 exec_lo, exec_lo, s31
.LBB40_14:                              ;   in Loop: Header=BB40_15 Depth=1
	s_delay_alu instid0(SALU_CYCLE_1) | instskip(SKIP_2) | instid1(SALU_CYCLE_1)
	s_or_b32 exec_lo, exec_lo, s30
	s_add_u32 s18, s18, 1
	s_addc_u32 s19, s19, 0
	v_cmp_ge_i64_e64 s30, s[18:19], s[12:13]
	s_barrier
	buffer_gl0_inv
	s_and_b32 vcc_lo, exec_lo, s30
	s_cbranch_vccnz .LBB40_39
.LBB40_15:                              ; =>This Loop Header: Depth=1
                                        ;     Child Loop BB40_26 Depth 2
                                        ;     Child Loop BB40_30 Depth 2
                                        ;     Child Loop BB40_34 Depth 2
                                        ;     Child Loop BB40_38 Depth 2
	s_and_saveexec_b32 s30, s0
	s_cbranch_execz .LBB40_20
; %bb.16:                               ;   in Loop: Header=BB40_15 Depth=1
	s_lshl_b64 s[34:35], s[18:19], 2
	s_delay_alu instid0(SALU_CYCLE_1) | instskip(SKIP_4) | instid1(SALU_CYCLE_1)
	s_add_u32 s34, s20, s34
	s_addc_u32 s35, s21, s35
	s_load_b32 s31, s[34:35], 0x0
	s_waitcnt lgkmcnt(0)
	s_sub_i32 s31, s31, s17
	v_mad_u64_u32 v[37:38], null, s31, s10, v[1:2]
	s_delay_alu instid0(VALU_DEP_1) | instskip(SKIP_2) | instid1(VALU_DEP_3)
	v_ashrrev_i32_e32 v38, 31, v37
	v_mul_lo_u32 v13, v37, s27
	v_mad_u64_u32 v[39:40], null, v37, s26, 0
	v_mul_lo_u32 v15, v38, s26
	v_lshlrev_b64 v[37:38], 4, v[37:38]
	s_delay_alu instid0(VALU_DEP_2) | instskip(NEXT) | instid1(VALU_DEP_1)
	v_add3_u32 v40, v40, v13, v15
	v_lshlrev_b64 v[39:40], 4, v[39:40]
	s_delay_alu instid0(VALU_DEP_1) | instskip(NEXT) | instid1(VALU_DEP_2)
	v_add_co_u32 v13, vcc_lo, s24, v39
	v_add_co_ci_u32_e32 v15, vcc_lo, s25, v40, vcc_lo
	v_add_co_u32 v37, vcc_lo, s24, v37
	v_add_co_ci_u32_e32 v38, vcc_lo, s25, v38, vcc_lo
	s_and_saveexec_b32 s31, s1
	s_cbranch_execz .LBB40_18
; %bb.17:                               ;   in Loop: Header=BB40_15 Depth=1
	v_add_co_u32 v39, vcc_lo, v13, v2
	v_add_co_ci_u32_e32 v40, vcc_lo, v15, v3, vcc_lo
	v_add_co_u32 v41, vcc_lo, v37, v20
	v_add_co_ci_u32_e32 v42, vcc_lo, v38, v21, vcc_lo
	s_delay_alu instid0(VALU_DEP_2) | instskip(NEXT) | instid1(VALU_DEP_2)
	v_cndmask_b32_e64 v39, v39, v41, s5
	v_cndmask_b32_e64 v40, v40, v42, s5
	global_load_b128 v[39:42], v[39:40], off
	s_waitcnt vmcnt(0)
	ds_store_2addr_b64 v30, v[39:40], v[41:42] offset1:1
.LBB40_18:                              ;   in Loop: Header=BB40_15 Depth=1
	s_or_b32 exec_lo, exec_lo, s31
	s_delay_alu instid0(SALU_CYCLE_1)
	s_and_b32 exec_lo, exec_lo, s4
	s_cbranch_execz .LBB40_20
; %bb.19:                               ;   in Loop: Header=BB40_15 Depth=1
	v_add_co_u32 v37, vcc_lo, v37, v24
	v_add_co_ci_u32_e32 v38, vcc_lo, v38, v25, vcc_lo
	v_add_co_u32 v13, vcc_lo, v13, v26
	v_add_co_ci_u32_e32 v15, vcc_lo, v15, v27, vcc_lo
	s_delay_alu instid0(VALU_DEP_2) | instskip(NEXT) | instid1(VALU_DEP_2)
	v_cndmask_b32_e64 v37, v13, v37, s5
	v_cndmask_b32_e64 v38, v15, v38, s5
	global_load_b128 v[37:40], v[37:38], off
	s_waitcnt vmcnt(0)
	ds_store_2addr_b64 v31, v[37:38], v[39:40] offset1:1
.LBB40_20:                              ;   in Loop: Header=BB40_15 Depth=1
	s_or_b32 exec_lo, exec_lo, s30
	s_and_saveexec_b32 s30, s15
	s_cbranch_execz .LBB40_22
; %bb.21:                               ;   in Loop: Header=BB40_15 Depth=1
	s_mul_i32 s31, s19, s23
	s_mul_hi_u32 s33, s18, s23
	s_mul_i32 s34, s18, s23
	s_add_i32 s35, s33, s31
	s_delay_alu instid0(SALU_CYCLE_1) | instskip(NEXT) | instid1(SALU_CYCLE_1)
	s_lshl_b64 s[34:35], s[34:35], 4
	v_add_co_u32 v37, vcc_lo, v34, s34
	v_add_co_ci_u32_e32 v38, vcc_lo, s35, v32, vcc_lo
	global_load_b128 v[37:40], v[37:38], off
	s_waitcnt vmcnt(0)
	ds_store_2addr_b64 v0, v[37:38], v[39:40] offset1:1
.LBB40_22:                              ;   in Loop: Header=BB40_15 Depth=1
	s_or_b32 exec_lo, exec_lo, s30
	s_waitcnt vmcnt(0) lgkmcnt(0)
	s_barrier
	buffer_gl0_inv
	s_and_saveexec_b32 s30, s0
	s_cbranch_execz .LBB40_14
; %bb.23:                               ;   in Loop: Header=BB40_15 Depth=1
	s_and_saveexec_b32 s31, s1
	s_cbranch_execz .LBB40_31
; %bb.24:                               ;   in Loop: Header=BB40_15 Depth=1
	s_and_not1_b32 vcc_lo, exec_lo, s9
	s_cbranch_vccnz .LBB40_28
; %bb.25:                               ;   in Loop: Header=BB40_15 Depth=1
	v_mov_b32_e32 v13, v35
	v_mov_b32_e32 v15, v33
	s_mov_b32 s33, 0
.LBB40_26:                              ;   Parent Loop BB40_15 Depth=1
                                        ; =>  This Inner Loop Header: Depth=2
	ds_load_b128 v[37:40], v15
	ds_load_b128 v[41:44], v13
	ds_load_b128 v[45:48], v13 offset:16
	ds_load_b128 v[49:52], v15 offset:16
	s_add_i32 s33, s33, 8
	s_delay_alu instid0(SALU_CYCLE_1) | instskip(SKIP_3) | instid1(VALU_DEP_2)
	s_cmp_lg_u32 s22, s33
	s_waitcnt lgkmcnt(2)
	v_fma_f64 v[22:23], v[41:42], v[37:38], v[22:23]
	v_fma_f64 v[28:29], v[43:44], v[37:38], v[28:29]
	v_fma_f64 v[22:23], -v[43:44], v[39:40], v[22:23]
	s_delay_alu instid0(VALU_DEP_2) | instskip(SKIP_1) | instid1(VALU_DEP_2)
	v_fma_f64 v[28:29], v[41:42], v[39:40], v[28:29]
	s_waitcnt lgkmcnt(0)
	v_fma_f64 v[22:23], v[45:46], v[49:50], v[22:23]
	s_delay_alu instid0(VALU_DEP_2) | instskip(NEXT) | instid1(VALU_DEP_2)
	v_fma_f64 v[28:29], v[47:48], v[49:50], v[28:29]
	v_fma_f64 v[22:23], -v[47:48], v[51:52], v[22:23]
	s_delay_alu instid0(VALU_DEP_2)
	v_fma_f64 v[28:29], v[45:46], v[51:52], v[28:29]
	ds_load_b128 v[37:40], v15 offset:32
	ds_load_b128 v[41:44], v13 offset:32
	;; [unrolled: 1-line block ×4, first 2 shown]
	s_waitcnt lgkmcnt(2)
	v_fma_f64 v[22:23], v[41:42], v[37:38], v[22:23]
	v_fma_f64 v[28:29], v[43:44], v[37:38], v[28:29]
	s_delay_alu instid0(VALU_DEP_2) | instskip(NEXT) | instid1(VALU_DEP_2)
	v_fma_f64 v[22:23], -v[43:44], v[39:40], v[22:23]
	v_fma_f64 v[28:29], v[41:42], v[39:40], v[28:29]
	s_waitcnt lgkmcnt(0)
	s_delay_alu instid0(VALU_DEP_2) | instskip(NEXT) | instid1(VALU_DEP_2)
	v_fma_f64 v[22:23], v[45:46], v[49:50], v[22:23]
	v_fma_f64 v[28:29], v[47:48], v[49:50], v[28:29]
	s_delay_alu instid0(VALU_DEP_2) | instskip(NEXT) | instid1(VALU_DEP_2)
	v_fma_f64 v[22:23], -v[47:48], v[51:52], v[22:23]
	v_fma_f64 v[28:29], v[45:46], v[51:52], v[28:29]
	ds_load_b128 v[37:40], v15 offset:64
	ds_load_b128 v[41:44], v13 offset:64
	;; [unrolled: 1-line block ×4, first 2 shown]
	s_waitcnt lgkmcnt(2)
	v_fma_f64 v[22:23], v[41:42], v[37:38], v[22:23]
	v_fma_f64 v[28:29], v[43:44], v[37:38], v[28:29]
	s_delay_alu instid0(VALU_DEP_2) | instskip(NEXT) | instid1(VALU_DEP_2)
	v_fma_f64 v[22:23], -v[43:44], v[39:40], v[22:23]
	v_fma_f64 v[28:29], v[41:42], v[39:40], v[28:29]
	s_waitcnt lgkmcnt(0)
	s_delay_alu instid0(VALU_DEP_2) | instskip(NEXT) | instid1(VALU_DEP_2)
	v_fma_f64 v[22:23], v[45:46], v[49:50], v[22:23]
	v_fma_f64 v[28:29], v[47:48], v[49:50], v[28:29]
	s_delay_alu instid0(VALU_DEP_2) | instskip(NEXT) | instid1(VALU_DEP_2)
	v_fma_f64 v[22:23], -v[47:48], v[51:52], v[22:23]
	v_fma_f64 v[28:29], v[45:46], v[51:52], v[28:29]
	ds_load_b128 v[37:40], v15 offset:96
	ds_load_b128 v[41:44], v13 offset:96
	;; [unrolled: 1-line block ×4, first 2 shown]
	v_add_nc_u32_e32 v15, 0x80, v15
	v_add_nc_u32_e32 v13, 0x80, v13
	s_waitcnt lgkmcnt(2)
	v_fma_f64 v[22:23], v[41:42], v[37:38], v[22:23]
	v_fma_f64 v[28:29], v[43:44], v[37:38], v[28:29]
	s_delay_alu instid0(VALU_DEP_2) | instskip(NEXT) | instid1(VALU_DEP_2)
	v_fma_f64 v[22:23], -v[43:44], v[39:40], v[22:23]
	v_fma_f64 v[28:29], v[41:42], v[39:40], v[28:29]
	s_waitcnt lgkmcnt(0)
	s_delay_alu instid0(VALU_DEP_2) | instskip(NEXT) | instid1(VALU_DEP_2)
	v_fma_f64 v[22:23], v[45:46], v[49:50], v[22:23]
	v_fma_f64 v[28:29], v[47:48], v[49:50], v[28:29]
	s_delay_alu instid0(VALU_DEP_2) | instskip(NEXT) | instid1(VALU_DEP_2)
	v_fma_f64 v[22:23], -v[47:48], v[51:52], v[22:23]
	v_fma_f64 v[28:29], v[45:46], v[51:52], v[28:29]
	s_cbranch_scc1 .LBB40_26
; %bb.27:                               ;   in Loop: Header=BB40_15 Depth=1
	s_mov_b32 s33, s22
	s_and_not1_b32 vcc_lo, exec_lo, s29
	s_cbranch_vccz .LBB40_29
	s_branch .LBB40_31
.LBB40_28:                              ;   in Loop: Header=BB40_15 Depth=1
	s_mov_b32 s33, 0
	s_and_not1_b32 vcc_lo, exec_lo, s29
	s_cbranch_vccnz .LBB40_31
.LBB40_29:                              ;   in Loop: Header=BB40_15 Depth=1
	s_lshl_b32 s33, s33, 4
	s_delay_alu instid0(SALU_CYCLE_1)
	v_add_nc_u32_e32 v13, s33, v33
	v_add_nc_u32_e32 v15, s33, v35
	s_mov_b32 s33, s8
	.p2align	6
.LBB40_30:                              ;   Parent Loop BB40_15 Depth=1
                                        ; =>  This Inner Loop Header: Depth=2
	ds_load_b128 v[37:40], v15
	ds_load_b128 v[41:44], v13
	v_add_nc_u32_e32 v13, 16, v13
	v_add_nc_u32_e32 v15, 16, v15
	s_add_i32 s33, s33, -1
	s_delay_alu instid0(SALU_CYCLE_1) | instskip(SKIP_3) | instid1(VALU_DEP_2)
	s_cmp_lg_u32 s33, 0
	s_waitcnt lgkmcnt(0)
	v_fma_f64 v[22:23], v[37:38], v[41:42], v[22:23]
	v_fma_f64 v[28:29], v[39:40], v[41:42], v[28:29]
	v_fma_f64 v[22:23], -v[39:40], v[43:44], v[22:23]
	s_delay_alu instid0(VALU_DEP_2)
	v_fma_f64 v[28:29], v[37:38], v[43:44], v[28:29]
	s_cbranch_scc1 .LBB40_30
.LBB40_31:                              ;   in Loop: Header=BB40_15 Depth=1
	s_or_b32 exec_lo, exec_lo, s31
	s_and_saveexec_b32 s31, s4
	s_cbranch_execz .LBB40_13
; %bb.32:                               ;   in Loop: Header=BB40_15 Depth=1
	s_and_not1_b32 vcc_lo, exec_lo, s9
	s_cbranch_vccnz .LBB40_36
; %bb.33:                               ;   in Loop: Header=BB40_15 Depth=1
	v_mov_b32_e32 v13, v35
	v_mov_b32_e32 v15, v36
	s_mov_b32 s33, 0
.LBB40_34:                              ;   Parent Loop BB40_15 Depth=1
                                        ; =>  This Inner Loop Header: Depth=2
	ds_load_b128 v[37:40], v15
	ds_load_b128 v[41:44], v13
	ds_load_b128 v[45:48], v13 offset:16
	ds_load_b128 v[49:52], v15 offset:16
	s_add_i32 s33, s33, 8
	s_delay_alu instid0(SALU_CYCLE_1) | instskip(SKIP_3) | instid1(VALU_DEP_2)
	s_cmp_lg_u32 s22, s33
	s_waitcnt lgkmcnt(2)
	v_fma_f64 v[18:19], v[41:42], v[37:38], v[18:19]
	v_fma_f64 v[16:17], v[43:44], v[37:38], v[16:17]
	v_fma_f64 v[18:19], -v[43:44], v[39:40], v[18:19]
	s_delay_alu instid0(VALU_DEP_2) | instskip(SKIP_1) | instid1(VALU_DEP_2)
	v_fma_f64 v[16:17], v[41:42], v[39:40], v[16:17]
	s_waitcnt lgkmcnt(0)
	v_fma_f64 v[18:19], v[45:46], v[49:50], v[18:19]
	s_delay_alu instid0(VALU_DEP_2) | instskip(NEXT) | instid1(VALU_DEP_2)
	v_fma_f64 v[16:17], v[47:48], v[49:50], v[16:17]
	v_fma_f64 v[49:50], -v[47:48], v[51:52], v[18:19]
	s_delay_alu instid0(VALU_DEP_2)
	v_fma_f64 v[51:52], v[45:46], v[51:52], v[16:17]
	ds_load_b128 v[16:19], v15 offset:32
	ds_load_b128 v[37:40], v13 offset:32
	;; [unrolled: 1-line block ×4, first 2 shown]
	s_waitcnt lgkmcnt(2)
	v_fma_f64 v[49:50], v[37:38], v[16:17], v[49:50]
	v_fma_f64 v[16:17], v[39:40], v[16:17], v[51:52]
	s_delay_alu instid0(VALU_DEP_2) | instskip(NEXT) | instid1(VALU_DEP_2)
	v_fma_f64 v[39:40], -v[39:40], v[18:19], v[49:50]
	v_fma_f64 v[16:17], v[37:38], v[18:19], v[16:17]
	s_waitcnt lgkmcnt(0)
	s_delay_alu instid0(VALU_DEP_2) | instskip(NEXT) | instid1(VALU_DEP_2)
	v_fma_f64 v[18:19], v[41:42], v[45:46], v[39:40]
	v_fma_f64 v[16:17], v[43:44], v[45:46], v[16:17]
	s_delay_alu instid0(VALU_DEP_2) | instskip(NEXT) | instid1(VALU_DEP_2)
	v_fma_f64 v[49:50], -v[43:44], v[47:48], v[18:19]
	v_fma_f64 v[51:52], v[41:42], v[47:48], v[16:17]
	ds_load_b128 v[16:19], v15 offset:64
	ds_load_b128 v[37:40], v13 offset:64
	;; [unrolled: 1-line block ×4, first 2 shown]
	s_waitcnt lgkmcnt(2)
	v_fma_f64 v[49:50], v[37:38], v[16:17], v[49:50]
	v_fma_f64 v[16:17], v[39:40], v[16:17], v[51:52]
	s_delay_alu instid0(VALU_DEP_2) | instskip(NEXT) | instid1(VALU_DEP_2)
	v_fma_f64 v[39:40], -v[39:40], v[18:19], v[49:50]
	v_fma_f64 v[16:17], v[37:38], v[18:19], v[16:17]
	s_waitcnt lgkmcnt(0)
	s_delay_alu instid0(VALU_DEP_2) | instskip(NEXT) | instid1(VALU_DEP_2)
	v_fma_f64 v[18:19], v[41:42], v[45:46], v[39:40]
	v_fma_f64 v[16:17], v[43:44], v[45:46], v[16:17]
	s_delay_alu instid0(VALU_DEP_2) | instskip(NEXT) | instid1(VALU_DEP_2)
	v_fma_f64 v[49:50], -v[43:44], v[47:48], v[18:19]
	v_fma_f64 v[51:52], v[41:42], v[47:48], v[16:17]
	ds_load_b128 v[16:19], v15 offset:96
	ds_load_b128 v[37:40], v13 offset:96
	;; [unrolled: 1-line block ×4, first 2 shown]
	v_add_nc_u32_e32 v15, 0x80, v15
	v_add_nc_u32_e32 v13, 0x80, v13
	s_waitcnt lgkmcnt(2)
	v_fma_f64 v[49:50], v[37:38], v[16:17], v[49:50]
	v_fma_f64 v[16:17], v[39:40], v[16:17], v[51:52]
	s_delay_alu instid0(VALU_DEP_2) | instskip(NEXT) | instid1(VALU_DEP_2)
	v_fma_f64 v[39:40], -v[39:40], v[18:19], v[49:50]
	v_fma_f64 v[16:17], v[37:38], v[18:19], v[16:17]
	s_waitcnt lgkmcnt(0)
	s_delay_alu instid0(VALU_DEP_2) | instskip(NEXT) | instid1(VALU_DEP_2)
	v_fma_f64 v[18:19], v[41:42], v[45:46], v[39:40]
	v_fma_f64 v[16:17], v[43:44], v[45:46], v[16:17]
	s_delay_alu instid0(VALU_DEP_2) | instskip(NEXT) | instid1(VALU_DEP_2)
	v_fma_f64 v[18:19], -v[43:44], v[47:48], v[18:19]
	v_fma_f64 v[16:17], v[41:42], v[47:48], v[16:17]
	s_cbranch_scc1 .LBB40_34
; %bb.35:                               ;   in Loop: Header=BB40_15 Depth=1
	s_mov_b32 s33, s22
	s_and_not1_b32 vcc_lo, exec_lo, s29
	s_cbranch_vccz .LBB40_37
	s_branch .LBB40_13
.LBB40_36:                              ;   in Loop: Header=BB40_15 Depth=1
	s_mov_b32 s33, 0
	s_and_not1_b32 vcc_lo, exec_lo, s29
	s_cbranch_vccnz .LBB40_13
.LBB40_37:                              ;   in Loop: Header=BB40_15 Depth=1
	s_lshl_b32 s33, s33, 4
	s_delay_alu instid0(SALU_CYCLE_1)
	v_add_nc_u32_e32 v13, s33, v36
	v_add_nc_u32_e32 v15, s33, v35
	s_mov_b32 s33, s8
	.p2align	6
.LBB40_38:                              ;   Parent Loop BB40_15 Depth=1
                                        ; =>  This Inner Loop Header: Depth=2
	ds_load_b128 v[37:40], v15
	ds_load_b128 v[41:44], v13
	v_add_nc_u32_e32 v13, 16, v13
	v_add_nc_u32_e32 v15, 16, v15
	s_add_i32 s33, s33, -1
	s_delay_alu instid0(SALU_CYCLE_1) | instskip(SKIP_3) | instid1(VALU_DEP_2)
	s_cmp_lg_u32 s33, 0
	s_waitcnt lgkmcnt(0)
	v_fma_f64 v[18:19], v[37:38], v[41:42], v[18:19]
	v_fma_f64 v[16:17], v[39:40], v[41:42], v[16:17]
	v_fma_f64 v[18:19], -v[39:40], v[43:44], v[18:19]
	s_delay_alu instid0(VALU_DEP_2)
	v_fma_f64 v[16:17], v[37:38], v[43:44], v[16:17]
	s_cbranch_scc1 .LBB40_38
	s_branch .LBB40_13
.LBB40_39:
	s_delay_alu instid0(VALU_DEP_1) | instskip(NEXT) | instid1(SALU_CYCLE_1)
	s_and_b32 s0, s28, s0
	s_and_b32 exec_lo, exec_lo, s0
	s_cbranch_execz .LBB40_62
; %bb.40:
	s_load_b64 s[2:3], s[2:3], 0x80
	s_waitcnt vmcnt(0)
	v_cmp_neq_f64_e32 vcc_lo, 0, v[8:9]
	v_cmp_neq_f64_e64 s0, 0, v[10:11]
	v_mad_u64_u32 v[2:3], null, s14, s10, v[1:2]
	s_mov_b32 s4, exec_lo
	s_delay_alu instid0(VALU_DEP_1) | instskip(SKIP_1) | instid1(VALU_DEP_1)
	v_ashrrev_i32_e32 v3, 31, v2
	s_waitcnt lgkmcnt(0)
	v_mul_lo_u32 v13, v3, s2
	v_mul_lo_u32 v15, v2, s3
	v_mad_u64_u32 v[0:1], null, v2, s2, 0
	v_lshlrev_b64 v[2:3], 4, v[2:3]
	s_delay_alu instid0(VALU_DEP_1) | instskip(NEXT) | instid1(VALU_DEP_3)
	v_add_co_u32 v20, s1, s6, v2
	v_add3_u32 v1, v1, v15, v13
	s_delay_alu instid0(VALU_DEP_3) | instskip(NEXT) | instid1(VALU_DEP_2)
	v_add_co_ci_u32_e64 v21, s1, s7, v3, s1
	v_lshlrev_b64 v[0:1], 4, v[0:1]
	s_or_b32 s1, vcc_lo, s0
	s_cmp_lg_u32 s16, 1
	s_delay_alu instid0(VALU_DEP_1) | instskip(NEXT) | instid1(VALU_DEP_2)
	v_add_co_u32 v24, vcc_lo, s6, v0
	v_add_co_ci_u32_e32 v25, vcc_lo, s7, v1, vcc_lo
	s_cselect_b32 s0, -1, 0
	v_cmpx_gt_i32_e64 s11, v14
	s_cbranch_execz .LBB40_51
; %bb.41:
	s_and_saveexec_b32 s5, s1
	s_delay_alu instid0(SALU_CYCLE_1)
	s_xor_b32 s5, exec_lo, s5
	s_cbranch_execz .LBB40_46
; %bb.42:
	v_ashrrev_i32_e32 v15, 31, v14
	s_and_b32 vcc_lo, exec_lo, s0
	s_mov_b32 s6, -1
	s_cbranch_vccz .LBB40_44
; %bb.43:
	s_delay_alu instid0(VALU_DEP_1) | instskip(SKIP_3) | instid1(VALU_DEP_3)
	v_lshlrev_b64 v[0:1], 4, v[14:15]
	v_mul_f64 v[30:31], v[28:29], -v[6:7]
	v_mul_f64 v[32:33], v[4:5], v[28:29]
	s_mov_b32 s6, 0
	v_add_co_u32 v26, vcc_lo, v24, v0
	s_delay_alu instid0(VALU_DEP_4) | instskip(SKIP_4) | instid1(VALU_DEP_2)
	v_add_co_ci_u32_e32 v27, vcc_lo, v25, v1, vcc_lo
	global_load_b128 v[0:3], v[26:27], off
	v_fma_f64 v[30:31], v[4:5], v[22:23], v[30:31]
	v_fma_f64 v[32:33], v[6:7], v[22:23], v[32:33]
	s_waitcnt vmcnt(0)
	v_fma_f64 v[30:31], v[8:9], v[0:1], v[30:31]
	s_delay_alu instid0(VALU_DEP_2) | instskip(NEXT) | instid1(VALU_DEP_2)
	v_fma_f64 v[32:33], v[10:11], v[0:1], v[32:33]
	v_fma_f64 v[0:1], -v[10:11], v[2:3], v[30:31]
	s_delay_alu instid0(VALU_DEP_2)
	v_fma_f64 v[2:3], v[8:9], v[2:3], v[32:33]
	global_store_b128 v[26:27], v[0:3], off
.LBB40_44:
	s_and_not1_b32 vcc_lo, exec_lo, s6
	s_cbranch_vccnz .LBB40_46
; %bb.45:
	v_mul_lo_u32 v2, v15, s2
	v_mul_lo_u32 v3, v14, s3
	v_mad_u64_u32 v[0:1], null, v14, s2, 0
	v_mul_f64 v[26:27], v[28:29], -v[6:7]
	v_mul_f64 v[28:29], v[4:5], v[28:29]
	s_delay_alu instid0(VALU_DEP_3) | instskip(NEXT) | instid1(VALU_DEP_1)
	v_add3_u32 v1, v1, v3, v2
	v_lshlrev_b64 v[0:1], 4, v[0:1]
	s_delay_alu instid0(VALU_DEP_1) | instskip(NEXT) | instid1(VALU_DEP_2)
	v_add_co_u32 v13, vcc_lo, v20, v0
	v_add_co_ci_u32_e32 v14, vcc_lo, v21, v1, vcc_lo
	global_load_b128 v[0:3], v[13:14], off
	v_fma_f64 v[26:27], v[4:5], v[22:23], v[26:27]
	v_fma_f64 v[22:23], v[6:7], v[22:23], v[28:29]
                                        ; implicit-def: $vgpr28_vgpr29
	s_waitcnt vmcnt(0)
	s_delay_alu instid0(VALU_DEP_2) | instskip(NEXT) | instid1(VALU_DEP_2)
	v_fma_f64 v[26:27], v[8:9], v[0:1], v[26:27]
	v_fma_f64 v[22:23], v[10:11], v[0:1], v[22:23]
	s_delay_alu instid0(VALU_DEP_2) | instskip(NEXT) | instid1(VALU_DEP_2)
	v_fma_f64 v[0:1], -v[10:11], v[2:3], v[26:27]
	v_fma_f64 v[2:3], v[8:9], v[2:3], v[22:23]
                                        ; implicit-def: $vgpr22_vgpr23
	global_store_b128 v[13:14], v[0:3], off
                                        ; implicit-def: $vgpr14
.LBB40_46:
	s_and_not1_saveexec_b32 s5, s5
	s_cbranch_execz .LBB40_51
; %bb.47:
	v_mul_f64 v[0:1], v[28:29], -v[6:7]
	v_mul_f64 v[2:3], v[4:5], v[28:29]
	v_ashrrev_i32_e32 v15, 31, v14
	s_and_b32 vcc_lo, exec_lo, s0
	s_mov_b32 s5, -1
	s_delay_alu instid0(VALU_DEP_3) | instskip(NEXT) | instid1(VALU_DEP_3)
	v_fma_f64 v[0:1], v[4:5], v[22:23], v[0:1]
	v_fma_f64 v[2:3], v[6:7], v[22:23], v[2:3]
	s_cbranch_vccz .LBB40_49
; %bb.48:
	v_lshlrev_b64 v[22:23], 4, v[14:15]
	s_mov_b32 s5, 0
	s_delay_alu instid0(VALU_DEP_1) | instskip(NEXT) | instid1(VALU_DEP_2)
	v_add_co_u32 v22, vcc_lo, v24, v22
	v_add_co_ci_u32_e32 v23, vcc_lo, v25, v23, vcc_lo
	global_store_b128 v[22:23], v[0:3], off
.LBB40_49:
	s_and_not1_b32 vcc_lo, exec_lo, s5
	s_cbranch_vccnz .LBB40_51
; %bb.50:
	v_mul_lo_u32 v13, v15, s2
	v_mul_lo_u32 v15, v14, s3
	v_mad_u64_u32 v[22:23], null, v14, s2, 0
	s_delay_alu instid0(VALU_DEP_1) | instskip(NEXT) | instid1(VALU_DEP_1)
	v_add3_u32 v23, v23, v15, v13
	v_lshlrev_b64 v[13:14], 4, v[22:23]
	s_delay_alu instid0(VALU_DEP_1) | instskip(NEXT) | instid1(VALU_DEP_2)
	v_add_co_u32 v13, vcc_lo, v20, v13
	v_add_co_ci_u32_e32 v14, vcc_lo, v21, v14, vcc_lo
	global_store_b128 v[13:14], v[0:3], off
.LBB40_51:
	s_or_b32 exec_lo, exec_lo, s4
	v_cmp_gt_i32_e32 vcc_lo, s11, v12
	s_and_b32 exec_lo, exec_lo, vcc_lo
	s_cbranch_execz .LBB40_62
; %bb.52:
	s_and_saveexec_b32 s4, s1
	s_delay_alu instid0(SALU_CYCLE_1)
	s_xor_b32 s1, exec_lo, s4
	s_cbranch_execz .LBB40_57
; %bb.53:
	v_ashrrev_i32_e32 v13, 31, v12
	s_and_not1_b32 vcc_lo, exec_lo, s0
	s_mov_b32 s4, -1
	s_cbranch_vccnz .LBB40_55
; %bb.54:
	s_delay_alu instid0(VALU_DEP_1) | instskip(SKIP_2) | instid1(VALU_DEP_2)
	v_lshlrev_b64 v[0:1], 4, v[12:13]
	v_mul_f64 v[22:23], v[16:17], -v[6:7]
	s_mov_b32 s4, 0
	v_add_co_u32 v14, vcc_lo, v24, v0
	s_delay_alu instid0(VALU_DEP_3)
	v_add_co_ci_u32_e32 v15, vcc_lo, v25, v1, vcc_lo
	v_mul_f64 v[24:25], v[4:5], v[16:17]
	global_load_b128 v[0:3], v[14:15], off
	v_fma_f64 v[22:23], v[4:5], v[18:19], v[22:23]
	v_fma_f64 v[24:25], v[6:7], v[18:19], v[24:25]
	s_waitcnt vmcnt(0)
	s_delay_alu instid0(VALU_DEP_2) | instskip(NEXT) | instid1(VALU_DEP_2)
	v_fma_f64 v[22:23], v[8:9], v[0:1], v[22:23]
	v_fma_f64 v[24:25], v[10:11], v[0:1], v[24:25]
	s_delay_alu instid0(VALU_DEP_2) | instskip(NEXT) | instid1(VALU_DEP_2)
	v_fma_f64 v[0:1], -v[10:11], v[2:3], v[22:23]
	v_fma_f64 v[2:3], v[8:9], v[2:3], v[24:25]
	global_store_b128 v[14:15], v[0:3], off
.LBB40_55:
	s_and_not1_b32 vcc_lo, exec_lo, s4
                                        ; implicit-def: $vgpr24
                                        ; implicit-def: $vgpr25
	s_cbranch_vccnz .LBB40_57
; %bb.56:
	v_mul_lo_u32 v2, v13, s2
	v_mul_lo_u32 v3, v12, s3
	v_mad_u64_u32 v[0:1], null, v12, s2, 0
	v_mul_f64 v[14:15], v[16:17], -v[6:7]
	v_mul_f64 v[16:17], v[4:5], v[16:17]
                                        ; implicit-def: $vgpr24
                                        ; implicit-def: $vgpr25
	s_delay_alu instid0(VALU_DEP_3) | instskip(NEXT) | instid1(VALU_DEP_1)
	v_add3_u32 v1, v1, v3, v2
	v_lshlrev_b64 v[0:1], 4, v[0:1]
	s_delay_alu instid0(VALU_DEP_1) | instskip(NEXT) | instid1(VALU_DEP_2)
	v_add_co_u32 v12, vcc_lo, v20, v0
	v_add_co_ci_u32_e32 v13, vcc_lo, v21, v1, vcc_lo
                                        ; implicit-def: $vgpr20
                                        ; implicit-def: $vgpr21
	global_load_b128 v[0:3], v[12:13], off
	v_fma_f64 v[4:5], v[4:5], v[18:19], v[14:15]
	v_fma_f64 v[6:7], v[6:7], v[18:19], v[16:17]
                                        ; implicit-def: $vgpr18_vgpr19
                                        ; implicit-def: $vgpr16_vgpr17
	s_waitcnt vmcnt(0)
	s_delay_alu instid0(VALU_DEP_2) | instskip(NEXT) | instid1(VALU_DEP_2)
	v_fma_f64 v[4:5], v[8:9], v[0:1], v[4:5]
	v_fma_f64 v[6:7], v[10:11], v[0:1], v[6:7]
	s_delay_alu instid0(VALU_DEP_2) | instskip(NEXT) | instid1(VALU_DEP_2)
	v_fma_f64 v[0:1], -v[10:11], v[2:3], v[4:5]
	v_fma_f64 v[2:3], v[8:9], v[2:3], v[6:7]
                                        ; implicit-def: $vgpr4_vgpr5
                                        ; implicit-def: $vgpr6_vgpr7
	global_store_b128 v[12:13], v[0:3], off
                                        ; implicit-def: $vgpr12
.LBB40_57:
	s_and_not1_saveexec_b32 s1, s1
	s_cbranch_execz .LBB40_62
; %bb.58:
	v_mul_f64 v[0:1], v[16:17], -v[6:7]
	v_mul_f64 v[2:3], v[4:5], v[16:17]
	v_ashrrev_i32_e32 v13, 31, v12
	s_and_not1_b32 vcc_lo, exec_lo, s0
	s_mov_b32 s0, -1
	s_delay_alu instid0(VALU_DEP_3) | instskip(NEXT) | instid1(VALU_DEP_3)
	v_fma_f64 v[0:1], v[4:5], v[18:19], v[0:1]
	v_fma_f64 v[2:3], v[6:7], v[18:19], v[2:3]
	s_cbranch_vccnz .LBB40_60
; %bb.59:
	v_lshlrev_b64 v[4:5], 4, v[12:13]
	s_mov_b32 s0, 0
	s_delay_alu instid0(VALU_DEP_1) | instskip(NEXT) | instid1(VALU_DEP_2)
	v_add_co_u32 v4, vcc_lo, v24, v4
	v_add_co_ci_u32_e32 v5, vcc_lo, v25, v5, vcc_lo
	global_store_b128 v[4:5], v[0:3], off
.LBB40_60:
	s_and_not1_b32 vcc_lo, exec_lo, s0
	s_cbranch_vccnz .LBB40_62
; %bb.61:
	v_mul_lo_u32 v6, v13, s2
	v_mul_lo_u32 v7, v12, s3
	v_mad_u64_u32 v[4:5], null, v12, s2, 0
	s_delay_alu instid0(VALU_DEP_1) | instskip(NEXT) | instid1(VALU_DEP_1)
	v_add3_u32 v5, v5, v7, v6
	v_lshlrev_b64 v[4:5], 4, v[4:5]
	s_delay_alu instid0(VALU_DEP_1) | instskip(NEXT) | instid1(VALU_DEP_2)
	v_add_co_u32 v4, vcc_lo, v20, v4
	v_add_co_ci_u32_e32 v5, vcc_lo, v21, v5, vcc_lo
	global_store_b128 v[4:5], v[0:3], off
.LBB40_62:
	s_nop 0
	s_sendmsg sendmsg(MSG_DEALLOC_VGPRS)
	s_endpgm
	.section	.rodata,"a",@progbits
	.p2align	6, 0x0
	.amdhsa_kernel _ZN9rocsparseL31bsrmm_large_blockdim_kernel_extILj8ELj8ELj2Eli21rocsparse_complex_numIdES2_S2_S2_EEvb20rocsparse_direction_T3_S4_llNS_24const_host_device_scalarIT7_EEPKT2_PKS4_PKT4_S4_PKT5_llS7_PT6_ll16rocsparse_order_21rocsparse_index_base_b
		.amdhsa_group_segment_fixed_size 4096
		.amdhsa_private_segment_fixed_size 0
		.amdhsa_kernarg_size 156
		.amdhsa_user_sgpr_count 14
		.amdhsa_user_sgpr_dispatch_ptr 1
		.amdhsa_user_sgpr_queue_ptr 0
		.amdhsa_user_sgpr_kernarg_segment_ptr 1
		.amdhsa_user_sgpr_dispatch_id 0
		.amdhsa_user_sgpr_private_segment_size 0
		.amdhsa_wavefront_size32 1
		.amdhsa_uses_dynamic_stack 0
		.amdhsa_enable_private_segment 0
		.amdhsa_system_sgpr_workgroup_id_x 1
		.amdhsa_system_sgpr_workgroup_id_y 1
		.amdhsa_system_sgpr_workgroup_id_z 0
		.amdhsa_system_sgpr_workgroup_info 0
		.amdhsa_system_vgpr_workitem_id 2
		.amdhsa_next_free_vgpr 53
		.amdhsa_next_free_sgpr 36
		.amdhsa_reserve_vcc 1
		.amdhsa_float_round_mode_32 0
		.amdhsa_float_round_mode_16_64 0
		.amdhsa_float_denorm_mode_32 3
		.amdhsa_float_denorm_mode_16_64 3
		.amdhsa_dx10_clamp 1
		.amdhsa_ieee_mode 1
		.amdhsa_fp16_overflow 0
		.amdhsa_workgroup_processor_mode 1
		.amdhsa_memory_ordered 1
		.amdhsa_forward_progress 0
		.amdhsa_shared_vgpr_count 0
		.amdhsa_exception_fp_ieee_invalid_op 0
		.amdhsa_exception_fp_denorm_src 0
		.amdhsa_exception_fp_ieee_div_zero 0
		.amdhsa_exception_fp_ieee_overflow 0
		.amdhsa_exception_fp_ieee_underflow 0
		.amdhsa_exception_fp_ieee_inexact 0
		.amdhsa_exception_int_div_zero 0
	.end_amdhsa_kernel
	.section	.text._ZN9rocsparseL31bsrmm_large_blockdim_kernel_extILj8ELj8ELj2Eli21rocsparse_complex_numIdES2_S2_S2_EEvb20rocsparse_direction_T3_S4_llNS_24const_host_device_scalarIT7_EEPKT2_PKS4_PKT4_S4_PKT5_llS7_PT6_ll16rocsparse_order_21rocsparse_index_base_b,"axG",@progbits,_ZN9rocsparseL31bsrmm_large_blockdim_kernel_extILj8ELj8ELj2Eli21rocsparse_complex_numIdES2_S2_S2_EEvb20rocsparse_direction_T3_S4_llNS_24const_host_device_scalarIT7_EEPKT2_PKS4_PKT4_S4_PKT5_llS7_PT6_ll16rocsparse_order_21rocsparse_index_base_b,comdat
.Lfunc_end40:
	.size	_ZN9rocsparseL31bsrmm_large_blockdim_kernel_extILj8ELj8ELj2Eli21rocsparse_complex_numIdES2_S2_S2_EEvb20rocsparse_direction_T3_S4_llNS_24const_host_device_scalarIT7_EEPKT2_PKS4_PKT4_S4_PKT5_llS7_PT6_ll16rocsparse_order_21rocsparse_index_base_b, .Lfunc_end40-_ZN9rocsparseL31bsrmm_large_blockdim_kernel_extILj8ELj8ELj2Eli21rocsparse_complex_numIdES2_S2_S2_EEvb20rocsparse_direction_T3_S4_llNS_24const_host_device_scalarIT7_EEPKT2_PKS4_PKT4_S4_PKT5_llS7_PT6_ll16rocsparse_order_21rocsparse_index_base_b
                                        ; -- End function
	.section	.AMDGPU.csdata,"",@progbits
; Kernel info:
; codeLenInByte = 3920
; NumSgprs: 38
; NumVgprs: 53
; ScratchSize: 0
; MemoryBound: 0
; FloatMode: 240
; IeeeMode: 1
; LDSByteSize: 4096 bytes/workgroup (compile time only)
; SGPRBlocks: 4
; VGPRBlocks: 6
; NumSGPRsForWavesPerEU: 38
; NumVGPRsForWavesPerEU: 53
; Occupancy: 16
; WaveLimiterHint : 1
; COMPUTE_PGM_RSRC2:SCRATCH_EN: 0
; COMPUTE_PGM_RSRC2:USER_SGPR: 14
; COMPUTE_PGM_RSRC2:TRAP_HANDLER: 0
; COMPUTE_PGM_RSRC2:TGID_X_EN: 1
; COMPUTE_PGM_RSRC2:TGID_Y_EN: 1
; COMPUTE_PGM_RSRC2:TGID_Z_EN: 0
; COMPUTE_PGM_RSRC2:TIDIG_COMP_CNT: 2
	.section	.text._ZN9rocsparseL31bsrmm_large_blockdim_kernel_extILj4ELj16ELj2Eli21rocsparse_complex_numIdES2_S2_S2_EEvb20rocsparse_direction_T3_S4_llNS_24const_host_device_scalarIT7_EEPKT2_PKS4_PKT4_S4_PKT5_llS7_PT6_ll16rocsparse_order_21rocsparse_index_base_b,"axG",@progbits,_ZN9rocsparseL31bsrmm_large_blockdim_kernel_extILj4ELj16ELj2Eli21rocsparse_complex_numIdES2_S2_S2_EEvb20rocsparse_direction_T3_S4_llNS_24const_host_device_scalarIT7_EEPKT2_PKS4_PKT4_S4_PKT5_llS7_PT6_ll16rocsparse_order_21rocsparse_index_base_b,comdat
	.globl	_ZN9rocsparseL31bsrmm_large_blockdim_kernel_extILj4ELj16ELj2Eli21rocsparse_complex_numIdES2_S2_S2_EEvb20rocsparse_direction_T3_S4_llNS_24const_host_device_scalarIT7_EEPKT2_PKS4_PKT4_S4_PKT5_llS7_PT6_ll16rocsparse_order_21rocsparse_index_base_b ; -- Begin function _ZN9rocsparseL31bsrmm_large_blockdim_kernel_extILj4ELj16ELj2Eli21rocsparse_complex_numIdES2_S2_S2_EEvb20rocsparse_direction_T3_S4_llNS_24const_host_device_scalarIT7_EEPKT2_PKS4_PKT4_S4_PKT5_llS7_PT6_ll16rocsparse_order_21rocsparse_index_base_b
	.p2align	8
	.type	_ZN9rocsparseL31bsrmm_large_blockdim_kernel_extILj4ELj16ELj2Eli21rocsparse_complex_numIdES2_S2_S2_EEvb20rocsparse_direction_T3_S4_llNS_24const_host_device_scalarIT7_EEPKT2_PKS4_PKT4_S4_PKT5_llS7_PT6_ll16rocsparse_order_21rocsparse_index_base_b,@function
_ZN9rocsparseL31bsrmm_large_blockdim_kernel_extILj4ELj16ELj2Eli21rocsparse_complex_numIdES2_S2_S2_EEvb20rocsparse_direction_T3_S4_llNS_24const_host_device_scalarIT7_EEPKT2_PKS4_PKT4_S4_PKT5_llS7_PT6_ll16rocsparse_order_21rocsparse_index_base_b: ; @_ZN9rocsparseL31bsrmm_large_blockdim_kernel_extILj4ELj16ELj2Eli21rocsparse_complex_numIdES2_S2_S2_EEvb20rocsparse_direction_T3_S4_llNS_24const_host_device_scalarIT7_EEPKT2_PKS4_PKT4_S4_PKT5_llS7_PT6_ll16rocsparse_order_21rocsparse_index_base_b
; %bb.0:
	s_load_b128 s[16:19], s[2:3], 0x90
	s_load_b64 s[6:7], s[0:1], 0x4
	s_load_b128 s[20:23], s[2:3], 0x20
	v_bfe_u32 v2, v0, 10, 10
	s_mov_b64 s[0:1], src_shared_base
	s_load_b128 s[8:11], s[2:3], 0x68
	v_and_b32_e32 v1, 0x3ff, v0
	v_bfe_u32 v0, v0, 20, 10
	s_mov_b32 s4, s15
	s_waitcnt lgkmcnt(0)
	s_bitcmp1_b32 s18, 0
	v_mul_u32_u24_e32 v3, s7, v2
	s_cselect_b32 s0, -1, 0
	s_delay_alu instid0(SALU_CYCLE_1)
	s_and_b32 vcc_lo, s0, exec_lo
	s_cselect_b32 s5, s1, s21
	s_lshr_b32 s6, s6, 16
	v_mov_b32_e32 v8, s5
	s_mul_i32 s6, s6, s7
	s_xor_b32 s5, s0, -1
	v_mad_u32_u24 v3, s6, v1, v3
	s_delay_alu instid0(VALU_DEP_1) | instskip(SKIP_2) | instid1(VALU_DEP_3)
	v_add_lshl_u32 v0, v3, v0, 3
	v_mov_b32_e32 v3, s20
	v_dual_mov_b32 v5, s8 :: v_dual_mov_b32 v4, s21
	v_dual_mov_b32 v6, s9 :: v_dual_add_nc_u32 v7, 0xb00, v0
	v_add_nc_u32_e32 v9, 0x100, v0
	v_add_nc_u32_e32 v0, 0x900, v0
	s_delay_alu instid0(VALU_DEP_3)
	v_cndmask_b32_e64 v7, s20, v7, s0
	ds_store_2addr_stride64_b64 v9, v[5:6], v[3:4] offset0:4 offset1:5
	flat_load_b64 v[4:5], v[7:8]
	v_dual_mov_b32 v6, s22 :: v_dual_mov_b32 v7, s23
	s_cbranch_vccnz .LBB41_2
; %bb.1:
	v_dual_mov_b32 v6, s20 :: v_dual_mov_b32 v7, s21
	flat_load_b64 v[6:7], v[6:7] offset:8
.LBB41_2:
	s_and_b32 s6, s0, exec_lo
	s_cselect_b32 s1, s1, s9
	v_cndmask_b32_e64 v8, s8, v0, s0
	v_dual_mov_b32 v9, s1 :: v_dual_mov_b32 v10, s10
	v_mov_b32_e32 v11, s11
	s_and_not1_b32 vcc_lo, exec_lo, s5
	flat_load_b64 v[8:9], v[8:9]
	s_cbranch_vccnz .LBB41_4
; %bb.3:
	v_dual_mov_b32 v11, s9 :: v_dual_mov_b32 v10, s8
	flat_load_b64 v[10:11], v[10:11] offset:8
.LBB41_4:
	s_waitcnt vmcnt(1) lgkmcnt(1)
	v_cmp_eq_f64_e32 vcc_lo, 0, v[4:5]
	v_cmp_eq_f64_e64 s0, 0, v[6:7]
	s_delay_alu instid0(VALU_DEP_1)
	s_and_b32 s5, vcc_lo, s0
	s_mov_b32 s0, -1
	s_and_saveexec_b32 s1, s5
	s_cbranch_execz .LBB41_6
; %bb.5:
	s_waitcnt vmcnt(0) lgkmcnt(0)
	v_cmp_neq_f64_e32 vcc_lo, 1.0, v[8:9]
	v_cmp_neq_f64_e64 s0, 0, v[10:11]
	s_delay_alu instid0(VALU_DEP_1) | instskip(NEXT) | instid1(SALU_CYCLE_1)
	s_or_b32 s0, vcc_lo, s0
	s_or_not1_b32 s0, s0, exec_lo
.LBB41_6:
	s_or_b32 exec_lo, exec_lo, s1
	s_and_saveexec_b32 s1, s0
	s_cbranch_execz .LBB41_62
; %bb.7:
	s_clause 0x1
	s_load_b128 s[8:11], s[2:3], 0x0
	s_load_b64 s[0:1], s[2:3], 0x30
	s_mov_b64 s[12:13], 0
	s_mov_b64 s[18:19], 0
	s_waitcnt lgkmcnt(0)
	s_cmp_lt_i32 s14, s10
	s_cselect_b32 s28, -1, 0
	s_cmp_ge_i32 s14, s10
	s_cbranch_scc1 .LBB41_9
; %bb.8:
	s_ashr_i32 s15, s14, 31
	s_delay_alu instid0(SALU_CYCLE_1) | instskip(NEXT) | instid1(SALU_CYCLE_1)
	s_lshl_b64 s[6:7], s[14:15], 3
	s_add_u32 s6, s0, s6
	s_addc_u32 s7, s1, s7
	s_load_b64 s[6:7], s[6:7], 0x0
	s_waitcnt lgkmcnt(0)
	s_sub_u32 s18, s6, s17
	s_subb_u32 s19, s7, 0
.LBB41_9:
	s_and_not1_b32 vcc_lo, exec_lo, s28
	s_cbranch_vccnz .LBB41_11
; %bb.10:
	s_ashr_i32 s15, s14, 31
	s_delay_alu instid0(SALU_CYCLE_1) | instskip(NEXT) | instid1(SALU_CYCLE_1)
	s_lshl_b64 s[6:7], s[14:15], 3
	s_add_u32 s0, s0, s6
	s_addc_u32 s1, s1, s7
	s_load_b64 s[0:1], s[0:1], 0x8
	s_waitcnt lgkmcnt(0)
	s_sub_u32 s12, s0, s17
	s_subb_u32 s13, s1, 0
.LBB41_11:
	s_clause 0x1
	s_load_b32 s10, s[2:3], 0x48
	s_load_b64 s[6:7], s[2:3], 0x78
	v_lshl_add_u32 v14, s4, 5, v2
	v_cmp_ge_i64_e64 s0, s[18:19], s[12:13]
	v_mov_b32_e32 v22, 0
	s_delay_alu instid0(VALU_DEP_3) | instskip(SKIP_1) | instid1(VALU_DEP_4)
	v_dual_mov_b32 v23, 0 :: v_dual_add_nc_u32 v12, 16, v14
	v_cmp_gt_i32_e64 s1, s11, v14
	s_and_b32 vcc_lo, exec_lo, s0
	s_delay_alu instid0(VALU_DEP_2)
	v_dual_mov_b32 v29, v23 :: v_dual_mov_b32 v28, v22
	v_dual_mov_b32 v18, v22 :: v_dual_mov_b32 v19, v23
	v_cmp_gt_i32_e64 s4, s11, v12
	v_dual_mov_b32 v16, v22 :: v_dual_mov_b32 v17, v23
	s_waitcnt lgkmcnt(0)
	v_cmp_gt_i32_e64 s0, s10, v1
	s_cbranch_vccnz .LBB41_39
; %bb.12:
	s_clause 0x1
	s_load_b128 s[20:23], s[2:3], 0x38
	s_load_b128 s[24:27], s[2:3], 0x50
	v_mul_lo_u32 v16, v2, s10
	v_dual_mov_b32 v17, 0 :: v_dual_lshlrev_b32 v24, 4, v2
	v_cmp_gt_i32_e32 vcc_lo, s10, v2
	v_lshlrev_b32_e32 v13, 4, v1
	v_ashrrev_i32_e32 v15, 31, v14
	v_lshl_add_u32 v0, v1, 2, v2
	v_lshl_add_u32 v35, v1, 6, 0x800
	v_lshlrev_b64 v[18:19], 4, v[16:17]
	v_mul_lo_u32 v16, v1, s10
	s_and_b32 s15, s0, vcc_lo
	s_bitcmp1_b32 s8, 0
	v_lshl_add_u32 v0, v0, 4, 0x800
	s_cselect_b32 s5, -1, 0
	s_cmp_eq_u32 s9, 0
	s_delay_alu instid0(VALU_DEP_2) | instskip(SKIP_4) | instid1(VALU_DEP_3)
	v_lshlrev_b64 v[16:17], 4, v[16:17]
	s_waitcnt lgkmcnt(0)
	v_add_co_u32 v18, vcc_lo, s22, v18
	v_add_co_ci_u32_e32 v19, vcc_lo, s23, v19, vcc_lo
	v_mul_lo_u32 v25, v14, s27
	v_add_co_u32 v20, vcc_lo, v18, v13
	s_delay_alu instid0(VALU_DEP_3)
	v_add_co_ci_u32_e32 v21, vcc_lo, 0, v19, vcc_lo
	v_lshlrev_b32_e32 v3, 2, v2
	v_add_co_u32 v16, vcc_lo, s22, v16
	v_ashrrev_i32_e32 v13, 31, v12
	v_add_co_ci_u32_e32 v17, vcc_lo, s23, v17, vcc_lo
	v_mul_lo_u32 v26, v15, s26
	v_mad_u64_u32 v[18:19], null, v14, s26, 0
	v_add_lshl_u32 v30, v3, v1, 4
	v_add_co_u32 v3, vcc_lo, v16, v24
	v_mul_lo_u32 v27, v12, s27
	v_mul_lo_u32 v28, v13, s26
	v_mad_u64_u32 v[22:23], null, v12, s26, 0
	v_add_co_ci_u32_e32 v16, vcc_lo, 0, v17, vcc_lo
	s_cselect_b32 vcc_lo, -1, 0
	v_add_nc_u32_e32 v31, 0x400, v30
	v_add3_u32 v19, v19, v25, v26
	s_delay_alu instid0(VALU_DEP_3)
	v_cndmask_b32_e32 v32, v21, v16, vcc_lo
	v_mov_b32_e32 v16, 0
	v_mov_b32_e32 v17, 0
	v_add3_u32 v23, v23, v27, v28
	v_lshlrev_b32_e32 v33, 6, v2
	s_add_i32 s9, s10, -1
	s_and_b32 s8, s10, 7
	s_cmp_gt_u32 s9, 6
	v_cndmask_b32_e32 v34, v20, v3, vcc_lo
	v_lshlrev_b64 v[20:21], 4, v[18:19]
	v_mov_b32_e32 v19, v17
	v_lshlrev_b64 v[2:3], 4, v[14:15]
	v_lshlrev_b64 v[24:25], 4, v[22:23]
	v_lshlrev_b64 v[26:27], 4, v[12:13]
	v_mov_b32_e32 v18, v16
	v_dual_mov_b32 v29, v17 :: v_dual_add_nc_u32 v36, 0x400, v33
	s_cselect_b32 s9, -1, 0
	s_and_b32 s22, s10, -8
	v_dual_mov_b32 v28, v16 :: v_dual_mov_b32 v23, v17
	v_mov_b32_e32 v22, v16
	s_cmp_lg_u32 s8, 0
	s_mul_i32 s23, s10, s10
	s_cselect_b32 s29, -1, 0
	s_branch .LBB41_15
.LBB41_13:                              ;   in Loop: Header=BB41_15 Depth=1
	s_or_b32 exec_lo, exec_lo, s31
.LBB41_14:                              ;   in Loop: Header=BB41_15 Depth=1
	s_delay_alu instid0(SALU_CYCLE_1) | instskip(SKIP_2) | instid1(SALU_CYCLE_1)
	s_or_b32 exec_lo, exec_lo, s30
	s_add_u32 s18, s18, 1
	s_addc_u32 s19, s19, 0
	v_cmp_ge_i64_e64 s30, s[18:19], s[12:13]
	s_barrier
	buffer_gl0_inv
	s_and_b32 vcc_lo, exec_lo, s30
	s_cbranch_vccnz .LBB41_39
.LBB41_15:                              ; =>This Loop Header: Depth=1
                                        ;     Child Loop BB41_26 Depth 2
                                        ;     Child Loop BB41_30 Depth 2
                                        ;     Child Loop BB41_34 Depth 2
                                        ;     Child Loop BB41_38 Depth 2
	s_and_saveexec_b32 s30, s0
	s_cbranch_execz .LBB41_20
; %bb.16:                               ;   in Loop: Header=BB41_15 Depth=1
	s_lshl_b64 s[34:35], s[18:19], 2
	s_delay_alu instid0(SALU_CYCLE_1) | instskip(SKIP_4) | instid1(SALU_CYCLE_1)
	s_add_u32 s34, s20, s34
	s_addc_u32 s35, s21, s35
	s_load_b32 s31, s[34:35], 0x0
	s_waitcnt lgkmcnt(0)
	s_sub_i32 s31, s31, s17
	v_mad_u64_u32 v[37:38], null, s31, s10, v[1:2]
	s_delay_alu instid0(VALU_DEP_1) | instskip(SKIP_2) | instid1(VALU_DEP_3)
	v_ashrrev_i32_e32 v38, 31, v37
	v_mul_lo_u32 v13, v37, s27
	v_mad_u64_u32 v[39:40], null, v37, s26, 0
	v_mul_lo_u32 v15, v38, s26
	v_lshlrev_b64 v[37:38], 4, v[37:38]
	s_delay_alu instid0(VALU_DEP_2) | instskip(NEXT) | instid1(VALU_DEP_1)
	v_add3_u32 v40, v40, v13, v15
	v_lshlrev_b64 v[39:40], 4, v[39:40]
	s_delay_alu instid0(VALU_DEP_1) | instskip(NEXT) | instid1(VALU_DEP_2)
	v_add_co_u32 v13, vcc_lo, s24, v39
	v_add_co_ci_u32_e32 v15, vcc_lo, s25, v40, vcc_lo
	v_add_co_u32 v37, vcc_lo, s24, v37
	v_add_co_ci_u32_e32 v38, vcc_lo, s25, v38, vcc_lo
	s_and_saveexec_b32 s31, s1
	s_cbranch_execz .LBB41_18
; %bb.17:                               ;   in Loop: Header=BB41_15 Depth=1
	v_add_co_u32 v39, vcc_lo, v13, v2
	v_add_co_ci_u32_e32 v40, vcc_lo, v15, v3, vcc_lo
	v_add_co_u32 v41, vcc_lo, v37, v20
	v_add_co_ci_u32_e32 v42, vcc_lo, v38, v21, vcc_lo
	s_delay_alu instid0(VALU_DEP_2) | instskip(NEXT) | instid1(VALU_DEP_2)
	v_cndmask_b32_e64 v39, v39, v41, s5
	v_cndmask_b32_e64 v40, v40, v42, s5
	global_load_b128 v[39:42], v[39:40], off
	s_waitcnt vmcnt(0)
	ds_store_2addr_b64 v30, v[39:40], v[41:42] offset1:1
.LBB41_18:                              ;   in Loop: Header=BB41_15 Depth=1
	s_or_b32 exec_lo, exec_lo, s31
	s_delay_alu instid0(SALU_CYCLE_1)
	s_and_b32 exec_lo, exec_lo, s4
	s_cbranch_execz .LBB41_20
; %bb.19:                               ;   in Loop: Header=BB41_15 Depth=1
	v_add_co_u32 v37, vcc_lo, v37, v24
	v_add_co_ci_u32_e32 v38, vcc_lo, v38, v25, vcc_lo
	v_add_co_u32 v13, vcc_lo, v13, v26
	v_add_co_ci_u32_e32 v15, vcc_lo, v15, v27, vcc_lo
	s_delay_alu instid0(VALU_DEP_2) | instskip(NEXT) | instid1(VALU_DEP_2)
	v_cndmask_b32_e64 v37, v13, v37, s5
	v_cndmask_b32_e64 v38, v15, v38, s5
	global_load_b128 v[37:40], v[37:38], off
	s_waitcnt vmcnt(0)
	ds_store_2addr_b64 v31, v[37:38], v[39:40] offset1:1
.LBB41_20:                              ;   in Loop: Header=BB41_15 Depth=1
	s_or_b32 exec_lo, exec_lo, s30
	s_and_saveexec_b32 s30, s15
	s_cbranch_execz .LBB41_22
; %bb.21:                               ;   in Loop: Header=BB41_15 Depth=1
	s_mul_i32 s31, s19, s23
	s_mul_hi_u32 s33, s18, s23
	s_mul_i32 s34, s18, s23
	s_add_i32 s35, s33, s31
	s_delay_alu instid0(SALU_CYCLE_1) | instskip(NEXT) | instid1(SALU_CYCLE_1)
	s_lshl_b64 s[34:35], s[34:35], 4
	v_add_co_u32 v37, vcc_lo, v34, s34
	v_add_co_ci_u32_e32 v38, vcc_lo, s35, v32, vcc_lo
	global_load_b128 v[37:40], v[37:38], off
	s_waitcnt vmcnt(0)
	ds_store_2addr_b64 v0, v[37:38], v[39:40] offset1:1
.LBB41_22:                              ;   in Loop: Header=BB41_15 Depth=1
	s_or_b32 exec_lo, exec_lo, s30
	s_waitcnt vmcnt(0) lgkmcnt(0)
	s_barrier
	buffer_gl0_inv
	s_and_saveexec_b32 s30, s0
	s_cbranch_execz .LBB41_14
; %bb.23:                               ;   in Loop: Header=BB41_15 Depth=1
	s_and_saveexec_b32 s31, s1
	s_cbranch_execz .LBB41_31
; %bb.24:                               ;   in Loop: Header=BB41_15 Depth=1
	s_and_not1_b32 vcc_lo, exec_lo, s9
	s_cbranch_vccnz .LBB41_28
; %bb.25:                               ;   in Loop: Header=BB41_15 Depth=1
	v_mov_b32_e32 v13, v35
	v_mov_b32_e32 v15, v33
	s_mov_b32 s33, 0
.LBB41_26:                              ;   Parent Loop BB41_15 Depth=1
                                        ; =>  This Inner Loop Header: Depth=2
	ds_load_b128 v[37:40], v15
	ds_load_b128 v[41:44], v13
	ds_load_b128 v[45:48], v13 offset:16
	ds_load_b128 v[49:52], v15 offset:16
	s_add_i32 s33, s33, 8
	s_delay_alu instid0(SALU_CYCLE_1) | instskip(SKIP_3) | instid1(VALU_DEP_2)
	s_cmp_lg_u32 s22, s33
	s_waitcnt lgkmcnt(2)
	v_fma_f64 v[22:23], v[41:42], v[37:38], v[22:23]
	v_fma_f64 v[28:29], v[43:44], v[37:38], v[28:29]
	v_fma_f64 v[22:23], -v[43:44], v[39:40], v[22:23]
	s_delay_alu instid0(VALU_DEP_2) | instskip(SKIP_1) | instid1(VALU_DEP_2)
	v_fma_f64 v[28:29], v[41:42], v[39:40], v[28:29]
	s_waitcnt lgkmcnt(0)
	v_fma_f64 v[22:23], v[45:46], v[49:50], v[22:23]
	s_delay_alu instid0(VALU_DEP_2) | instskip(NEXT) | instid1(VALU_DEP_2)
	v_fma_f64 v[28:29], v[47:48], v[49:50], v[28:29]
	v_fma_f64 v[22:23], -v[47:48], v[51:52], v[22:23]
	s_delay_alu instid0(VALU_DEP_2)
	v_fma_f64 v[28:29], v[45:46], v[51:52], v[28:29]
	ds_load_b128 v[37:40], v15 offset:32
	ds_load_b128 v[41:44], v13 offset:32
	;; [unrolled: 1-line block ×4, first 2 shown]
	s_waitcnt lgkmcnt(2)
	v_fma_f64 v[22:23], v[41:42], v[37:38], v[22:23]
	v_fma_f64 v[28:29], v[43:44], v[37:38], v[28:29]
	s_delay_alu instid0(VALU_DEP_2) | instskip(NEXT) | instid1(VALU_DEP_2)
	v_fma_f64 v[22:23], -v[43:44], v[39:40], v[22:23]
	v_fma_f64 v[28:29], v[41:42], v[39:40], v[28:29]
	s_waitcnt lgkmcnt(0)
	s_delay_alu instid0(VALU_DEP_2) | instskip(NEXT) | instid1(VALU_DEP_2)
	v_fma_f64 v[22:23], v[45:46], v[49:50], v[22:23]
	v_fma_f64 v[28:29], v[47:48], v[49:50], v[28:29]
	s_delay_alu instid0(VALU_DEP_2) | instskip(NEXT) | instid1(VALU_DEP_2)
	v_fma_f64 v[22:23], -v[47:48], v[51:52], v[22:23]
	v_fma_f64 v[28:29], v[45:46], v[51:52], v[28:29]
	ds_load_b128 v[37:40], v15 offset:64
	ds_load_b128 v[41:44], v13 offset:64
	;; [unrolled: 1-line block ×4, first 2 shown]
	s_waitcnt lgkmcnt(2)
	v_fma_f64 v[22:23], v[41:42], v[37:38], v[22:23]
	v_fma_f64 v[28:29], v[43:44], v[37:38], v[28:29]
	s_delay_alu instid0(VALU_DEP_2) | instskip(NEXT) | instid1(VALU_DEP_2)
	v_fma_f64 v[22:23], -v[43:44], v[39:40], v[22:23]
	v_fma_f64 v[28:29], v[41:42], v[39:40], v[28:29]
	s_waitcnt lgkmcnt(0)
	s_delay_alu instid0(VALU_DEP_2) | instskip(NEXT) | instid1(VALU_DEP_2)
	v_fma_f64 v[22:23], v[45:46], v[49:50], v[22:23]
	v_fma_f64 v[28:29], v[47:48], v[49:50], v[28:29]
	s_delay_alu instid0(VALU_DEP_2) | instskip(NEXT) | instid1(VALU_DEP_2)
	v_fma_f64 v[22:23], -v[47:48], v[51:52], v[22:23]
	v_fma_f64 v[28:29], v[45:46], v[51:52], v[28:29]
	ds_load_b128 v[37:40], v15 offset:96
	ds_load_b128 v[41:44], v13 offset:96
	;; [unrolled: 1-line block ×4, first 2 shown]
	v_add_nc_u32_e32 v15, 0x80, v15
	v_add_nc_u32_e32 v13, 0x80, v13
	s_waitcnt lgkmcnt(2)
	v_fma_f64 v[22:23], v[41:42], v[37:38], v[22:23]
	v_fma_f64 v[28:29], v[43:44], v[37:38], v[28:29]
	s_delay_alu instid0(VALU_DEP_2) | instskip(NEXT) | instid1(VALU_DEP_2)
	v_fma_f64 v[22:23], -v[43:44], v[39:40], v[22:23]
	v_fma_f64 v[28:29], v[41:42], v[39:40], v[28:29]
	s_waitcnt lgkmcnt(0)
	s_delay_alu instid0(VALU_DEP_2) | instskip(NEXT) | instid1(VALU_DEP_2)
	v_fma_f64 v[22:23], v[45:46], v[49:50], v[22:23]
	v_fma_f64 v[28:29], v[47:48], v[49:50], v[28:29]
	s_delay_alu instid0(VALU_DEP_2) | instskip(NEXT) | instid1(VALU_DEP_2)
	v_fma_f64 v[22:23], -v[47:48], v[51:52], v[22:23]
	v_fma_f64 v[28:29], v[45:46], v[51:52], v[28:29]
	s_cbranch_scc1 .LBB41_26
; %bb.27:                               ;   in Loop: Header=BB41_15 Depth=1
	s_mov_b32 s33, s22
	s_and_not1_b32 vcc_lo, exec_lo, s29
	s_cbranch_vccz .LBB41_29
	s_branch .LBB41_31
.LBB41_28:                              ;   in Loop: Header=BB41_15 Depth=1
	s_mov_b32 s33, 0
	s_and_not1_b32 vcc_lo, exec_lo, s29
	s_cbranch_vccnz .LBB41_31
.LBB41_29:                              ;   in Loop: Header=BB41_15 Depth=1
	s_lshl_b32 s33, s33, 4
	s_delay_alu instid0(SALU_CYCLE_1)
	v_add_nc_u32_e32 v13, s33, v33
	v_add_nc_u32_e32 v15, s33, v35
	s_mov_b32 s33, s8
	.p2align	6
.LBB41_30:                              ;   Parent Loop BB41_15 Depth=1
                                        ; =>  This Inner Loop Header: Depth=2
	ds_load_b128 v[37:40], v15
	ds_load_b128 v[41:44], v13
	v_add_nc_u32_e32 v13, 16, v13
	v_add_nc_u32_e32 v15, 16, v15
	s_add_i32 s33, s33, -1
	s_delay_alu instid0(SALU_CYCLE_1) | instskip(SKIP_3) | instid1(VALU_DEP_2)
	s_cmp_lg_u32 s33, 0
	s_waitcnt lgkmcnt(0)
	v_fma_f64 v[22:23], v[37:38], v[41:42], v[22:23]
	v_fma_f64 v[28:29], v[39:40], v[41:42], v[28:29]
	v_fma_f64 v[22:23], -v[39:40], v[43:44], v[22:23]
	s_delay_alu instid0(VALU_DEP_2)
	v_fma_f64 v[28:29], v[37:38], v[43:44], v[28:29]
	s_cbranch_scc1 .LBB41_30
.LBB41_31:                              ;   in Loop: Header=BB41_15 Depth=1
	s_or_b32 exec_lo, exec_lo, s31
	s_and_saveexec_b32 s31, s4
	s_cbranch_execz .LBB41_13
; %bb.32:                               ;   in Loop: Header=BB41_15 Depth=1
	s_and_not1_b32 vcc_lo, exec_lo, s9
	s_cbranch_vccnz .LBB41_36
; %bb.33:                               ;   in Loop: Header=BB41_15 Depth=1
	v_mov_b32_e32 v13, v35
	v_mov_b32_e32 v15, v36
	s_mov_b32 s33, 0
.LBB41_34:                              ;   Parent Loop BB41_15 Depth=1
                                        ; =>  This Inner Loop Header: Depth=2
	ds_load_b128 v[37:40], v15
	ds_load_b128 v[41:44], v13
	ds_load_b128 v[45:48], v13 offset:16
	ds_load_b128 v[49:52], v15 offset:16
	s_add_i32 s33, s33, 8
	s_delay_alu instid0(SALU_CYCLE_1) | instskip(SKIP_3) | instid1(VALU_DEP_2)
	s_cmp_lg_u32 s22, s33
	s_waitcnt lgkmcnt(2)
	v_fma_f64 v[18:19], v[41:42], v[37:38], v[18:19]
	v_fma_f64 v[16:17], v[43:44], v[37:38], v[16:17]
	v_fma_f64 v[18:19], -v[43:44], v[39:40], v[18:19]
	s_delay_alu instid0(VALU_DEP_2) | instskip(SKIP_1) | instid1(VALU_DEP_2)
	v_fma_f64 v[16:17], v[41:42], v[39:40], v[16:17]
	s_waitcnt lgkmcnt(0)
	v_fma_f64 v[18:19], v[45:46], v[49:50], v[18:19]
	s_delay_alu instid0(VALU_DEP_2) | instskip(NEXT) | instid1(VALU_DEP_2)
	v_fma_f64 v[16:17], v[47:48], v[49:50], v[16:17]
	v_fma_f64 v[49:50], -v[47:48], v[51:52], v[18:19]
	s_delay_alu instid0(VALU_DEP_2)
	v_fma_f64 v[51:52], v[45:46], v[51:52], v[16:17]
	ds_load_b128 v[16:19], v15 offset:32
	ds_load_b128 v[37:40], v13 offset:32
	;; [unrolled: 1-line block ×4, first 2 shown]
	s_waitcnt lgkmcnt(2)
	v_fma_f64 v[49:50], v[37:38], v[16:17], v[49:50]
	v_fma_f64 v[16:17], v[39:40], v[16:17], v[51:52]
	s_delay_alu instid0(VALU_DEP_2) | instskip(NEXT) | instid1(VALU_DEP_2)
	v_fma_f64 v[39:40], -v[39:40], v[18:19], v[49:50]
	v_fma_f64 v[16:17], v[37:38], v[18:19], v[16:17]
	s_waitcnt lgkmcnt(0)
	s_delay_alu instid0(VALU_DEP_2) | instskip(NEXT) | instid1(VALU_DEP_2)
	v_fma_f64 v[18:19], v[41:42], v[45:46], v[39:40]
	v_fma_f64 v[16:17], v[43:44], v[45:46], v[16:17]
	s_delay_alu instid0(VALU_DEP_2) | instskip(NEXT) | instid1(VALU_DEP_2)
	v_fma_f64 v[49:50], -v[43:44], v[47:48], v[18:19]
	v_fma_f64 v[51:52], v[41:42], v[47:48], v[16:17]
	ds_load_b128 v[16:19], v15 offset:64
	ds_load_b128 v[37:40], v13 offset:64
	;; [unrolled: 1-line block ×4, first 2 shown]
	s_waitcnt lgkmcnt(2)
	v_fma_f64 v[49:50], v[37:38], v[16:17], v[49:50]
	v_fma_f64 v[16:17], v[39:40], v[16:17], v[51:52]
	s_delay_alu instid0(VALU_DEP_2) | instskip(NEXT) | instid1(VALU_DEP_2)
	v_fma_f64 v[39:40], -v[39:40], v[18:19], v[49:50]
	v_fma_f64 v[16:17], v[37:38], v[18:19], v[16:17]
	s_waitcnt lgkmcnt(0)
	s_delay_alu instid0(VALU_DEP_2) | instskip(NEXT) | instid1(VALU_DEP_2)
	v_fma_f64 v[18:19], v[41:42], v[45:46], v[39:40]
	v_fma_f64 v[16:17], v[43:44], v[45:46], v[16:17]
	s_delay_alu instid0(VALU_DEP_2) | instskip(NEXT) | instid1(VALU_DEP_2)
	v_fma_f64 v[49:50], -v[43:44], v[47:48], v[18:19]
	v_fma_f64 v[51:52], v[41:42], v[47:48], v[16:17]
	ds_load_b128 v[16:19], v15 offset:96
	ds_load_b128 v[37:40], v13 offset:96
	;; [unrolled: 1-line block ×4, first 2 shown]
	v_add_nc_u32_e32 v15, 0x80, v15
	v_add_nc_u32_e32 v13, 0x80, v13
	s_waitcnt lgkmcnt(2)
	v_fma_f64 v[49:50], v[37:38], v[16:17], v[49:50]
	v_fma_f64 v[16:17], v[39:40], v[16:17], v[51:52]
	s_delay_alu instid0(VALU_DEP_2) | instskip(NEXT) | instid1(VALU_DEP_2)
	v_fma_f64 v[39:40], -v[39:40], v[18:19], v[49:50]
	v_fma_f64 v[16:17], v[37:38], v[18:19], v[16:17]
	s_waitcnt lgkmcnt(0)
	s_delay_alu instid0(VALU_DEP_2) | instskip(NEXT) | instid1(VALU_DEP_2)
	v_fma_f64 v[18:19], v[41:42], v[45:46], v[39:40]
	v_fma_f64 v[16:17], v[43:44], v[45:46], v[16:17]
	s_delay_alu instid0(VALU_DEP_2) | instskip(NEXT) | instid1(VALU_DEP_2)
	v_fma_f64 v[18:19], -v[43:44], v[47:48], v[18:19]
	v_fma_f64 v[16:17], v[41:42], v[47:48], v[16:17]
	s_cbranch_scc1 .LBB41_34
; %bb.35:                               ;   in Loop: Header=BB41_15 Depth=1
	s_mov_b32 s33, s22
	s_and_not1_b32 vcc_lo, exec_lo, s29
	s_cbranch_vccz .LBB41_37
	s_branch .LBB41_13
.LBB41_36:                              ;   in Loop: Header=BB41_15 Depth=1
	s_mov_b32 s33, 0
	s_and_not1_b32 vcc_lo, exec_lo, s29
	s_cbranch_vccnz .LBB41_13
.LBB41_37:                              ;   in Loop: Header=BB41_15 Depth=1
	s_lshl_b32 s33, s33, 4
	s_delay_alu instid0(SALU_CYCLE_1)
	v_add_nc_u32_e32 v13, s33, v36
	v_add_nc_u32_e32 v15, s33, v35
	s_mov_b32 s33, s8
	.p2align	6
.LBB41_38:                              ;   Parent Loop BB41_15 Depth=1
                                        ; =>  This Inner Loop Header: Depth=2
	ds_load_b128 v[37:40], v15
	ds_load_b128 v[41:44], v13
	v_add_nc_u32_e32 v13, 16, v13
	v_add_nc_u32_e32 v15, 16, v15
	s_add_i32 s33, s33, -1
	s_delay_alu instid0(SALU_CYCLE_1) | instskip(SKIP_3) | instid1(VALU_DEP_2)
	s_cmp_lg_u32 s33, 0
	s_waitcnt lgkmcnt(0)
	v_fma_f64 v[18:19], v[37:38], v[41:42], v[18:19]
	v_fma_f64 v[16:17], v[39:40], v[41:42], v[16:17]
	v_fma_f64 v[18:19], -v[39:40], v[43:44], v[18:19]
	s_delay_alu instid0(VALU_DEP_2)
	v_fma_f64 v[16:17], v[37:38], v[43:44], v[16:17]
	s_cbranch_scc1 .LBB41_38
	s_branch .LBB41_13
.LBB41_39:
	s_delay_alu instid0(VALU_DEP_1) | instskip(NEXT) | instid1(SALU_CYCLE_1)
	s_and_b32 s0, s28, s0
	s_and_b32 exec_lo, exec_lo, s0
	s_cbranch_execz .LBB41_62
; %bb.40:
	s_load_b64 s[2:3], s[2:3], 0x80
	s_waitcnt vmcnt(0)
	v_cmp_neq_f64_e32 vcc_lo, 0, v[8:9]
	v_cmp_neq_f64_e64 s0, 0, v[10:11]
	v_mad_u64_u32 v[2:3], null, s14, s10, v[1:2]
	s_mov_b32 s4, exec_lo
	s_delay_alu instid0(VALU_DEP_1) | instskip(SKIP_1) | instid1(VALU_DEP_1)
	v_ashrrev_i32_e32 v3, 31, v2
	s_waitcnt lgkmcnt(0)
	v_mul_lo_u32 v13, v3, s2
	v_mul_lo_u32 v15, v2, s3
	v_mad_u64_u32 v[0:1], null, v2, s2, 0
	v_lshlrev_b64 v[2:3], 4, v[2:3]
	s_delay_alu instid0(VALU_DEP_1) | instskip(NEXT) | instid1(VALU_DEP_3)
	v_add_co_u32 v20, s1, s6, v2
	v_add3_u32 v1, v1, v15, v13
	s_delay_alu instid0(VALU_DEP_3) | instskip(NEXT) | instid1(VALU_DEP_2)
	v_add_co_ci_u32_e64 v21, s1, s7, v3, s1
	v_lshlrev_b64 v[0:1], 4, v[0:1]
	s_or_b32 s1, vcc_lo, s0
	s_cmp_lg_u32 s16, 1
	s_delay_alu instid0(VALU_DEP_1) | instskip(NEXT) | instid1(VALU_DEP_2)
	v_add_co_u32 v24, vcc_lo, s6, v0
	v_add_co_ci_u32_e32 v25, vcc_lo, s7, v1, vcc_lo
	s_cselect_b32 s0, -1, 0
	v_cmpx_gt_i32_e64 s11, v14
	s_cbranch_execz .LBB41_51
; %bb.41:
	s_and_saveexec_b32 s5, s1
	s_delay_alu instid0(SALU_CYCLE_1)
	s_xor_b32 s5, exec_lo, s5
	s_cbranch_execz .LBB41_46
; %bb.42:
	v_ashrrev_i32_e32 v15, 31, v14
	s_and_b32 vcc_lo, exec_lo, s0
	s_mov_b32 s6, -1
	s_cbranch_vccz .LBB41_44
; %bb.43:
	s_delay_alu instid0(VALU_DEP_1) | instskip(SKIP_3) | instid1(VALU_DEP_3)
	v_lshlrev_b64 v[0:1], 4, v[14:15]
	v_mul_f64 v[30:31], v[28:29], -v[6:7]
	v_mul_f64 v[32:33], v[4:5], v[28:29]
	s_mov_b32 s6, 0
	v_add_co_u32 v26, vcc_lo, v24, v0
	s_delay_alu instid0(VALU_DEP_4) | instskip(SKIP_4) | instid1(VALU_DEP_2)
	v_add_co_ci_u32_e32 v27, vcc_lo, v25, v1, vcc_lo
	global_load_b128 v[0:3], v[26:27], off
	v_fma_f64 v[30:31], v[4:5], v[22:23], v[30:31]
	v_fma_f64 v[32:33], v[6:7], v[22:23], v[32:33]
	s_waitcnt vmcnt(0)
	v_fma_f64 v[30:31], v[8:9], v[0:1], v[30:31]
	s_delay_alu instid0(VALU_DEP_2) | instskip(NEXT) | instid1(VALU_DEP_2)
	v_fma_f64 v[32:33], v[10:11], v[0:1], v[32:33]
	v_fma_f64 v[0:1], -v[10:11], v[2:3], v[30:31]
	s_delay_alu instid0(VALU_DEP_2)
	v_fma_f64 v[2:3], v[8:9], v[2:3], v[32:33]
	global_store_b128 v[26:27], v[0:3], off
.LBB41_44:
	s_and_not1_b32 vcc_lo, exec_lo, s6
	s_cbranch_vccnz .LBB41_46
; %bb.45:
	v_mul_lo_u32 v2, v15, s2
	v_mul_lo_u32 v3, v14, s3
	v_mad_u64_u32 v[0:1], null, v14, s2, 0
	v_mul_f64 v[26:27], v[28:29], -v[6:7]
	v_mul_f64 v[28:29], v[4:5], v[28:29]
	s_delay_alu instid0(VALU_DEP_3) | instskip(NEXT) | instid1(VALU_DEP_1)
	v_add3_u32 v1, v1, v3, v2
	v_lshlrev_b64 v[0:1], 4, v[0:1]
	s_delay_alu instid0(VALU_DEP_1) | instskip(NEXT) | instid1(VALU_DEP_2)
	v_add_co_u32 v13, vcc_lo, v20, v0
	v_add_co_ci_u32_e32 v14, vcc_lo, v21, v1, vcc_lo
	global_load_b128 v[0:3], v[13:14], off
	v_fma_f64 v[26:27], v[4:5], v[22:23], v[26:27]
	v_fma_f64 v[22:23], v[6:7], v[22:23], v[28:29]
                                        ; implicit-def: $vgpr28_vgpr29
	s_waitcnt vmcnt(0)
	s_delay_alu instid0(VALU_DEP_2) | instskip(NEXT) | instid1(VALU_DEP_2)
	v_fma_f64 v[26:27], v[8:9], v[0:1], v[26:27]
	v_fma_f64 v[22:23], v[10:11], v[0:1], v[22:23]
	s_delay_alu instid0(VALU_DEP_2) | instskip(NEXT) | instid1(VALU_DEP_2)
	v_fma_f64 v[0:1], -v[10:11], v[2:3], v[26:27]
	v_fma_f64 v[2:3], v[8:9], v[2:3], v[22:23]
                                        ; implicit-def: $vgpr22_vgpr23
	global_store_b128 v[13:14], v[0:3], off
                                        ; implicit-def: $vgpr14
.LBB41_46:
	s_and_not1_saveexec_b32 s5, s5
	s_cbranch_execz .LBB41_51
; %bb.47:
	v_mul_f64 v[0:1], v[28:29], -v[6:7]
	v_mul_f64 v[2:3], v[4:5], v[28:29]
	v_ashrrev_i32_e32 v15, 31, v14
	s_and_b32 vcc_lo, exec_lo, s0
	s_mov_b32 s5, -1
	s_delay_alu instid0(VALU_DEP_3) | instskip(NEXT) | instid1(VALU_DEP_3)
	v_fma_f64 v[0:1], v[4:5], v[22:23], v[0:1]
	v_fma_f64 v[2:3], v[6:7], v[22:23], v[2:3]
	s_cbranch_vccz .LBB41_49
; %bb.48:
	v_lshlrev_b64 v[22:23], 4, v[14:15]
	s_mov_b32 s5, 0
	s_delay_alu instid0(VALU_DEP_1) | instskip(NEXT) | instid1(VALU_DEP_2)
	v_add_co_u32 v22, vcc_lo, v24, v22
	v_add_co_ci_u32_e32 v23, vcc_lo, v25, v23, vcc_lo
	global_store_b128 v[22:23], v[0:3], off
.LBB41_49:
	s_and_not1_b32 vcc_lo, exec_lo, s5
	s_cbranch_vccnz .LBB41_51
; %bb.50:
	v_mul_lo_u32 v13, v15, s2
	v_mul_lo_u32 v15, v14, s3
	v_mad_u64_u32 v[22:23], null, v14, s2, 0
	s_delay_alu instid0(VALU_DEP_1) | instskip(NEXT) | instid1(VALU_DEP_1)
	v_add3_u32 v23, v23, v15, v13
	v_lshlrev_b64 v[13:14], 4, v[22:23]
	s_delay_alu instid0(VALU_DEP_1) | instskip(NEXT) | instid1(VALU_DEP_2)
	v_add_co_u32 v13, vcc_lo, v20, v13
	v_add_co_ci_u32_e32 v14, vcc_lo, v21, v14, vcc_lo
	global_store_b128 v[13:14], v[0:3], off
.LBB41_51:
	s_or_b32 exec_lo, exec_lo, s4
	v_cmp_gt_i32_e32 vcc_lo, s11, v12
	s_and_b32 exec_lo, exec_lo, vcc_lo
	s_cbranch_execz .LBB41_62
; %bb.52:
	s_and_saveexec_b32 s4, s1
	s_delay_alu instid0(SALU_CYCLE_1)
	s_xor_b32 s1, exec_lo, s4
	s_cbranch_execz .LBB41_57
; %bb.53:
	v_ashrrev_i32_e32 v13, 31, v12
	s_and_not1_b32 vcc_lo, exec_lo, s0
	s_mov_b32 s4, -1
	s_cbranch_vccnz .LBB41_55
; %bb.54:
	s_delay_alu instid0(VALU_DEP_1) | instskip(SKIP_2) | instid1(VALU_DEP_2)
	v_lshlrev_b64 v[0:1], 4, v[12:13]
	v_mul_f64 v[22:23], v[16:17], -v[6:7]
	s_mov_b32 s4, 0
	v_add_co_u32 v14, vcc_lo, v24, v0
	s_delay_alu instid0(VALU_DEP_3)
	v_add_co_ci_u32_e32 v15, vcc_lo, v25, v1, vcc_lo
	v_mul_f64 v[24:25], v[4:5], v[16:17]
	global_load_b128 v[0:3], v[14:15], off
	v_fma_f64 v[22:23], v[4:5], v[18:19], v[22:23]
	v_fma_f64 v[24:25], v[6:7], v[18:19], v[24:25]
	s_waitcnt vmcnt(0)
	s_delay_alu instid0(VALU_DEP_2) | instskip(NEXT) | instid1(VALU_DEP_2)
	v_fma_f64 v[22:23], v[8:9], v[0:1], v[22:23]
	v_fma_f64 v[24:25], v[10:11], v[0:1], v[24:25]
	s_delay_alu instid0(VALU_DEP_2) | instskip(NEXT) | instid1(VALU_DEP_2)
	v_fma_f64 v[0:1], -v[10:11], v[2:3], v[22:23]
	v_fma_f64 v[2:3], v[8:9], v[2:3], v[24:25]
	global_store_b128 v[14:15], v[0:3], off
.LBB41_55:
	s_and_not1_b32 vcc_lo, exec_lo, s4
                                        ; implicit-def: $vgpr24
                                        ; implicit-def: $vgpr25
	s_cbranch_vccnz .LBB41_57
; %bb.56:
	v_mul_lo_u32 v2, v13, s2
	v_mul_lo_u32 v3, v12, s3
	v_mad_u64_u32 v[0:1], null, v12, s2, 0
	v_mul_f64 v[14:15], v[16:17], -v[6:7]
	v_mul_f64 v[16:17], v[4:5], v[16:17]
                                        ; implicit-def: $vgpr24
                                        ; implicit-def: $vgpr25
	s_delay_alu instid0(VALU_DEP_3) | instskip(NEXT) | instid1(VALU_DEP_1)
	v_add3_u32 v1, v1, v3, v2
	v_lshlrev_b64 v[0:1], 4, v[0:1]
	s_delay_alu instid0(VALU_DEP_1) | instskip(NEXT) | instid1(VALU_DEP_2)
	v_add_co_u32 v12, vcc_lo, v20, v0
	v_add_co_ci_u32_e32 v13, vcc_lo, v21, v1, vcc_lo
                                        ; implicit-def: $vgpr20
                                        ; implicit-def: $vgpr21
	global_load_b128 v[0:3], v[12:13], off
	v_fma_f64 v[4:5], v[4:5], v[18:19], v[14:15]
	v_fma_f64 v[6:7], v[6:7], v[18:19], v[16:17]
                                        ; implicit-def: $vgpr18_vgpr19
                                        ; implicit-def: $vgpr16_vgpr17
	s_waitcnt vmcnt(0)
	s_delay_alu instid0(VALU_DEP_2) | instskip(NEXT) | instid1(VALU_DEP_2)
	v_fma_f64 v[4:5], v[8:9], v[0:1], v[4:5]
	v_fma_f64 v[6:7], v[10:11], v[0:1], v[6:7]
	s_delay_alu instid0(VALU_DEP_2) | instskip(NEXT) | instid1(VALU_DEP_2)
	v_fma_f64 v[0:1], -v[10:11], v[2:3], v[4:5]
	v_fma_f64 v[2:3], v[8:9], v[2:3], v[6:7]
                                        ; implicit-def: $vgpr4_vgpr5
                                        ; implicit-def: $vgpr6_vgpr7
	global_store_b128 v[12:13], v[0:3], off
                                        ; implicit-def: $vgpr12
.LBB41_57:
	s_and_not1_saveexec_b32 s1, s1
	s_cbranch_execz .LBB41_62
; %bb.58:
	v_mul_f64 v[0:1], v[16:17], -v[6:7]
	v_mul_f64 v[2:3], v[4:5], v[16:17]
	v_ashrrev_i32_e32 v13, 31, v12
	s_and_not1_b32 vcc_lo, exec_lo, s0
	s_mov_b32 s0, -1
	s_delay_alu instid0(VALU_DEP_3) | instskip(NEXT) | instid1(VALU_DEP_3)
	v_fma_f64 v[0:1], v[4:5], v[18:19], v[0:1]
	v_fma_f64 v[2:3], v[6:7], v[18:19], v[2:3]
	s_cbranch_vccnz .LBB41_60
; %bb.59:
	v_lshlrev_b64 v[4:5], 4, v[12:13]
	s_mov_b32 s0, 0
	s_delay_alu instid0(VALU_DEP_1) | instskip(NEXT) | instid1(VALU_DEP_2)
	v_add_co_u32 v4, vcc_lo, v24, v4
	v_add_co_ci_u32_e32 v5, vcc_lo, v25, v5, vcc_lo
	global_store_b128 v[4:5], v[0:3], off
.LBB41_60:
	s_and_not1_b32 vcc_lo, exec_lo, s0
	s_cbranch_vccnz .LBB41_62
; %bb.61:
	v_mul_lo_u32 v6, v13, s2
	v_mul_lo_u32 v7, v12, s3
	v_mad_u64_u32 v[4:5], null, v12, s2, 0
	s_delay_alu instid0(VALU_DEP_1) | instskip(NEXT) | instid1(VALU_DEP_1)
	v_add3_u32 v5, v5, v7, v6
	v_lshlrev_b64 v[4:5], 4, v[4:5]
	s_delay_alu instid0(VALU_DEP_1) | instskip(NEXT) | instid1(VALU_DEP_2)
	v_add_co_u32 v4, vcc_lo, v20, v4
	v_add_co_ci_u32_e32 v5, vcc_lo, v21, v5, vcc_lo
	global_store_b128 v[4:5], v[0:3], off
.LBB41_62:
	s_nop 0
	s_sendmsg sendmsg(MSG_DEALLOC_VGPRS)
	s_endpgm
	.section	.rodata,"a",@progbits
	.p2align	6, 0x0
	.amdhsa_kernel _ZN9rocsparseL31bsrmm_large_blockdim_kernel_extILj4ELj16ELj2Eli21rocsparse_complex_numIdES2_S2_S2_EEvb20rocsparse_direction_T3_S4_llNS_24const_host_device_scalarIT7_EEPKT2_PKS4_PKT4_S4_PKT5_llS7_PT6_ll16rocsparse_order_21rocsparse_index_base_b
		.amdhsa_group_segment_fixed_size 3328
		.amdhsa_private_segment_fixed_size 0
		.amdhsa_kernarg_size 156
		.amdhsa_user_sgpr_count 14
		.amdhsa_user_sgpr_dispatch_ptr 1
		.amdhsa_user_sgpr_queue_ptr 0
		.amdhsa_user_sgpr_kernarg_segment_ptr 1
		.amdhsa_user_sgpr_dispatch_id 0
		.amdhsa_user_sgpr_private_segment_size 0
		.amdhsa_wavefront_size32 1
		.amdhsa_uses_dynamic_stack 0
		.amdhsa_enable_private_segment 0
		.amdhsa_system_sgpr_workgroup_id_x 1
		.amdhsa_system_sgpr_workgroup_id_y 1
		.amdhsa_system_sgpr_workgroup_id_z 0
		.amdhsa_system_sgpr_workgroup_info 0
		.amdhsa_system_vgpr_workitem_id 2
		.amdhsa_next_free_vgpr 53
		.amdhsa_next_free_sgpr 36
		.amdhsa_reserve_vcc 1
		.amdhsa_float_round_mode_32 0
		.amdhsa_float_round_mode_16_64 0
		.amdhsa_float_denorm_mode_32 3
		.amdhsa_float_denorm_mode_16_64 3
		.amdhsa_dx10_clamp 1
		.amdhsa_ieee_mode 1
		.amdhsa_fp16_overflow 0
		.amdhsa_workgroup_processor_mode 1
		.amdhsa_memory_ordered 1
		.amdhsa_forward_progress 0
		.amdhsa_shared_vgpr_count 0
		.amdhsa_exception_fp_ieee_invalid_op 0
		.amdhsa_exception_fp_denorm_src 0
		.amdhsa_exception_fp_ieee_div_zero 0
		.amdhsa_exception_fp_ieee_overflow 0
		.amdhsa_exception_fp_ieee_underflow 0
		.amdhsa_exception_fp_ieee_inexact 0
		.amdhsa_exception_int_div_zero 0
	.end_amdhsa_kernel
	.section	.text._ZN9rocsparseL31bsrmm_large_blockdim_kernel_extILj4ELj16ELj2Eli21rocsparse_complex_numIdES2_S2_S2_EEvb20rocsparse_direction_T3_S4_llNS_24const_host_device_scalarIT7_EEPKT2_PKS4_PKT4_S4_PKT5_llS7_PT6_ll16rocsparse_order_21rocsparse_index_base_b,"axG",@progbits,_ZN9rocsparseL31bsrmm_large_blockdim_kernel_extILj4ELj16ELj2Eli21rocsparse_complex_numIdES2_S2_S2_EEvb20rocsparse_direction_T3_S4_llNS_24const_host_device_scalarIT7_EEPKT2_PKS4_PKT4_S4_PKT5_llS7_PT6_ll16rocsparse_order_21rocsparse_index_base_b,comdat
.Lfunc_end41:
	.size	_ZN9rocsparseL31bsrmm_large_blockdim_kernel_extILj4ELj16ELj2Eli21rocsparse_complex_numIdES2_S2_S2_EEvb20rocsparse_direction_T3_S4_llNS_24const_host_device_scalarIT7_EEPKT2_PKS4_PKT4_S4_PKT5_llS7_PT6_ll16rocsparse_order_21rocsparse_index_base_b, .Lfunc_end41-_ZN9rocsparseL31bsrmm_large_blockdim_kernel_extILj4ELj16ELj2Eli21rocsparse_complex_numIdES2_S2_S2_EEvb20rocsparse_direction_T3_S4_llNS_24const_host_device_scalarIT7_EEPKT2_PKS4_PKT4_S4_PKT5_llS7_PT6_ll16rocsparse_order_21rocsparse_index_base_b
                                        ; -- End function
	.section	.AMDGPU.csdata,"",@progbits
; Kernel info:
; codeLenInByte = 3932
; NumSgprs: 38
; NumVgprs: 53
; ScratchSize: 0
; MemoryBound: 0
; FloatMode: 240
; IeeeMode: 1
; LDSByteSize: 3328 bytes/workgroup (compile time only)
; SGPRBlocks: 4
; VGPRBlocks: 6
; NumSGPRsForWavesPerEU: 38
; NumVGPRsForWavesPerEU: 53
; Occupancy: 16
; WaveLimiterHint : 1
; COMPUTE_PGM_RSRC2:SCRATCH_EN: 0
; COMPUTE_PGM_RSRC2:USER_SGPR: 14
; COMPUTE_PGM_RSRC2:TRAP_HANDLER: 0
; COMPUTE_PGM_RSRC2:TGID_X_EN: 1
; COMPUTE_PGM_RSRC2:TGID_Y_EN: 1
; COMPUTE_PGM_RSRC2:TGID_Z_EN: 0
; COMPUTE_PGM_RSRC2:TIDIG_COMP_CNT: 2
	.section	.text._ZN9rocsparseL31bsrmm_large_blockdim_kernel_extILj16ELj16ELj2Eli21rocsparse_complex_numIdES2_S2_S2_EEvb20rocsparse_direction_T3_S4_llNS_24const_host_device_scalarIT7_EEPKT2_PKS4_PKT4_S4_PKT5_llS7_PT6_ll16rocsparse_order_21rocsparse_index_base_b,"axG",@progbits,_ZN9rocsparseL31bsrmm_large_blockdim_kernel_extILj16ELj16ELj2Eli21rocsparse_complex_numIdES2_S2_S2_EEvb20rocsparse_direction_T3_S4_llNS_24const_host_device_scalarIT7_EEPKT2_PKS4_PKT4_S4_PKT5_llS7_PT6_ll16rocsparse_order_21rocsparse_index_base_b,comdat
	.globl	_ZN9rocsparseL31bsrmm_large_blockdim_kernel_extILj16ELj16ELj2Eli21rocsparse_complex_numIdES2_S2_S2_EEvb20rocsparse_direction_T3_S4_llNS_24const_host_device_scalarIT7_EEPKT2_PKS4_PKT4_S4_PKT5_llS7_PT6_ll16rocsparse_order_21rocsparse_index_base_b ; -- Begin function _ZN9rocsparseL31bsrmm_large_blockdim_kernel_extILj16ELj16ELj2Eli21rocsparse_complex_numIdES2_S2_S2_EEvb20rocsparse_direction_T3_S4_llNS_24const_host_device_scalarIT7_EEPKT2_PKS4_PKT4_S4_PKT5_llS7_PT6_ll16rocsparse_order_21rocsparse_index_base_b
	.p2align	8
	.type	_ZN9rocsparseL31bsrmm_large_blockdim_kernel_extILj16ELj16ELj2Eli21rocsparse_complex_numIdES2_S2_S2_EEvb20rocsparse_direction_T3_S4_llNS_24const_host_device_scalarIT7_EEPKT2_PKS4_PKT4_S4_PKT5_llS7_PT6_ll16rocsparse_order_21rocsparse_index_base_b,@function
_ZN9rocsparseL31bsrmm_large_blockdim_kernel_extILj16ELj16ELj2Eli21rocsparse_complex_numIdES2_S2_S2_EEvb20rocsparse_direction_T3_S4_llNS_24const_host_device_scalarIT7_EEPKT2_PKS4_PKT4_S4_PKT5_llS7_PT6_ll16rocsparse_order_21rocsparse_index_base_b: ; @_ZN9rocsparseL31bsrmm_large_blockdim_kernel_extILj16ELj16ELj2Eli21rocsparse_complex_numIdES2_S2_S2_EEvb20rocsparse_direction_T3_S4_llNS_24const_host_device_scalarIT7_EEPKT2_PKS4_PKT4_S4_PKT5_llS7_PT6_ll16rocsparse_order_21rocsparse_index_base_b
; %bb.0:
	s_clause 0x1
	s_load_b128 s[16:19], s[2:3], 0x90
	s_load_b128 s[8:11], s[2:3], 0x20
	s_load_b64 s[6:7], s[0:1], 0x4
	s_mov_b64 s[0:1], src_shared_base
	v_and_b32_e32 v1, 0x3ff, v0
	s_load_b128 s[20:23], s[2:3], 0x68
	v_bfe_u32 v2, v0, 10, 10
	v_bfe_u32 v0, v0, 20, 10
	s_mov_b32 s4, s15
	s_waitcnt lgkmcnt(0)
	s_bitcmp1_b32 s18, 0
	s_cselect_b32 s0, -1, 0
	s_delay_alu instid0(SALU_CYCLE_1)
	s_and_b32 vcc_lo, s0, exec_lo
	s_cselect_b32 s5, s1, s9
	s_lshr_b32 s6, s6, 16
	v_mov_b32_e32 v8, s5
	s_mul_i32 s6, s6, s7
	s_xor_b32 s5, s0, -1
	v_mul_lo_u32 v3, s6, v1
	s_delay_alu instid0(VALU_DEP_1) | instskip(NEXT) | instid1(VALU_DEP_1)
	v_mad_u32_u24 v3, v2, s7, v3
	v_add_lshl_u32 v0, v3, v0, 3
	v_mov_b32_e32 v3, s8
	v_dual_mov_b32 v5, s20 :: v_dual_mov_b32 v4, s9
	s_delay_alu instid0(VALU_DEP_3)
	v_dual_mov_b32 v6, s21 :: v_dual_add_nc_u32 v7, 0x3800, v0
	ds_store_2addr_stride64_b64 v0, v[5:6], v[3:4] offset0:24 offset1:28
	v_cndmask_b32_e64 v7, s8, v7, s0
	v_add_nc_u32_e32 v0, 0x3000, v0
	flat_load_b64 v[4:5], v[7:8]
	v_dual_mov_b32 v6, s10 :: v_dual_mov_b32 v7, s11
	s_cbranch_vccnz .LBB42_2
; %bb.1:
	v_dual_mov_b32 v6, s8 :: v_dual_mov_b32 v7, s9
	flat_load_b64 v[6:7], v[6:7] offset:8
.LBB42_2:
	s_and_b32 s6, s0, exec_lo
	s_cselect_b32 s1, s1, s21
	v_cndmask_b32_e64 v8, s20, v0, s0
	v_dual_mov_b32 v9, s1 :: v_dual_mov_b32 v10, s22
	v_mov_b32_e32 v11, s23
	s_and_not1_b32 vcc_lo, exec_lo, s5
	flat_load_b64 v[8:9], v[8:9]
	s_cbranch_vccnz .LBB42_4
; %bb.3:
	v_dual_mov_b32 v10, s20 :: v_dual_mov_b32 v11, s21
	flat_load_b64 v[10:11], v[10:11] offset:8
.LBB42_4:
	s_waitcnt vmcnt(1) lgkmcnt(1)
	v_cmp_eq_f64_e32 vcc_lo, 0, v[4:5]
	v_cmp_eq_f64_e64 s0, 0, v[6:7]
	s_delay_alu instid0(VALU_DEP_1)
	s_and_b32 s5, vcc_lo, s0
	s_mov_b32 s0, -1
	s_and_saveexec_b32 s1, s5
	s_cbranch_execz .LBB42_6
; %bb.5:
	s_waitcnt vmcnt(0) lgkmcnt(0)
	v_cmp_neq_f64_e32 vcc_lo, 1.0, v[8:9]
	v_cmp_neq_f64_e64 s0, 0, v[10:11]
	s_delay_alu instid0(VALU_DEP_1) | instskip(NEXT) | instid1(SALU_CYCLE_1)
	s_or_b32 s0, vcc_lo, s0
	s_or_not1_b32 s0, s0, exec_lo
.LBB42_6:
	s_or_b32 exec_lo, exec_lo, s1
	s_and_saveexec_b32 s1, s0
	s_cbranch_execz .LBB42_62
; %bb.7:
	s_clause 0x1
	s_load_b128 s[8:11], s[2:3], 0x0
	s_load_b64 s[0:1], s[2:3], 0x30
	s_mov_b64 s[12:13], 0
	s_mov_b64 s[18:19], 0
	s_waitcnt lgkmcnt(0)
	s_cmp_lt_i32 s14, s10
	s_cselect_b32 s28, -1, 0
	s_cmp_ge_i32 s14, s10
	s_cbranch_scc1 .LBB42_9
; %bb.8:
	s_ashr_i32 s15, s14, 31
	s_delay_alu instid0(SALU_CYCLE_1) | instskip(NEXT) | instid1(SALU_CYCLE_1)
	s_lshl_b64 s[6:7], s[14:15], 3
	s_add_u32 s6, s0, s6
	s_addc_u32 s7, s1, s7
	s_load_b64 s[6:7], s[6:7], 0x0
	s_waitcnt lgkmcnt(0)
	s_sub_u32 s18, s6, s17
	s_subb_u32 s19, s7, 0
.LBB42_9:
	s_and_not1_b32 vcc_lo, exec_lo, s28
	s_cbranch_vccnz .LBB42_11
; %bb.10:
	s_ashr_i32 s15, s14, 31
	s_delay_alu instid0(SALU_CYCLE_1) | instskip(NEXT) | instid1(SALU_CYCLE_1)
	s_lshl_b64 s[6:7], s[14:15], 3
	s_add_u32 s0, s0, s6
	s_addc_u32 s1, s1, s7
	s_load_b64 s[0:1], s[0:1], 0x8
	s_waitcnt lgkmcnt(0)
	s_sub_u32 s12, s0, s17
	s_subb_u32 s13, s1, 0
.LBB42_11:
	s_clause 0x1
	s_load_b32 s10, s[2:3], 0x48
	s_load_b64 s[6:7], s[2:3], 0x78
	v_lshl_add_u32 v14, s4, 5, v2
	v_cmp_ge_i64_e64 s0, s[18:19], s[12:13]
	v_mov_b32_e32 v22, 0
	s_delay_alu instid0(VALU_DEP_3) | instskip(SKIP_1) | instid1(VALU_DEP_4)
	v_dual_mov_b32 v23, 0 :: v_dual_add_nc_u32 v12, 16, v14
	v_cmp_gt_i32_e64 s1, s11, v14
	s_and_b32 vcc_lo, exec_lo, s0
	s_delay_alu instid0(VALU_DEP_2)
	v_dual_mov_b32 v29, v23 :: v_dual_mov_b32 v28, v22
	v_dual_mov_b32 v18, v22 :: v_dual_mov_b32 v19, v23
	v_cmp_gt_i32_e64 s4, s11, v12
	v_dual_mov_b32 v16, v22 :: v_dual_mov_b32 v17, v23
	s_waitcnt lgkmcnt(0)
	v_cmp_gt_i32_e64 s0, s10, v1
	s_cbranch_vccnz .LBB42_39
; %bb.12:
	s_clause 0x1
	s_load_b128 s[20:23], s[2:3], 0x38
	s_load_b128 s[24:27], s[2:3], 0x50
	v_mul_lo_u32 v16, v2, s10
	v_dual_mov_b32 v17, 0 :: v_dual_lshlrev_b32 v20, 4, v2
	v_cmp_gt_i32_e32 vcc_lo, s10, v2
	v_lshlrev_b32_e32 v3, 4, v1
	v_ashrrev_i32_e32 v15, 31, v14
	s_delay_alu instid0(VALU_DEP_4)
	v_add_lshl_u32 v30, v20, v1, 4
	v_lshl_add_u32 v35, v1, 8, 0x2000
	v_lshlrev_b64 v[18:19], 4, v[16:17]
	v_mul_lo_u32 v16, v1, s10
	s_and_b32 s15, s0, vcc_lo
	v_add_nc_u32_e32 v0, v3, v2
	s_bitcmp1_b32 s8, 0
	s_cselect_b32 s5, -1, 0
	s_cmp_eq_u32 s9, 0
	s_delay_alu instid0(VALU_DEP_2) | instskip(SKIP_4) | instid1(VALU_DEP_3)
	v_lshlrev_b64 v[16:17], 4, v[16:17]
	s_waitcnt lgkmcnt(0)
	v_add_co_u32 v13, vcc_lo, s22, v18
	v_add_co_ci_u32_e32 v18, vcc_lo, s23, v19, vcc_lo
	v_mul_lo_u32 v24, v14, s27
	v_add_co_u32 v3, vcc_lo, v13, v3
	s_delay_alu instid0(VALU_DEP_3)
	v_add_co_ci_u32_e32 v21, vcc_lo, 0, v18, vcc_lo
	v_add_co_u32 v16, vcc_lo, s22, v16
	v_add_co_ci_u32_e32 v17, vcc_lo, s23, v17, vcc_lo
	v_ashrrev_i32_e32 v13, 31, v12
	v_mul_lo_u32 v25, v15, s26
	v_mad_u64_u32 v[18:19], null, v14, s26, 0
	v_add_co_u32 v16, vcc_lo, v16, v20
	v_mul_lo_u32 v26, v12, s27
	v_mul_lo_u32 v27, v13, s26
	v_mad_u64_u32 v[22:23], null, v12, s26, 0
	v_add_co_ci_u32_e32 v17, vcc_lo, 0, v17, vcc_lo
	s_cselect_b32 vcc_lo, -1, 0
	v_add_nc_u32_e32 v31, 0x1000, v30
	v_dual_cndmask_b32 v34, v3, v16 :: v_dual_lshlrev_b32 v33, 8, v2
	s_delay_alu instid0(VALU_DEP_3)
	v_cndmask_b32_e32 v32, v21, v17, vcc_lo
	v_mov_b32_e32 v16, 0
	v_add3_u32 v19, v19, v24, v25
	v_mov_b32_e32 v17, 0
	v_add3_u32 v23, v23, v26, v27
	s_add_i32 s9, s10, -1
	s_and_b32 s8, s10, 7
	v_add_nc_u32_e32 v36, 0x1000, v33
	v_lshlrev_b64 v[20:21], 4, v[18:19]
	v_mov_b32_e32 v19, v17
	s_cmp_gt_u32 s9, 6
	v_dual_mov_b32 v18, v16 :: v_dual_mov_b32 v29, v17
	v_lshlrev_b64 v[2:3], 4, v[14:15]
	v_lshlrev_b64 v[24:25], 4, v[22:23]
	;; [unrolled: 1-line block ×3, first 2 shown]
	v_dual_mov_b32 v28, v16 :: v_dual_mov_b32 v23, v17
	v_lshl_add_u32 v0, v0, 4, 0x2000
	s_cselect_b32 s9, -1, 0
	s_and_b32 s22, s10, -8
	v_mov_b32_e32 v22, v16
	s_cmp_lg_u32 s8, 0
	s_mul_i32 s23, s10, s10
	s_cselect_b32 s29, -1, 0
	s_branch .LBB42_15
.LBB42_13:                              ;   in Loop: Header=BB42_15 Depth=1
	s_or_b32 exec_lo, exec_lo, s31
.LBB42_14:                              ;   in Loop: Header=BB42_15 Depth=1
	s_delay_alu instid0(SALU_CYCLE_1) | instskip(SKIP_2) | instid1(SALU_CYCLE_1)
	s_or_b32 exec_lo, exec_lo, s30
	s_add_u32 s18, s18, 1
	s_addc_u32 s19, s19, 0
	v_cmp_ge_i64_e64 s30, s[18:19], s[12:13]
	s_barrier
	buffer_gl0_inv
	s_and_b32 vcc_lo, exec_lo, s30
	s_cbranch_vccnz .LBB42_39
.LBB42_15:                              ; =>This Loop Header: Depth=1
                                        ;     Child Loop BB42_26 Depth 2
                                        ;     Child Loop BB42_30 Depth 2
	;; [unrolled: 1-line block ×4, first 2 shown]
	s_and_saveexec_b32 s30, s0
	s_cbranch_execz .LBB42_20
; %bb.16:                               ;   in Loop: Header=BB42_15 Depth=1
	s_lshl_b64 s[34:35], s[18:19], 2
	s_delay_alu instid0(SALU_CYCLE_1) | instskip(SKIP_4) | instid1(SALU_CYCLE_1)
	s_add_u32 s34, s20, s34
	s_addc_u32 s35, s21, s35
	s_load_b32 s31, s[34:35], 0x0
	s_waitcnt lgkmcnt(0)
	s_sub_i32 s31, s31, s17
	v_mad_u64_u32 v[37:38], null, s31, s10, v[1:2]
	s_delay_alu instid0(VALU_DEP_1) | instskip(SKIP_2) | instid1(VALU_DEP_3)
	v_ashrrev_i32_e32 v38, 31, v37
	v_mul_lo_u32 v13, v37, s27
	v_mad_u64_u32 v[39:40], null, v37, s26, 0
	v_mul_lo_u32 v15, v38, s26
	v_lshlrev_b64 v[37:38], 4, v[37:38]
	s_delay_alu instid0(VALU_DEP_2) | instskip(NEXT) | instid1(VALU_DEP_1)
	v_add3_u32 v40, v40, v13, v15
	v_lshlrev_b64 v[39:40], 4, v[39:40]
	s_delay_alu instid0(VALU_DEP_1) | instskip(NEXT) | instid1(VALU_DEP_2)
	v_add_co_u32 v13, vcc_lo, s24, v39
	v_add_co_ci_u32_e32 v15, vcc_lo, s25, v40, vcc_lo
	v_add_co_u32 v37, vcc_lo, s24, v37
	v_add_co_ci_u32_e32 v38, vcc_lo, s25, v38, vcc_lo
	s_and_saveexec_b32 s31, s1
	s_cbranch_execz .LBB42_18
; %bb.17:                               ;   in Loop: Header=BB42_15 Depth=1
	v_add_co_u32 v39, vcc_lo, v13, v2
	v_add_co_ci_u32_e32 v40, vcc_lo, v15, v3, vcc_lo
	v_add_co_u32 v41, vcc_lo, v37, v20
	v_add_co_ci_u32_e32 v42, vcc_lo, v38, v21, vcc_lo
	s_delay_alu instid0(VALU_DEP_2) | instskip(NEXT) | instid1(VALU_DEP_2)
	v_cndmask_b32_e64 v39, v39, v41, s5
	v_cndmask_b32_e64 v40, v40, v42, s5
	global_load_b128 v[39:42], v[39:40], off
	s_waitcnt vmcnt(0)
	ds_store_2addr_b64 v30, v[39:40], v[41:42] offset1:1
.LBB42_18:                              ;   in Loop: Header=BB42_15 Depth=1
	s_or_b32 exec_lo, exec_lo, s31
	s_delay_alu instid0(SALU_CYCLE_1)
	s_and_b32 exec_lo, exec_lo, s4
	s_cbranch_execz .LBB42_20
; %bb.19:                               ;   in Loop: Header=BB42_15 Depth=1
	v_add_co_u32 v37, vcc_lo, v37, v24
	v_add_co_ci_u32_e32 v38, vcc_lo, v38, v25, vcc_lo
	v_add_co_u32 v13, vcc_lo, v13, v26
	v_add_co_ci_u32_e32 v15, vcc_lo, v15, v27, vcc_lo
	s_delay_alu instid0(VALU_DEP_2) | instskip(NEXT) | instid1(VALU_DEP_2)
	v_cndmask_b32_e64 v37, v13, v37, s5
	v_cndmask_b32_e64 v38, v15, v38, s5
	global_load_b128 v[37:40], v[37:38], off
	s_waitcnt vmcnt(0)
	ds_store_2addr_b64 v31, v[37:38], v[39:40] offset1:1
.LBB42_20:                              ;   in Loop: Header=BB42_15 Depth=1
	s_or_b32 exec_lo, exec_lo, s30
	s_and_saveexec_b32 s30, s15
	s_cbranch_execz .LBB42_22
; %bb.21:                               ;   in Loop: Header=BB42_15 Depth=1
	s_mul_i32 s31, s19, s23
	s_mul_hi_u32 s33, s18, s23
	s_mul_i32 s34, s18, s23
	s_add_i32 s35, s33, s31
	s_delay_alu instid0(SALU_CYCLE_1) | instskip(NEXT) | instid1(SALU_CYCLE_1)
	s_lshl_b64 s[34:35], s[34:35], 4
	v_add_co_u32 v37, vcc_lo, v34, s34
	v_add_co_ci_u32_e32 v38, vcc_lo, s35, v32, vcc_lo
	global_load_b128 v[37:40], v[37:38], off
	s_waitcnt vmcnt(0)
	ds_store_2addr_b64 v0, v[37:38], v[39:40] offset1:1
.LBB42_22:                              ;   in Loop: Header=BB42_15 Depth=1
	s_or_b32 exec_lo, exec_lo, s30
	s_waitcnt vmcnt(0) lgkmcnt(0)
	s_barrier
	buffer_gl0_inv
	s_and_saveexec_b32 s30, s0
	s_cbranch_execz .LBB42_14
; %bb.23:                               ;   in Loop: Header=BB42_15 Depth=1
	s_and_saveexec_b32 s31, s1
	s_cbranch_execz .LBB42_31
; %bb.24:                               ;   in Loop: Header=BB42_15 Depth=1
	s_and_not1_b32 vcc_lo, exec_lo, s9
	s_cbranch_vccnz .LBB42_28
; %bb.25:                               ;   in Loop: Header=BB42_15 Depth=1
	v_mov_b32_e32 v13, v35
	v_mov_b32_e32 v15, v33
	s_mov_b32 s33, 0
.LBB42_26:                              ;   Parent Loop BB42_15 Depth=1
                                        ; =>  This Inner Loop Header: Depth=2
	ds_load_b128 v[37:40], v15
	ds_load_b128 v[41:44], v13
	ds_load_b128 v[45:48], v13 offset:16
	ds_load_b128 v[49:52], v15 offset:16
	s_add_i32 s33, s33, 8
	s_delay_alu instid0(SALU_CYCLE_1) | instskip(SKIP_3) | instid1(VALU_DEP_2)
	s_cmp_lg_u32 s22, s33
	s_waitcnt lgkmcnt(2)
	v_fma_f64 v[22:23], v[41:42], v[37:38], v[22:23]
	v_fma_f64 v[28:29], v[43:44], v[37:38], v[28:29]
	v_fma_f64 v[22:23], -v[43:44], v[39:40], v[22:23]
	s_delay_alu instid0(VALU_DEP_2) | instskip(SKIP_1) | instid1(VALU_DEP_2)
	v_fma_f64 v[28:29], v[41:42], v[39:40], v[28:29]
	s_waitcnt lgkmcnt(0)
	v_fma_f64 v[22:23], v[45:46], v[49:50], v[22:23]
	s_delay_alu instid0(VALU_DEP_2) | instskip(NEXT) | instid1(VALU_DEP_2)
	v_fma_f64 v[28:29], v[47:48], v[49:50], v[28:29]
	v_fma_f64 v[22:23], -v[47:48], v[51:52], v[22:23]
	s_delay_alu instid0(VALU_DEP_2)
	v_fma_f64 v[28:29], v[45:46], v[51:52], v[28:29]
	ds_load_b128 v[37:40], v15 offset:32
	ds_load_b128 v[41:44], v13 offset:32
	;; [unrolled: 1-line block ×4, first 2 shown]
	s_waitcnt lgkmcnt(2)
	v_fma_f64 v[22:23], v[41:42], v[37:38], v[22:23]
	v_fma_f64 v[28:29], v[43:44], v[37:38], v[28:29]
	s_delay_alu instid0(VALU_DEP_2) | instskip(NEXT) | instid1(VALU_DEP_2)
	v_fma_f64 v[22:23], -v[43:44], v[39:40], v[22:23]
	v_fma_f64 v[28:29], v[41:42], v[39:40], v[28:29]
	s_waitcnt lgkmcnt(0)
	s_delay_alu instid0(VALU_DEP_2) | instskip(NEXT) | instid1(VALU_DEP_2)
	v_fma_f64 v[22:23], v[45:46], v[49:50], v[22:23]
	v_fma_f64 v[28:29], v[47:48], v[49:50], v[28:29]
	s_delay_alu instid0(VALU_DEP_2) | instskip(NEXT) | instid1(VALU_DEP_2)
	v_fma_f64 v[22:23], -v[47:48], v[51:52], v[22:23]
	v_fma_f64 v[28:29], v[45:46], v[51:52], v[28:29]
	ds_load_b128 v[37:40], v15 offset:64
	ds_load_b128 v[41:44], v13 offset:64
	;; [unrolled: 1-line block ×4, first 2 shown]
	s_waitcnt lgkmcnt(2)
	v_fma_f64 v[22:23], v[41:42], v[37:38], v[22:23]
	v_fma_f64 v[28:29], v[43:44], v[37:38], v[28:29]
	s_delay_alu instid0(VALU_DEP_2) | instskip(NEXT) | instid1(VALU_DEP_2)
	v_fma_f64 v[22:23], -v[43:44], v[39:40], v[22:23]
	v_fma_f64 v[28:29], v[41:42], v[39:40], v[28:29]
	s_waitcnt lgkmcnt(0)
	s_delay_alu instid0(VALU_DEP_2) | instskip(NEXT) | instid1(VALU_DEP_2)
	v_fma_f64 v[22:23], v[45:46], v[49:50], v[22:23]
	v_fma_f64 v[28:29], v[47:48], v[49:50], v[28:29]
	s_delay_alu instid0(VALU_DEP_2) | instskip(NEXT) | instid1(VALU_DEP_2)
	v_fma_f64 v[22:23], -v[47:48], v[51:52], v[22:23]
	v_fma_f64 v[28:29], v[45:46], v[51:52], v[28:29]
	ds_load_b128 v[37:40], v15 offset:96
	ds_load_b128 v[41:44], v13 offset:96
	;; [unrolled: 1-line block ×4, first 2 shown]
	v_add_nc_u32_e32 v15, 0x80, v15
	v_add_nc_u32_e32 v13, 0x80, v13
	s_waitcnt lgkmcnt(2)
	v_fma_f64 v[22:23], v[41:42], v[37:38], v[22:23]
	v_fma_f64 v[28:29], v[43:44], v[37:38], v[28:29]
	s_delay_alu instid0(VALU_DEP_2) | instskip(NEXT) | instid1(VALU_DEP_2)
	v_fma_f64 v[22:23], -v[43:44], v[39:40], v[22:23]
	v_fma_f64 v[28:29], v[41:42], v[39:40], v[28:29]
	s_waitcnt lgkmcnt(0)
	s_delay_alu instid0(VALU_DEP_2) | instskip(NEXT) | instid1(VALU_DEP_2)
	v_fma_f64 v[22:23], v[45:46], v[49:50], v[22:23]
	v_fma_f64 v[28:29], v[47:48], v[49:50], v[28:29]
	s_delay_alu instid0(VALU_DEP_2) | instskip(NEXT) | instid1(VALU_DEP_2)
	v_fma_f64 v[22:23], -v[47:48], v[51:52], v[22:23]
	v_fma_f64 v[28:29], v[45:46], v[51:52], v[28:29]
	s_cbranch_scc1 .LBB42_26
; %bb.27:                               ;   in Loop: Header=BB42_15 Depth=1
	s_mov_b32 s33, s22
	s_and_not1_b32 vcc_lo, exec_lo, s29
	s_cbranch_vccz .LBB42_29
	s_branch .LBB42_31
.LBB42_28:                              ;   in Loop: Header=BB42_15 Depth=1
	s_mov_b32 s33, 0
	s_and_not1_b32 vcc_lo, exec_lo, s29
	s_cbranch_vccnz .LBB42_31
.LBB42_29:                              ;   in Loop: Header=BB42_15 Depth=1
	s_lshl_b32 s33, s33, 4
	s_delay_alu instid0(SALU_CYCLE_1)
	v_add_nc_u32_e32 v13, s33, v33
	v_add_nc_u32_e32 v15, s33, v35
	s_mov_b32 s33, s8
	.p2align	6
.LBB42_30:                              ;   Parent Loop BB42_15 Depth=1
                                        ; =>  This Inner Loop Header: Depth=2
	ds_load_b128 v[37:40], v15
	ds_load_b128 v[41:44], v13
	v_add_nc_u32_e32 v13, 16, v13
	v_add_nc_u32_e32 v15, 16, v15
	s_add_i32 s33, s33, -1
	s_delay_alu instid0(SALU_CYCLE_1) | instskip(SKIP_3) | instid1(VALU_DEP_2)
	s_cmp_lg_u32 s33, 0
	s_waitcnt lgkmcnt(0)
	v_fma_f64 v[22:23], v[37:38], v[41:42], v[22:23]
	v_fma_f64 v[28:29], v[39:40], v[41:42], v[28:29]
	v_fma_f64 v[22:23], -v[39:40], v[43:44], v[22:23]
	s_delay_alu instid0(VALU_DEP_2)
	v_fma_f64 v[28:29], v[37:38], v[43:44], v[28:29]
	s_cbranch_scc1 .LBB42_30
.LBB42_31:                              ;   in Loop: Header=BB42_15 Depth=1
	s_or_b32 exec_lo, exec_lo, s31
	s_and_saveexec_b32 s31, s4
	s_cbranch_execz .LBB42_13
; %bb.32:                               ;   in Loop: Header=BB42_15 Depth=1
	s_and_not1_b32 vcc_lo, exec_lo, s9
	s_cbranch_vccnz .LBB42_36
; %bb.33:                               ;   in Loop: Header=BB42_15 Depth=1
	v_mov_b32_e32 v13, v35
	v_mov_b32_e32 v15, v36
	s_mov_b32 s33, 0
.LBB42_34:                              ;   Parent Loop BB42_15 Depth=1
                                        ; =>  This Inner Loop Header: Depth=2
	ds_load_b128 v[37:40], v15
	ds_load_b128 v[41:44], v13
	ds_load_b128 v[45:48], v13 offset:16
	ds_load_b128 v[49:52], v15 offset:16
	s_add_i32 s33, s33, 8
	s_delay_alu instid0(SALU_CYCLE_1) | instskip(SKIP_3) | instid1(VALU_DEP_2)
	s_cmp_lg_u32 s22, s33
	s_waitcnt lgkmcnt(2)
	v_fma_f64 v[18:19], v[41:42], v[37:38], v[18:19]
	v_fma_f64 v[16:17], v[43:44], v[37:38], v[16:17]
	v_fma_f64 v[18:19], -v[43:44], v[39:40], v[18:19]
	s_delay_alu instid0(VALU_DEP_2) | instskip(SKIP_1) | instid1(VALU_DEP_2)
	v_fma_f64 v[16:17], v[41:42], v[39:40], v[16:17]
	s_waitcnt lgkmcnt(0)
	v_fma_f64 v[18:19], v[45:46], v[49:50], v[18:19]
	s_delay_alu instid0(VALU_DEP_2) | instskip(NEXT) | instid1(VALU_DEP_2)
	v_fma_f64 v[16:17], v[47:48], v[49:50], v[16:17]
	v_fma_f64 v[49:50], -v[47:48], v[51:52], v[18:19]
	s_delay_alu instid0(VALU_DEP_2)
	v_fma_f64 v[51:52], v[45:46], v[51:52], v[16:17]
	ds_load_b128 v[16:19], v15 offset:32
	ds_load_b128 v[37:40], v13 offset:32
	;; [unrolled: 1-line block ×4, first 2 shown]
	s_waitcnt lgkmcnt(2)
	v_fma_f64 v[49:50], v[37:38], v[16:17], v[49:50]
	v_fma_f64 v[16:17], v[39:40], v[16:17], v[51:52]
	s_delay_alu instid0(VALU_DEP_2) | instskip(NEXT) | instid1(VALU_DEP_2)
	v_fma_f64 v[39:40], -v[39:40], v[18:19], v[49:50]
	v_fma_f64 v[16:17], v[37:38], v[18:19], v[16:17]
	s_waitcnt lgkmcnt(0)
	s_delay_alu instid0(VALU_DEP_2) | instskip(NEXT) | instid1(VALU_DEP_2)
	v_fma_f64 v[18:19], v[41:42], v[45:46], v[39:40]
	v_fma_f64 v[16:17], v[43:44], v[45:46], v[16:17]
	s_delay_alu instid0(VALU_DEP_2) | instskip(NEXT) | instid1(VALU_DEP_2)
	v_fma_f64 v[49:50], -v[43:44], v[47:48], v[18:19]
	v_fma_f64 v[51:52], v[41:42], v[47:48], v[16:17]
	ds_load_b128 v[16:19], v15 offset:64
	ds_load_b128 v[37:40], v13 offset:64
	;; [unrolled: 1-line block ×4, first 2 shown]
	s_waitcnt lgkmcnt(2)
	v_fma_f64 v[49:50], v[37:38], v[16:17], v[49:50]
	v_fma_f64 v[16:17], v[39:40], v[16:17], v[51:52]
	s_delay_alu instid0(VALU_DEP_2) | instskip(NEXT) | instid1(VALU_DEP_2)
	v_fma_f64 v[39:40], -v[39:40], v[18:19], v[49:50]
	v_fma_f64 v[16:17], v[37:38], v[18:19], v[16:17]
	s_waitcnt lgkmcnt(0)
	s_delay_alu instid0(VALU_DEP_2) | instskip(NEXT) | instid1(VALU_DEP_2)
	v_fma_f64 v[18:19], v[41:42], v[45:46], v[39:40]
	v_fma_f64 v[16:17], v[43:44], v[45:46], v[16:17]
	s_delay_alu instid0(VALU_DEP_2) | instskip(NEXT) | instid1(VALU_DEP_2)
	v_fma_f64 v[49:50], -v[43:44], v[47:48], v[18:19]
	v_fma_f64 v[51:52], v[41:42], v[47:48], v[16:17]
	ds_load_b128 v[16:19], v15 offset:96
	ds_load_b128 v[37:40], v13 offset:96
	;; [unrolled: 1-line block ×4, first 2 shown]
	v_add_nc_u32_e32 v15, 0x80, v15
	v_add_nc_u32_e32 v13, 0x80, v13
	s_waitcnt lgkmcnt(2)
	v_fma_f64 v[49:50], v[37:38], v[16:17], v[49:50]
	v_fma_f64 v[16:17], v[39:40], v[16:17], v[51:52]
	s_delay_alu instid0(VALU_DEP_2) | instskip(NEXT) | instid1(VALU_DEP_2)
	v_fma_f64 v[39:40], -v[39:40], v[18:19], v[49:50]
	v_fma_f64 v[16:17], v[37:38], v[18:19], v[16:17]
	s_waitcnt lgkmcnt(0)
	s_delay_alu instid0(VALU_DEP_2) | instskip(NEXT) | instid1(VALU_DEP_2)
	v_fma_f64 v[18:19], v[41:42], v[45:46], v[39:40]
	v_fma_f64 v[16:17], v[43:44], v[45:46], v[16:17]
	s_delay_alu instid0(VALU_DEP_2) | instskip(NEXT) | instid1(VALU_DEP_2)
	v_fma_f64 v[18:19], -v[43:44], v[47:48], v[18:19]
	v_fma_f64 v[16:17], v[41:42], v[47:48], v[16:17]
	s_cbranch_scc1 .LBB42_34
; %bb.35:                               ;   in Loop: Header=BB42_15 Depth=1
	s_mov_b32 s33, s22
	s_and_not1_b32 vcc_lo, exec_lo, s29
	s_cbranch_vccz .LBB42_37
	s_branch .LBB42_13
.LBB42_36:                              ;   in Loop: Header=BB42_15 Depth=1
	s_mov_b32 s33, 0
	s_and_not1_b32 vcc_lo, exec_lo, s29
	s_cbranch_vccnz .LBB42_13
.LBB42_37:                              ;   in Loop: Header=BB42_15 Depth=1
	s_lshl_b32 s33, s33, 4
	s_delay_alu instid0(SALU_CYCLE_1)
	v_add_nc_u32_e32 v13, s33, v36
	v_add_nc_u32_e32 v15, s33, v35
	s_mov_b32 s33, s8
	.p2align	6
.LBB42_38:                              ;   Parent Loop BB42_15 Depth=1
                                        ; =>  This Inner Loop Header: Depth=2
	ds_load_b128 v[37:40], v15
	ds_load_b128 v[41:44], v13
	v_add_nc_u32_e32 v13, 16, v13
	v_add_nc_u32_e32 v15, 16, v15
	s_add_i32 s33, s33, -1
	s_delay_alu instid0(SALU_CYCLE_1) | instskip(SKIP_3) | instid1(VALU_DEP_2)
	s_cmp_lg_u32 s33, 0
	s_waitcnt lgkmcnt(0)
	v_fma_f64 v[18:19], v[37:38], v[41:42], v[18:19]
	v_fma_f64 v[16:17], v[39:40], v[41:42], v[16:17]
	v_fma_f64 v[18:19], -v[39:40], v[43:44], v[18:19]
	s_delay_alu instid0(VALU_DEP_2)
	v_fma_f64 v[16:17], v[37:38], v[43:44], v[16:17]
	s_cbranch_scc1 .LBB42_38
	s_branch .LBB42_13
.LBB42_39:
	s_delay_alu instid0(VALU_DEP_1) | instskip(NEXT) | instid1(SALU_CYCLE_1)
	s_and_b32 s0, s28, s0
	s_and_b32 exec_lo, exec_lo, s0
	s_cbranch_execz .LBB42_62
; %bb.40:
	s_load_b64 s[2:3], s[2:3], 0x80
	s_waitcnt vmcnt(0)
	v_cmp_neq_f64_e32 vcc_lo, 0, v[8:9]
	v_cmp_neq_f64_e64 s0, 0, v[10:11]
	v_mad_u64_u32 v[2:3], null, s14, s10, v[1:2]
	s_mov_b32 s4, exec_lo
	s_delay_alu instid0(VALU_DEP_1) | instskip(SKIP_1) | instid1(VALU_DEP_1)
	v_ashrrev_i32_e32 v3, 31, v2
	s_waitcnt lgkmcnt(0)
	v_mul_lo_u32 v13, v3, s2
	v_mul_lo_u32 v15, v2, s3
	v_mad_u64_u32 v[0:1], null, v2, s2, 0
	v_lshlrev_b64 v[2:3], 4, v[2:3]
	s_delay_alu instid0(VALU_DEP_1) | instskip(NEXT) | instid1(VALU_DEP_3)
	v_add_co_u32 v20, s1, s6, v2
	v_add3_u32 v1, v1, v15, v13
	s_delay_alu instid0(VALU_DEP_3) | instskip(NEXT) | instid1(VALU_DEP_2)
	v_add_co_ci_u32_e64 v21, s1, s7, v3, s1
	v_lshlrev_b64 v[0:1], 4, v[0:1]
	s_or_b32 s1, vcc_lo, s0
	s_cmp_lg_u32 s16, 1
	s_delay_alu instid0(VALU_DEP_1) | instskip(NEXT) | instid1(VALU_DEP_2)
	v_add_co_u32 v24, vcc_lo, s6, v0
	v_add_co_ci_u32_e32 v25, vcc_lo, s7, v1, vcc_lo
	s_cselect_b32 s0, -1, 0
	v_cmpx_gt_i32_e64 s11, v14
	s_cbranch_execz .LBB42_51
; %bb.41:
	s_and_saveexec_b32 s5, s1
	s_delay_alu instid0(SALU_CYCLE_1)
	s_xor_b32 s5, exec_lo, s5
	s_cbranch_execz .LBB42_46
; %bb.42:
	v_ashrrev_i32_e32 v15, 31, v14
	s_and_b32 vcc_lo, exec_lo, s0
	s_mov_b32 s6, -1
	s_cbranch_vccz .LBB42_44
; %bb.43:
	s_delay_alu instid0(VALU_DEP_1) | instskip(SKIP_3) | instid1(VALU_DEP_3)
	v_lshlrev_b64 v[0:1], 4, v[14:15]
	v_mul_f64 v[30:31], v[28:29], -v[6:7]
	v_mul_f64 v[32:33], v[4:5], v[28:29]
	s_mov_b32 s6, 0
	v_add_co_u32 v26, vcc_lo, v24, v0
	s_delay_alu instid0(VALU_DEP_4) | instskip(SKIP_4) | instid1(VALU_DEP_2)
	v_add_co_ci_u32_e32 v27, vcc_lo, v25, v1, vcc_lo
	global_load_b128 v[0:3], v[26:27], off
	v_fma_f64 v[30:31], v[4:5], v[22:23], v[30:31]
	v_fma_f64 v[32:33], v[6:7], v[22:23], v[32:33]
	s_waitcnt vmcnt(0)
	v_fma_f64 v[30:31], v[8:9], v[0:1], v[30:31]
	s_delay_alu instid0(VALU_DEP_2) | instskip(NEXT) | instid1(VALU_DEP_2)
	v_fma_f64 v[32:33], v[10:11], v[0:1], v[32:33]
	v_fma_f64 v[0:1], -v[10:11], v[2:3], v[30:31]
	s_delay_alu instid0(VALU_DEP_2)
	v_fma_f64 v[2:3], v[8:9], v[2:3], v[32:33]
	global_store_b128 v[26:27], v[0:3], off
.LBB42_44:
	s_and_not1_b32 vcc_lo, exec_lo, s6
	s_cbranch_vccnz .LBB42_46
; %bb.45:
	v_mul_lo_u32 v2, v15, s2
	v_mul_lo_u32 v3, v14, s3
	v_mad_u64_u32 v[0:1], null, v14, s2, 0
	v_mul_f64 v[26:27], v[28:29], -v[6:7]
	v_mul_f64 v[28:29], v[4:5], v[28:29]
	s_delay_alu instid0(VALU_DEP_3) | instskip(NEXT) | instid1(VALU_DEP_1)
	v_add3_u32 v1, v1, v3, v2
	v_lshlrev_b64 v[0:1], 4, v[0:1]
	s_delay_alu instid0(VALU_DEP_1) | instskip(NEXT) | instid1(VALU_DEP_2)
	v_add_co_u32 v13, vcc_lo, v20, v0
	v_add_co_ci_u32_e32 v14, vcc_lo, v21, v1, vcc_lo
	global_load_b128 v[0:3], v[13:14], off
	v_fma_f64 v[26:27], v[4:5], v[22:23], v[26:27]
	v_fma_f64 v[22:23], v[6:7], v[22:23], v[28:29]
                                        ; implicit-def: $vgpr28_vgpr29
	s_waitcnt vmcnt(0)
	s_delay_alu instid0(VALU_DEP_2) | instskip(NEXT) | instid1(VALU_DEP_2)
	v_fma_f64 v[26:27], v[8:9], v[0:1], v[26:27]
	v_fma_f64 v[22:23], v[10:11], v[0:1], v[22:23]
	s_delay_alu instid0(VALU_DEP_2) | instskip(NEXT) | instid1(VALU_DEP_2)
	v_fma_f64 v[0:1], -v[10:11], v[2:3], v[26:27]
	v_fma_f64 v[2:3], v[8:9], v[2:3], v[22:23]
                                        ; implicit-def: $vgpr22_vgpr23
	global_store_b128 v[13:14], v[0:3], off
                                        ; implicit-def: $vgpr14
.LBB42_46:
	s_and_not1_saveexec_b32 s5, s5
	s_cbranch_execz .LBB42_51
; %bb.47:
	v_mul_f64 v[0:1], v[28:29], -v[6:7]
	v_mul_f64 v[2:3], v[4:5], v[28:29]
	v_ashrrev_i32_e32 v15, 31, v14
	s_and_b32 vcc_lo, exec_lo, s0
	s_mov_b32 s5, -1
	s_delay_alu instid0(VALU_DEP_3) | instskip(NEXT) | instid1(VALU_DEP_3)
	v_fma_f64 v[0:1], v[4:5], v[22:23], v[0:1]
	v_fma_f64 v[2:3], v[6:7], v[22:23], v[2:3]
	s_cbranch_vccz .LBB42_49
; %bb.48:
	v_lshlrev_b64 v[22:23], 4, v[14:15]
	s_mov_b32 s5, 0
	s_delay_alu instid0(VALU_DEP_1) | instskip(NEXT) | instid1(VALU_DEP_2)
	v_add_co_u32 v22, vcc_lo, v24, v22
	v_add_co_ci_u32_e32 v23, vcc_lo, v25, v23, vcc_lo
	global_store_b128 v[22:23], v[0:3], off
.LBB42_49:
	s_and_not1_b32 vcc_lo, exec_lo, s5
	s_cbranch_vccnz .LBB42_51
; %bb.50:
	v_mul_lo_u32 v13, v15, s2
	v_mul_lo_u32 v15, v14, s3
	v_mad_u64_u32 v[22:23], null, v14, s2, 0
	s_delay_alu instid0(VALU_DEP_1) | instskip(NEXT) | instid1(VALU_DEP_1)
	v_add3_u32 v23, v23, v15, v13
	v_lshlrev_b64 v[13:14], 4, v[22:23]
	s_delay_alu instid0(VALU_DEP_1) | instskip(NEXT) | instid1(VALU_DEP_2)
	v_add_co_u32 v13, vcc_lo, v20, v13
	v_add_co_ci_u32_e32 v14, vcc_lo, v21, v14, vcc_lo
	global_store_b128 v[13:14], v[0:3], off
.LBB42_51:
	s_or_b32 exec_lo, exec_lo, s4
	v_cmp_gt_i32_e32 vcc_lo, s11, v12
	s_and_b32 exec_lo, exec_lo, vcc_lo
	s_cbranch_execz .LBB42_62
; %bb.52:
	s_and_saveexec_b32 s4, s1
	s_delay_alu instid0(SALU_CYCLE_1)
	s_xor_b32 s1, exec_lo, s4
	s_cbranch_execz .LBB42_57
; %bb.53:
	v_ashrrev_i32_e32 v13, 31, v12
	s_and_not1_b32 vcc_lo, exec_lo, s0
	s_mov_b32 s4, -1
	s_cbranch_vccnz .LBB42_55
; %bb.54:
	s_delay_alu instid0(VALU_DEP_1) | instskip(SKIP_2) | instid1(VALU_DEP_2)
	v_lshlrev_b64 v[0:1], 4, v[12:13]
	v_mul_f64 v[22:23], v[16:17], -v[6:7]
	s_mov_b32 s4, 0
	v_add_co_u32 v14, vcc_lo, v24, v0
	s_delay_alu instid0(VALU_DEP_3)
	v_add_co_ci_u32_e32 v15, vcc_lo, v25, v1, vcc_lo
	v_mul_f64 v[24:25], v[4:5], v[16:17]
	global_load_b128 v[0:3], v[14:15], off
	v_fma_f64 v[22:23], v[4:5], v[18:19], v[22:23]
	v_fma_f64 v[24:25], v[6:7], v[18:19], v[24:25]
	s_waitcnt vmcnt(0)
	s_delay_alu instid0(VALU_DEP_2) | instskip(NEXT) | instid1(VALU_DEP_2)
	v_fma_f64 v[22:23], v[8:9], v[0:1], v[22:23]
	v_fma_f64 v[24:25], v[10:11], v[0:1], v[24:25]
	s_delay_alu instid0(VALU_DEP_2) | instskip(NEXT) | instid1(VALU_DEP_2)
	v_fma_f64 v[0:1], -v[10:11], v[2:3], v[22:23]
	v_fma_f64 v[2:3], v[8:9], v[2:3], v[24:25]
	global_store_b128 v[14:15], v[0:3], off
.LBB42_55:
	s_and_not1_b32 vcc_lo, exec_lo, s4
                                        ; implicit-def: $vgpr24
                                        ; implicit-def: $vgpr25
	s_cbranch_vccnz .LBB42_57
; %bb.56:
	v_mul_lo_u32 v2, v13, s2
	v_mul_lo_u32 v3, v12, s3
	v_mad_u64_u32 v[0:1], null, v12, s2, 0
	v_mul_f64 v[14:15], v[16:17], -v[6:7]
	v_mul_f64 v[16:17], v[4:5], v[16:17]
                                        ; implicit-def: $vgpr24
                                        ; implicit-def: $vgpr25
	s_delay_alu instid0(VALU_DEP_3) | instskip(NEXT) | instid1(VALU_DEP_1)
	v_add3_u32 v1, v1, v3, v2
	v_lshlrev_b64 v[0:1], 4, v[0:1]
	s_delay_alu instid0(VALU_DEP_1) | instskip(NEXT) | instid1(VALU_DEP_2)
	v_add_co_u32 v12, vcc_lo, v20, v0
	v_add_co_ci_u32_e32 v13, vcc_lo, v21, v1, vcc_lo
                                        ; implicit-def: $vgpr20
                                        ; implicit-def: $vgpr21
	global_load_b128 v[0:3], v[12:13], off
	v_fma_f64 v[4:5], v[4:5], v[18:19], v[14:15]
	v_fma_f64 v[6:7], v[6:7], v[18:19], v[16:17]
                                        ; implicit-def: $vgpr18_vgpr19
                                        ; implicit-def: $vgpr16_vgpr17
	s_waitcnt vmcnt(0)
	s_delay_alu instid0(VALU_DEP_2) | instskip(NEXT) | instid1(VALU_DEP_2)
	v_fma_f64 v[4:5], v[8:9], v[0:1], v[4:5]
	v_fma_f64 v[6:7], v[10:11], v[0:1], v[6:7]
	s_delay_alu instid0(VALU_DEP_2) | instskip(NEXT) | instid1(VALU_DEP_2)
	v_fma_f64 v[0:1], -v[10:11], v[2:3], v[4:5]
	v_fma_f64 v[2:3], v[8:9], v[2:3], v[6:7]
                                        ; implicit-def: $vgpr4_vgpr5
                                        ; implicit-def: $vgpr6_vgpr7
	global_store_b128 v[12:13], v[0:3], off
                                        ; implicit-def: $vgpr12
.LBB42_57:
	s_and_not1_saveexec_b32 s1, s1
	s_cbranch_execz .LBB42_62
; %bb.58:
	v_mul_f64 v[0:1], v[16:17], -v[6:7]
	v_mul_f64 v[2:3], v[4:5], v[16:17]
	v_ashrrev_i32_e32 v13, 31, v12
	s_and_not1_b32 vcc_lo, exec_lo, s0
	s_mov_b32 s0, -1
	s_delay_alu instid0(VALU_DEP_3) | instskip(NEXT) | instid1(VALU_DEP_3)
	v_fma_f64 v[0:1], v[4:5], v[18:19], v[0:1]
	v_fma_f64 v[2:3], v[6:7], v[18:19], v[2:3]
	s_cbranch_vccnz .LBB42_60
; %bb.59:
	v_lshlrev_b64 v[4:5], 4, v[12:13]
	s_mov_b32 s0, 0
	s_delay_alu instid0(VALU_DEP_1) | instskip(NEXT) | instid1(VALU_DEP_2)
	v_add_co_u32 v4, vcc_lo, v24, v4
	v_add_co_ci_u32_e32 v5, vcc_lo, v25, v5, vcc_lo
	global_store_b128 v[4:5], v[0:3], off
.LBB42_60:
	s_and_not1_b32 vcc_lo, exec_lo, s0
	s_cbranch_vccnz .LBB42_62
; %bb.61:
	v_mul_lo_u32 v6, v13, s2
	v_mul_lo_u32 v7, v12, s3
	v_mad_u64_u32 v[4:5], null, v12, s2, 0
	s_delay_alu instid0(VALU_DEP_1) | instskip(NEXT) | instid1(VALU_DEP_1)
	v_add3_u32 v5, v5, v7, v6
	v_lshlrev_b64 v[4:5], 4, v[4:5]
	s_delay_alu instid0(VALU_DEP_1) | instskip(NEXT) | instid1(VALU_DEP_2)
	v_add_co_u32 v4, vcc_lo, v20, v4
	v_add_co_ci_u32_e32 v5, vcc_lo, v21, v5, vcc_lo
	global_store_b128 v[4:5], v[0:3], off
.LBB42_62:
	s_nop 0
	s_sendmsg sendmsg(MSG_DEALLOC_VGPRS)
	s_endpgm
	.section	.rodata,"a",@progbits
	.p2align	6, 0x0
	.amdhsa_kernel _ZN9rocsparseL31bsrmm_large_blockdim_kernel_extILj16ELj16ELj2Eli21rocsparse_complex_numIdES2_S2_S2_EEvb20rocsparse_direction_T3_S4_llNS_24const_host_device_scalarIT7_EEPKT2_PKS4_PKT4_S4_PKT5_llS7_PT6_ll16rocsparse_order_21rocsparse_index_base_b
		.amdhsa_group_segment_fixed_size 16384
		.amdhsa_private_segment_fixed_size 0
		.amdhsa_kernarg_size 156
		.amdhsa_user_sgpr_count 14
		.amdhsa_user_sgpr_dispatch_ptr 1
		.amdhsa_user_sgpr_queue_ptr 0
		.amdhsa_user_sgpr_kernarg_segment_ptr 1
		.amdhsa_user_sgpr_dispatch_id 0
		.amdhsa_user_sgpr_private_segment_size 0
		.amdhsa_wavefront_size32 1
		.amdhsa_uses_dynamic_stack 0
		.amdhsa_enable_private_segment 0
		.amdhsa_system_sgpr_workgroup_id_x 1
		.amdhsa_system_sgpr_workgroup_id_y 1
		.amdhsa_system_sgpr_workgroup_id_z 0
		.amdhsa_system_sgpr_workgroup_info 0
		.amdhsa_system_vgpr_workitem_id 2
		.amdhsa_next_free_vgpr 53
		.amdhsa_next_free_sgpr 36
		.amdhsa_reserve_vcc 1
		.amdhsa_float_round_mode_32 0
		.amdhsa_float_round_mode_16_64 0
		.amdhsa_float_denorm_mode_32 3
		.amdhsa_float_denorm_mode_16_64 3
		.amdhsa_dx10_clamp 1
		.amdhsa_ieee_mode 1
		.amdhsa_fp16_overflow 0
		.amdhsa_workgroup_processor_mode 1
		.amdhsa_memory_ordered 1
		.amdhsa_forward_progress 0
		.amdhsa_shared_vgpr_count 0
		.amdhsa_exception_fp_ieee_invalid_op 0
		.amdhsa_exception_fp_denorm_src 0
		.amdhsa_exception_fp_ieee_div_zero 0
		.amdhsa_exception_fp_ieee_overflow 0
		.amdhsa_exception_fp_ieee_underflow 0
		.amdhsa_exception_fp_ieee_inexact 0
		.amdhsa_exception_int_div_zero 0
	.end_amdhsa_kernel
	.section	.text._ZN9rocsparseL31bsrmm_large_blockdim_kernel_extILj16ELj16ELj2Eli21rocsparse_complex_numIdES2_S2_S2_EEvb20rocsparse_direction_T3_S4_llNS_24const_host_device_scalarIT7_EEPKT2_PKS4_PKT4_S4_PKT5_llS7_PT6_ll16rocsparse_order_21rocsparse_index_base_b,"axG",@progbits,_ZN9rocsparseL31bsrmm_large_blockdim_kernel_extILj16ELj16ELj2Eli21rocsparse_complex_numIdES2_S2_S2_EEvb20rocsparse_direction_T3_S4_llNS_24const_host_device_scalarIT7_EEPKT2_PKS4_PKT4_S4_PKT5_llS7_PT6_ll16rocsparse_order_21rocsparse_index_base_b,comdat
.Lfunc_end42:
	.size	_ZN9rocsparseL31bsrmm_large_blockdim_kernel_extILj16ELj16ELj2Eli21rocsparse_complex_numIdES2_S2_S2_EEvb20rocsparse_direction_T3_S4_llNS_24const_host_device_scalarIT7_EEPKT2_PKS4_PKT4_S4_PKT5_llS7_PT6_ll16rocsparse_order_21rocsparse_index_base_b, .Lfunc_end42-_ZN9rocsparseL31bsrmm_large_blockdim_kernel_extILj16ELj16ELj2Eli21rocsparse_complex_numIdES2_S2_S2_EEvb20rocsparse_direction_T3_S4_llNS_24const_host_device_scalarIT7_EEPKT2_PKS4_PKT4_S4_PKT5_llS7_PT6_ll16rocsparse_order_21rocsparse_index_base_b
                                        ; -- End function
	.section	.AMDGPU.csdata,"",@progbits
; Kernel info:
; codeLenInByte = 3928
; NumSgprs: 38
; NumVgprs: 53
; ScratchSize: 0
; MemoryBound: 0
; FloatMode: 240
; IeeeMode: 1
; LDSByteSize: 16384 bytes/workgroup (compile time only)
; SGPRBlocks: 4
; VGPRBlocks: 6
; NumSGPRsForWavesPerEU: 38
; NumVGPRsForWavesPerEU: 53
; Occupancy: 16
; WaveLimiterHint : 1
; COMPUTE_PGM_RSRC2:SCRATCH_EN: 0
; COMPUTE_PGM_RSRC2:USER_SGPR: 14
; COMPUTE_PGM_RSRC2:TRAP_HANDLER: 0
; COMPUTE_PGM_RSRC2:TGID_X_EN: 1
; COMPUTE_PGM_RSRC2:TGID_Y_EN: 1
; COMPUTE_PGM_RSRC2:TGID_Z_EN: 0
; COMPUTE_PGM_RSRC2:TIDIG_COMP_CNT: 2
	.section	.text._ZN9rocsparseL31bsrmm_large_blockdim_kernel_extILj32ELj32ELj2Eli21rocsparse_complex_numIdES2_S2_S2_EEvb20rocsparse_direction_T3_S4_llNS_24const_host_device_scalarIT7_EEPKT2_PKS4_PKT4_S4_PKT5_llS7_PT6_ll16rocsparse_order_21rocsparse_index_base_b,"axG",@progbits,_ZN9rocsparseL31bsrmm_large_blockdim_kernel_extILj32ELj32ELj2Eli21rocsparse_complex_numIdES2_S2_S2_EEvb20rocsparse_direction_T3_S4_llNS_24const_host_device_scalarIT7_EEPKT2_PKS4_PKT4_S4_PKT5_llS7_PT6_ll16rocsparse_order_21rocsparse_index_base_b,comdat
	.globl	_ZN9rocsparseL31bsrmm_large_blockdim_kernel_extILj32ELj32ELj2Eli21rocsparse_complex_numIdES2_S2_S2_EEvb20rocsparse_direction_T3_S4_llNS_24const_host_device_scalarIT7_EEPKT2_PKS4_PKT4_S4_PKT5_llS7_PT6_ll16rocsparse_order_21rocsparse_index_base_b ; -- Begin function _ZN9rocsparseL31bsrmm_large_blockdim_kernel_extILj32ELj32ELj2Eli21rocsparse_complex_numIdES2_S2_S2_EEvb20rocsparse_direction_T3_S4_llNS_24const_host_device_scalarIT7_EEPKT2_PKS4_PKT4_S4_PKT5_llS7_PT6_ll16rocsparse_order_21rocsparse_index_base_b
	.p2align	8
	.type	_ZN9rocsparseL31bsrmm_large_blockdim_kernel_extILj32ELj32ELj2Eli21rocsparse_complex_numIdES2_S2_S2_EEvb20rocsparse_direction_T3_S4_llNS_24const_host_device_scalarIT7_EEPKT2_PKS4_PKT4_S4_PKT5_llS7_PT6_ll16rocsparse_order_21rocsparse_index_base_b,@function
_ZN9rocsparseL31bsrmm_large_blockdim_kernel_extILj32ELj32ELj2Eli21rocsparse_complex_numIdES2_S2_S2_EEvb20rocsparse_direction_T3_S4_llNS_24const_host_device_scalarIT7_EEPKT2_PKS4_PKT4_S4_PKT5_llS7_PT6_ll16rocsparse_order_21rocsparse_index_base_b: ; @_ZN9rocsparseL31bsrmm_large_blockdim_kernel_extILj32ELj32ELj2Eli21rocsparse_complex_numIdES2_S2_S2_EEvb20rocsparse_direction_T3_S4_llNS_24const_host_device_scalarIT7_EEPKT2_PKS4_PKT4_S4_PKT5_llS7_PT6_ll16rocsparse_order_21rocsparse_index_base_b
; %bb.0:
	s_clause 0x1
	s_load_b128 s[16:19], s[2:3], 0x90
	s_load_b128 s[8:11], s[2:3], 0x20
	s_load_b64 s[6:7], s[0:1], 0x4
	s_mov_b64 s[0:1], src_shared_base
	v_and_b32_e32 v1, 0x3ff, v0
	s_load_b128 s[20:23], s[2:3], 0x68
	v_bfe_u32 v2, v0, 10, 10
	v_bfe_u32 v0, v0, 20, 10
	s_mov_b32 s4, s15
	s_waitcnt lgkmcnt(0)
	s_bitcmp1_b32 s18, 0
	s_cselect_b32 s0, -1, 0
	s_delay_alu instid0(SALU_CYCLE_1)
	s_and_b32 vcc_lo, s0, exec_lo
	s_cselect_b32 s5, s1, s9
	s_lshr_b32 s6, s6, 16
	v_mov_b32_e32 v8, s5
	s_mul_i32 s6, s6, s7
	s_xor_b32 s5, s0, -1
	v_mul_lo_u32 v3, s6, v1
	s_delay_alu instid0(VALU_DEP_1) | instskip(NEXT) | instid1(VALU_DEP_1)
	v_mad_u32_u24 v3, v2, s7, v3
	v_add_lshl_u32 v0, v3, v0, 3
	v_mov_b32_e32 v3, s8
	v_dual_mov_b32 v5, s20 :: v_dual_mov_b32 v4, s9
	s_delay_alu instid0(VALU_DEP_3)
	v_dual_mov_b32 v6, s21 :: v_dual_add_nc_u32 v7, 0xe000, v0
	ds_store_2addr_stride64_b64 v0, v[5:6], v[3:4] offset0:96 offset1:112
	v_cndmask_b32_e64 v7, s8, v7, s0
	v_add_nc_u32_e32 v0, 0xc000, v0
	flat_load_b64 v[4:5], v[7:8]
	v_dual_mov_b32 v6, s10 :: v_dual_mov_b32 v7, s11
	s_cbranch_vccnz .LBB43_2
; %bb.1:
	v_dual_mov_b32 v6, s8 :: v_dual_mov_b32 v7, s9
	flat_load_b64 v[6:7], v[6:7] offset:8
.LBB43_2:
	s_and_b32 s6, s0, exec_lo
	s_cselect_b32 s1, s1, s21
	v_cndmask_b32_e64 v8, s20, v0, s0
	v_dual_mov_b32 v9, s1 :: v_dual_mov_b32 v10, s22
	v_mov_b32_e32 v11, s23
	s_and_not1_b32 vcc_lo, exec_lo, s5
	flat_load_b64 v[8:9], v[8:9]
	s_cbranch_vccnz .LBB43_4
; %bb.3:
	v_dual_mov_b32 v10, s20 :: v_dual_mov_b32 v11, s21
	flat_load_b64 v[10:11], v[10:11] offset:8
.LBB43_4:
	s_waitcnt vmcnt(1) lgkmcnt(1)
	v_cmp_eq_f64_e32 vcc_lo, 0, v[4:5]
	v_cmp_eq_f64_e64 s0, 0, v[6:7]
	s_delay_alu instid0(VALU_DEP_1)
	s_and_b32 s5, vcc_lo, s0
	s_mov_b32 s0, -1
	s_and_saveexec_b32 s1, s5
	s_cbranch_execz .LBB43_6
; %bb.5:
	s_waitcnt vmcnt(0) lgkmcnt(0)
	v_cmp_neq_f64_e32 vcc_lo, 1.0, v[8:9]
	v_cmp_neq_f64_e64 s0, 0, v[10:11]
	s_delay_alu instid0(VALU_DEP_1) | instskip(NEXT) | instid1(SALU_CYCLE_1)
	s_or_b32 s0, vcc_lo, s0
	s_or_not1_b32 s0, s0, exec_lo
.LBB43_6:
	s_or_b32 exec_lo, exec_lo, s1
	s_and_saveexec_b32 s1, s0
	s_cbranch_execz .LBB43_62
; %bb.7:
	s_clause 0x1
	s_load_b128 s[8:11], s[2:3], 0x0
	s_load_b64 s[0:1], s[2:3], 0x30
	s_mov_b64 s[12:13], 0
	s_mov_b64 s[18:19], 0
	s_waitcnt lgkmcnt(0)
	s_cmp_lt_i32 s14, s10
	s_cselect_b32 s28, -1, 0
	s_cmp_ge_i32 s14, s10
	s_cbranch_scc1 .LBB43_9
; %bb.8:
	s_ashr_i32 s15, s14, 31
	s_delay_alu instid0(SALU_CYCLE_1) | instskip(NEXT) | instid1(SALU_CYCLE_1)
	s_lshl_b64 s[6:7], s[14:15], 3
	s_add_u32 s6, s0, s6
	s_addc_u32 s7, s1, s7
	s_load_b64 s[6:7], s[6:7], 0x0
	s_waitcnt lgkmcnt(0)
	s_sub_u32 s18, s6, s17
	s_subb_u32 s19, s7, 0
.LBB43_9:
	s_and_not1_b32 vcc_lo, exec_lo, s28
	s_cbranch_vccnz .LBB43_11
; %bb.10:
	s_ashr_i32 s15, s14, 31
	s_delay_alu instid0(SALU_CYCLE_1) | instskip(NEXT) | instid1(SALU_CYCLE_1)
	s_lshl_b64 s[6:7], s[14:15], 3
	s_add_u32 s0, s0, s6
	s_addc_u32 s1, s1, s7
	s_load_b64 s[0:1], s[0:1], 0x8
	s_waitcnt lgkmcnt(0)
	s_sub_u32 s12, s0, s17
	s_subb_u32 s13, s1, 0
.LBB43_11:
	s_clause 0x1
	s_load_b32 s10, s[2:3], 0x48
	s_load_b64 s[6:7], s[2:3], 0x78
	v_lshl_add_u32 v14, s4, 6, v2
	v_cmp_ge_i64_e64 s0, s[18:19], s[12:13]
	v_mov_b32_e32 v22, 0
	s_delay_alu instid0(VALU_DEP_3) | instskip(SKIP_1) | instid1(VALU_DEP_4)
	v_dual_mov_b32 v23, 0 :: v_dual_add_nc_u32 v12, 32, v14
	v_cmp_gt_i32_e64 s1, s11, v14
	s_and_b32 vcc_lo, exec_lo, s0
	s_delay_alu instid0(VALU_DEP_2)
	v_dual_mov_b32 v29, v23 :: v_dual_mov_b32 v28, v22
	v_dual_mov_b32 v18, v22 :: v_dual_mov_b32 v19, v23
	v_cmp_gt_i32_e64 s4, s11, v12
	v_dual_mov_b32 v16, v22 :: v_dual_mov_b32 v17, v23
	s_waitcnt lgkmcnt(0)
	v_cmp_gt_i32_e64 s0, s10, v1
	s_cbranch_vccnz .LBB43_39
; %bb.12:
	s_clause 0x1
	s_load_b128 s[20:23], s[2:3], 0x38
	s_load_b128 s[24:27], s[2:3], 0x50
	v_mul_lo_u32 v16, v2, s10
	v_dual_mov_b32 v17, 0 :: v_dual_lshlrev_b32 v24, 4, v2
	v_cmp_gt_i32_e32 vcc_lo, s10, v2
	v_lshlrev_b32_e32 v13, 4, v1
	v_ashrrev_i32_e32 v15, 31, v14
	v_lshl_add_u32 v0, v1, 5, v2
	v_lshl_add_u32 v35, v1, 9, 0x8000
	v_lshlrev_b64 v[18:19], 4, v[16:17]
	v_mul_lo_u32 v16, v1, s10
	s_and_b32 s15, s0, vcc_lo
	s_bitcmp1_b32 s8, 0
	v_lshl_add_u32 v0, v0, 4, 0x8000
	s_cselect_b32 s5, -1, 0
	s_cmp_eq_u32 s9, 0
	s_delay_alu instid0(VALU_DEP_2) | instskip(SKIP_4) | instid1(VALU_DEP_3)
	v_lshlrev_b64 v[16:17], 4, v[16:17]
	s_waitcnt lgkmcnt(0)
	v_add_co_u32 v18, vcc_lo, s22, v18
	v_add_co_ci_u32_e32 v19, vcc_lo, s23, v19, vcc_lo
	v_mul_lo_u32 v25, v14, s27
	v_add_co_u32 v20, vcc_lo, v18, v13
	s_delay_alu instid0(VALU_DEP_3)
	v_add_co_ci_u32_e32 v21, vcc_lo, 0, v19, vcc_lo
	v_lshlrev_b32_e32 v3, 5, v2
	v_add_co_u32 v16, vcc_lo, s22, v16
	v_ashrrev_i32_e32 v13, 31, v12
	v_add_co_ci_u32_e32 v17, vcc_lo, s23, v17, vcc_lo
	v_mul_lo_u32 v26, v15, s26
	v_mad_u64_u32 v[18:19], null, v14, s26, 0
	v_add_lshl_u32 v30, v3, v1, 4
	v_add_co_u32 v3, vcc_lo, v16, v24
	v_mul_lo_u32 v27, v12, s27
	v_mul_lo_u32 v28, v13, s26
	v_mad_u64_u32 v[22:23], null, v12, s26, 0
	v_add_co_ci_u32_e32 v16, vcc_lo, 0, v17, vcc_lo
	s_cselect_b32 vcc_lo, -1, 0
	v_add_nc_u32_e32 v31, 0x4000, v30
	v_add3_u32 v19, v19, v25, v26
	s_delay_alu instid0(VALU_DEP_3)
	v_cndmask_b32_e32 v32, v21, v16, vcc_lo
	v_mov_b32_e32 v16, 0
	v_mov_b32_e32 v17, 0
	v_add3_u32 v23, v23, v27, v28
	v_lshlrev_b32_e32 v33, 9, v2
	s_add_i32 s9, s10, -1
	s_and_b32 s8, s10, 7
	s_cmp_gt_u32 s9, 6
	v_cndmask_b32_e32 v34, v20, v3, vcc_lo
	v_lshlrev_b64 v[20:21], 4, v[18:19]
	v_mov_b32_e32 v19, v17
	v_lshlrev_b64 v[2:3], 4, v[14:15]
	v_lshlrev_b64 v[24:25], 4, v[22:23]
	;; [unrolled: 1-line block ×3, first 2 shown]
	v_mov_b32_e32 v18, v16
	v_dual_mov_b32 v29, v17 :: v_dual_add_nc_u32 v36, 0x4000, v33
	s_cselect_b32 s9, -1, 0
	s_and_b32 s22, s10, -8
	v_dual_mov_b32 v28, v16 :: v_dual_mov_b32 v23, v17
	v_mov_b32_e32 v22, v16
	s_cmp_lg_u32 s8, 0
	s_mul_i32 s23, s10, s10
	s_cselect_b32 s29, -1, 0
	s_branch .LBB43_15
.LBB43_13:                              ;   in Loop: Header=BB43_15 Depth=1
	s_or_b32 exec_lo, exec_lo, s31
.LBB43_14:                              ;   in Loop: Header=BB43_15 Depth=1
	s_delay_alu instid0(SALU_CYCLE_1) | instskip(SKIP_2) | instid1(SALU_CYCLE_1)
	s_or_b32 exec_lo, exec_lo, s30
	s_add_u32 s18, s18, 1
	s_addc_u32 s19, s19, 0
	v_cmp_ge_i64_e64 s30, s[18:19], s[12:13]
	s_barrier
	buffer_gl0_inv
	s_and_b32 vcc_lo, exec_lo, s30
	s_cbranch_vccnz .LBB43_39
.LBB43_15:                              ; =>This Loop Header: Depth=1
                                        ;     Child Loop BB43_26 Depth 2
                                        ;     Child Loop BB43_30 Depth 2
	;; [unrolled: 1-line block ×4, first 2 shown]
	s_and_saveexec_b32 s30, s0
	s_cbranch_execz .LBB43_20
; %bb.16:                               ;   in Loop: Header=BB43_15 Depth=1
	s_lshl_b64 s[34:35], s[18:19], 2
	s_delay_alu instid0(SALU_CYCLE_1) | instskip(SKIP_4) | instid1(SALU_CYCLE_1)
	s_add_u32 s34, s20, s34
	s_addc_u32 s35, s21, s35
	s_load_b32 s31, s[34:35], 0x0
	s_waitcnt lgkmcnt(0)
	s_sub_i32 s31, s31, s17
	v_mad_u64_u32 v[37:38], null, s31, s10, v[1:2]
	s_delay_alu instid0(VALU_DEP_1) | instskip(SKIP_2) | instid1(VALU_DEP_3)
	v_ashrrev_i32_e32 v38, 31, v37
	v_mul_lo_u32 v13, v37, s27
	v_mad_u64_u32 v[39:40], null, v37, s26, 0
	v_mul_lo_u32 v15, v38, s26
	v_lshlrev_b64 v[37:38], 4, v[37:38]
	s_delay_alu instid0(VALU_DEP_2) | instskip(NEXT) | instid1(VALU_DEP_1)
	v_add3_u32 v40, v40, v13, v15
	v_lshlrev_b64 v[39:40], 4, v[39:40]
	s_delay_alu instid0(VALU_DEP_1) | instskip(NEXT) | instid1(VALU_DEP_2)
	v_add_co_u32 v13, vcc_lo, s24, v39
	v_add_co_ci_u32_e32 v15, vcc_lo, s25, v40, vcc_lo
	v_add_co_u32 v37, vcc_lo, s24, v37
	v_add_co_ci_u32_e32 v38, vcc_lo, s25, v38, vcc_lo
	s_and_saveexec_b32 s31, s1
	s_cbranch_execz .LBB43_18
; %bb.17:                               ;   in Loop: Header=BB43_15 Depth=1
	v_add_co_u32 v39, vcc_lo, v13, v2
	v_add_co_ci_u32_e32 v40, vcc_lo, v15, v3, vcc_lo
	v_add_co_u32 v41, vcc_lo, v37, v20
	v_add_co_ci_u32_e32 v42, vcc_lo, v38, v21, vcc_lo
	s_delay_alu instid0(VALU_DEP_2) | instskip(NEXT) | instid1(VALU_DEP_2)
	v_cndmask_b32_e64 v39, v39, v41, s5
	v_cndmask_b32_e64 v40, v40, v42, s5
	global_load_b128 v[39:42], v[39:40], off
	s_waitcnt vmcnt(0)
	ds_store_2addr_b64 v30, v[39:40], v[41:42] offset1:1
.LBB43_18:                              ;   in Loop: Header=BB43_15 Depth=1
	s_or_b32 exec_lo, exec_lo, s31
	s_delay_alu instid0(SALU_CYCLE_1)
	s_and_b32 exec_lo, exec_lo, s4
	s_cbranch_execz .LBB43_20
; %bb.19:                               ;   in Loop: Header=BB43_15 Depth=1
	v_add_co_u32 v37, vcc_lo, v37, v24
	v_add_co_ci_u32_e32 v38, vcc_lo, v38, v25, vcc_lo
	v_add_co_u32 v13, vcc_lo, v13, v26
	v_add_co_ci_u32_e32 v15, vcc_lo, v15, v27, vcc_lo
	s_delay_alu instid0(VALU_DEP_2) | instskip(NEXT) | instid1(VALU_DEP_2)
	v_cndmask_b32_e64 v37, v13, v37, s5
	v_cndmask_b32_e64 v38, v15, v38, s5
	global_load_b128 v[37:40], v[37:38], off
	s_waitcnt vmcnt(0)
	ds_store_2addr_b64 v31, v[37:38], v[39:40] offset1:1
.LBB43_20:                              ;   in Loop: Header=BB43_15 Depth=1
	s_or_b32 exec_lo, exec_lo, s30
	s_and_saveexec_b32 s30, s15
	s_cbranch_execz .LBB43_22
; %bb.21:                               ;   in Loop: Header=BB43_15 Depth=1
	s_mul_i32 s31, s19, s23
	s_mul_hi_u32 s33, s18, s23
	s_mul_i32 s34, s18, s23
	s_add_i32 s35, s33, s31
	s_delay_alu instid0(SALU_CYCLE_1) | instskip(NEXT) | instid1(SALU_CYCLE_1)
	s_lshl_b64 s[34:35], s[34:35], 4
	v_add_co_u32 v37, vcc_lo, v34, s34
	v_add_co_ci_u32_e32 v38, vcc_lo, s35, v32, vcc_lo
	global_load_b128 v[37:40], v[37:38], off
	s_waitcnt vmcnt(0)
	ds_store_2addr_b64 v0, v[37:38], v[39:40] offset1:1
.LBB43_22:                              ;   in Loop: Header=BB43_15 Depth=1
	s_or_b32 exec_lo, exec_lo, s30
	s_waitcnt vmcnt(0) lgkmcnt(0)
	s_barrier
	buffer_gl0_inv
	s_and_saveexec_b32 s30, s0
	s_cbranch_execz .LBB43_14
; %bb.23:                               ;   in Loop: Header=BB43_15 Depth=1
	s_and_saveexec_b32 s31, s1
	s_cbranch_execz .LBB43_31
; %bb.24:                               ;   in Loop: Header=BB43_15 Depth=1
	s_and_not1_b32 vcc_lo, exec_lo, s9
	s_cbranch_vccnz .LBB43_28
; %bb.25:                               ;   in Loop: Header=BB43_15 Depth=1
	v_mov_b32_e32 v13, v35
	v_mov_b32_e32 v15, v33
	s_mov_b32 s33, 0
.LBB43_26:                              ;   Parent Loop BB43_15 Depth=1
                                        ; =>  This Inner Loop Header: Depth=2
	ds_load_b128 v[37:40], v15
	ds_load_b128 v[41:44], v13
	ds_load_b128 v[45:48], v13 offset:16
	ds_load_b128 v[49:52], v15 offset:16
	s_add_i32 s33, s33, 8
	s_delay_alu instid0(SALU_CYCLE_1) | instskip(SKIP_3) | instid1(VALU_DEP_2)
	s_cmp_lg_u32 s22, s33
	s_waitcnt lgkmcnt(2)
	v_fma_f64 v[22:23], v[41:42], v[37:38], v[22:23]
	v_fma_f64 v[28:29], v[43:44], v[37:38], v[28:29]
	v_fma_f64 v[22:23], -v[43:44], v[39:40], v[22:23]
	s_delay_alu instid0(VALU_DEP_2) | instskip(SKIP_1) | instid1(VALU_DEP_2)
	v_fma_f64 v[28:29], v[41:42], v[39:40], v[28:29]
	s_waitcnt lgkmcnt(0)
	v_fma_f64 v[22:23], v[45:46], v[49:50], v[22:23]
	s_delay_alu instid0(VALU_DEP_2) | instskip(NEXT) | instid1(VALU_DEP_2)
	v_fma_f64 v[28:29], v[47:48], v[49:50], v[28:29]
	v_fma_f64 v[22:23], -v[47:48], v[51:52], v[22:23]
	s_delay_alu instid0(VALU_DEP_2)
	v_fma_f64 v[28:29], v[45:46], v[51:52], v[28:29]
	ds_load_b128 v[37:40], v15 offset:32
	ds_load_b128 v[41:44], v13 offset:32
	;; [unrolled: 1-line block ×4, first 2 shown]
	s_waitcnt lgkmcnt(2)
	v_fma_f64 v[22:23], v[41:42], v[37:38], v[22:23]
	v_fma_f64 v[28:29], v[43:44], v[37:38], v[28:29]
	s_delay_alu instid0(VALU_DEP_2) | instskip(NEXT) | instid1(VALU_DEP_2)
	v_fma_f64 v[22:23], -v[43:44], v[39:40], v[22:23]
	v_fma_f64 v[28:29], v[41:42], v[39:40], v[28:29]
	s_waitcnt lgkmcnt(0)
	s_delay_alu instid0(VALU_DEP_2) | instskip(NEXT) | instid1(VALU_DEP_2)
	v_fma_f64 v[22:23], v[45:46], v[49:50], v[22:23]
	v_fma_f64 v[28:29], v[47:48], v[49:50], v[28:29]
	s_delay_alu instid0(VALU_DEP_2) | instskip(NEXT) | instid1(VALU_DEP_2)
	v_fma_f64 v[22:23], -v[47:48], v[51:52], v[22:23]
	v_fma_f64 v[28:29], v[45:46], v[51:52], v[28:29]
	ds_load_b128 v[37:40], v15 offset:64
	ds_load_b128 v[41:44], v13 offset:64
	;; [unrolled: 1-line block ×4, first 2 shown]
	s_waitcnt lgkmcnt(2)
	v_fma_f64 v[22:23], v[41:42], v[37:38], v[22:23]
	v_fma_f64 v[28:29], v[43:44], v[37:38], v[28:29]
	s_delay_alu instid0(VALU_DEP_2) | instskip(NEXT) | instid1(VALU_DEP_2)
	v_fma_f64 v[22:23], -v[43:44], v[39:40], v[22:23]
	v_fma_f64 v[28:29], v[41:42], v[39:40], v[28:29]
	s_waitcnt lgkmcnt(0)
	s_delay_alu instid0(VALU_DEP_2) | instskip(NEXT) | instid1(VALU_DEP_2)
	v_fma_f64 v[22:23], v[45:46], v[49:50], v[22:23]
	v_fma_f64 v[28:29], v[47:48], v[49:50], v[28:29]
	s_delay_alu instid0(VALU_DEP_2) | instskip(NEXT) | instid1(VALU_DEP_2)
	v_fma_f64 v[22:23], -v[47:48], v[51:52], v[22:23]
	v_fma_f64 v[28:29], v[45:46], v[51:52], v[28:29]
	ds_load_b128 v[37:40], v15 offset:96
	ds_load_b128 v[41:44], v13 offset:96
	;; [unrolled: 1-line block ×4, first 2 shown]
	v_add_nc_u32_e32 v15, 0x80, v15
	v_add_nc_u32_e32 v13, 0x80, v13
	s_waitcnt lgkmcnt(2)
	v_fma_f64 v[22:23], v[41:42], v[37:38], v[22:23]
	v_fma_f64 v[28:29], v[43:44], v[37:38], v[28:29]
	s_delay_alu instid0(VALU_DEP_2) | instskip(NEXT) | instid1(VALU_DEP_2)
	v_fma_f64 v[22:23], -v[43:44], v[39:40], v[22:23]
	v_fma_f64 v[28:29], v[41:42], v[39:40], v[28:29]
	s_waitcnt lgkmcnt(0)
	s_delay_alu instid0(VALU_DEP_2) | instskip(NEXT) | instid1(VALU_DEP_2)
	v_fma_f64 v[22:23], v[45:46], v[49:50], v[22:23]
	v_fma_f64 v[28:29], v[47:48], v[49:50], v[28:29]
	s_delay_alu instid0(VALU_DEP_2) | instskip(NEXT) | instid1(VALU_DEP_2)
	v_fma_f64 v[22:23], -v[47:48], v[51:52], v[22:23]
	v_fma_f64 v[28:29], v[45:46], v[51:52], v[28:29]
	s_cbranch_scc1 .LBB43_26
; %bb.27:                               ;   in Loop: Header=BB43_15 Depth=1
	s_mov_b32 s33, s22
	s_and_not1_b32 vcc_lo, exec_lo, s29
	s_cbranch_vccz .LBB43_29
	s_branch .LBB43_31
.LBB43_28:                              ;   in Loop: Header=BB43_15 Depth=1
	s_mov_b32 s33, 0
	s_and_not1_b32 vcc_lo, exec_lo, s29
	s_cbranch_vccnz .LBB43_31
.LBB43_29:                              ;   in Loop: Header=BB43_15 Depth=1
	s_lshl_b32 s33, s33, 4
	s_delay_alu instid0(SALU_CYCLE_1)
	v_add_nc_u32_e32 v13, s33, v33
	v_add_nc_u32_e32 v15, s33, v35
	s_mov_b32 s33, s8
	.p2align	6
.LBB43_30:                              ;   Parent Loop BB43_15 Depth=1
                                        ; =>  This Inner Loop Header: Depth=2
	ds_load_b128 v[37:40], v15
	ds_load_b128 v[41:44], v13
	v_add_nc_u32_e32 v13, 16, v13
	v_add_nc_u32_e32 v15, 16, v15
	s_add_i32 s33, s33, -1
	s_delay_alu instid0(SALU_CYCLE_1) | instskip(SKIP_3) | instid1(VALU_DEP_2)
	s_cmp_lg_u32 s33, 0
	s_waitcnt lgkmcnt(0)
	v_fma_f64 v[22:23], v[37:38], v[41:42], v[22:23]
	v_fma_f64 v[28:29], v[39:40], v[41:42], v[28:29]
	v_fma_f64 v[22:23], -v[39:40], v[43:44], v[22:23]
	s_delay_alu instid0(VALU_DEP_2)
	v_fma_f64 v[28:29], v[37:38], v[43:44], v[28:29]
	s_cbranch_scc1 .LBB43_30
.LBB43_31:                              ;   in Loop: Header=BB43_15 Depth=1
	s_or_b32 exec_lo, exec_lo, s31
	s_and_saveexec_b32 s31, s4
	s_cbranch_execz .LBB43_13
; %bb.32:                               ;   in Loop: Header=BB43_15 Depth=1
	s_and_not1_b32 vcc_lo, exec_lo, s9
	s_cbranch_vccnz .LBB43_36
; %bb.33:                               ;   in Loop: Header=BB43_15 Depth=1
	v_mov_b32_e32 v13, v35
	v_mov_b32_e32 v15, v36
	s_mov_b32 s33, 0
.LBB43_34:                              ;   Parent Loop BB43_15 Depth=1
                                        ; =>  This Inner Loop Header: Depth=2
	ds_load_b128 v[37:40], v15
	ds_load_b128 v[41:44], v13
	ds_load_b128 v[45:48], v13 offset:16
	ds_load_b128 v[49:52], v15 offset:16
	s_add_i32 s33, s33, 8
	s_delay_alu instid0(SALU_CYCLE_1) | instskip(SKIP_3) | instid1(VALU_DEP_2)
	s_cmp_lg_u32 s22, s33
	s_waitcnt lgkmcnt(2)
	v_fma_f64 v[18:19], v[41:42], v[37:38], v[18:19]
	v_fma_f64 v[16:17], v[43:44], v[37:38], v[16:17]
	v_fma_f64 v[18:19], -v[43:44], v[39:40], v[18:19]
	s_delay_alu instid0(VALU_DEP_2) | instskip(SKIP_1) | instid1(VALU_DEP_2)
	v_fma_f64 v[16:17], v[41:42], v[39:40], v[16:17]
	s_waitcnt lgkmcnt(0)
	v_fma_f64 v[18:19], v[45:46], v[49:50], v[18:19]
	s_delay_alu instid0(VALU_DEP_2) | instskip(NEXT) | instid1(VALU_DEP_2)
	v_fma_f64 v[16:17], v[47:48], v[49:50], v[16:17]
	v_fma_f64 v[49:50], -v[47:48], v[51:52], v[18:19]
	s_delay_alu instid0(VALU_DEP_2)
	v_fma_f64 v[51:52], v[45:46], v[51:52], v[16:17]
	ds_load_b128 v[16:19], v15 offset:32
	ds_load_b128 v[37:40], v13 offset:32
	;; [unrolled: 1-line block ×4, first 2 shown]
	s_waitcnt lgkmcnt(2)
	v_fma_f64 v[49:50], v[37:38], v[16:17], v[49:50]
	v_fma_f64 v[16:17], v[39:40], v[16:17], v[51:52]
	s_delay_alu instid0(VALU_DEP_2) | instskip(NEXT) | instid1(VALU_DEP_2)
	v_fma_f64 v[39:40], -v[39:40], v[18:19], v[49:50]
	v_fma_f64 v[16:17], v[37:38], v[18:19], v[16:17]
	s_waitcnt lgkmcnt(0)
	s_delay_alu instid0(VALU_DEP_2) | instskip(NEXT) | instid1(VALU_DEP_2)
	v_fma_f64 v[18:19], v[41:42], v[45:46], v[39:40]
	v_fma_f64 v[16:17], v[43:44], v[45:46], v[16:17]
	s_delay_alu instid0(VALU_DEP_2) | instskip(NEXT) | instid1(VALU_DEP_2)
	v_fma_f64 v[49:50], -v[43:44], v[47:48], v[18:19]
	v_fma_f64 v[51:52], v[41:42], v[47:48], v[16:17]
	ds_load_b128 v[16:19], v15 offset:64
	ds_load_b128 v[37:40], v13 offset:64
	;; [unrolled: 1-line block ×4, first 2 shown]
	s_waitcnt lgkmcnt(2)
	v_fma_f64 v[49:50], v[37:38], v[16:17], v[49:50]
	v_fma_f64 v[16:17], v[39:40], v[16:17], v[51:52]
	s_delay_alu instid0(VALU_DEP_2) | instskip(NEXT) | instid1(VALU_DEP_2)
	v_fma_f64 v[39:40], -v[39:40], v[18:19], v[49:50]
	v_fma_f64 v[16:17], v[37:38], v[18:19], v[16:17]
	s_waitcnt lgkmcnt(0)
	s_delay_alu instid0(VALU_DEP_2) | instskip(NEXT) | instid1(VALU_DEP_2)
	v_fma_f64 v[18:19], v[41:42], v[45:46], v[39:40]
	v_fma_f64 v[16:17], v[43:44], v[45:46], v[16:17]
	s_delay_alu instid0(VALU_DEP_2) | instskip(NEXT) | instid1(VALU_DEP_2)
	v_fma_f64 v[49:50], -v[43:44], v[47:48], v[18:19]
	v_fma_f64 v[51:52], v[41:42], v[47:48], v[16:17]
	ds_load_b128 v[16:19], v15 offset:96
	ds_load_b128 v[37:40], v13 offset:96
	;; [unrolled: 1-line block ×4, first 2 shown]
	v_add_nc_u32_e32 v15, 0x80, v15
	v_add_nc_u32_e32 v13, 0x80, v13
	s_waitcnt lgkmcnt(2)
	v_fma_f64 v[49:50], v[37:38], v[16:17], v[49:50]
	v_fma_f64 v[16:17], v[39:40], v[16:17], v[51:52]
	s_delay_alu instid0(VALU_DEP_2) | instskip(NEXT) | instid1(VALU_DEP_2)
	v_fma_f64 v[39:40], -v[39:40], v[18:19], v[49:50]
	v_fma_f64 v[16:17], v[37:38], v[18:19], v[16:17]
	s_waitcnt lgkmcnt(0)
	s_delay_alu instid0(VALU_DEP_2) | instskip(NEXT) | instid1(VALU_DEP_2)
	v_fma_f64 v[18:19], v[41:42], v[45:46], v[39:40]
	v_fma_f64 v[16:17], v[43:44], v[45:46], v[16:17]
	s_delay_alu instid0(VALU_DEP_2) | instskip(NEXT) | instid1(VALU_DEP_2)
	v_fma_f64 v[18:19], -v[43:44], v[47:48], v[18:19]
	v_fma_f64 v[16:17], v[41:42], v[47:48], v[16:17]
	s_cbranch_scc1 .LBB43_34
; %bb.35:                               ;   in Loop: Header=BB43_15 Depth=1
	s_mov_b32 s33, s22
	s_and_not1_b32 vcc_lo, exec_lo, s29
	s_cbranch_vccz .LBB43_37
	s_branch .LBB43_13
.LBB43_36:                              ;   in Loop: Header=BB43_15 Depth=1
	s_mov_b32 s33, 0
	s_and_not1_b32 vcc_lo, exec_lo, s29
	s_cbranch_vccnz .LBB43_13
.LBB43_37:                              ;   in Loop: Header=BB43_15 Depth=1
	s_lshl_b32 s33, s33, 4
	s_delay_alu instid0(SALU_CYCLE_1)
	v_add_nc_u32_e32 v13, s33, v36
	v_add_nc_u32_e32 v15, s33, v35
	s_mov_b32 s33, s8
	.p2align	6
.LBB43_38:                              ;   Parent Loop BB43_15 Depth=1
                                        ; =>  This Inner Loop Header: Depth=2
	ds_load_b128 v[37:40], v15
	ds_load_b128 v[41:44], v13
	v_add_nc_u32_e32 v13, 16, v13
	v_add_nc_u32_e32 v15, 16, v15
	s_add_i32 s33, s33, -1
	s_delay_alu instid0(SALU_CYCLE_1) | instskip(SKIP_3) | instid1(VALU_DEP_2)
	s_cmp_lg_u32 s33, 0
	s_waitcnt lgkmcnt(0)
	v_fma_f64 v[18:19], v[37:38], v[41:42], v[18:19]
	v_fma_f64 v[16:17], v[39:40], v[41:42], v[16:17]
	v_fma_f64 v[18:19], -v[39:40], v[43:44], v[18:19]
	s_delay_alu instid0(VALU_DEP_2)
	v_fma_f64 v[16:17], v[37:38], v[43:44], v[16:17]
	s_cbranch_scc1 .LBB43_38
	s_branch .LBB43_13
.LBB43_39:
	s_delay_alu instid0(VALU_DEP_1) | instskip(NEXT) | instid1(SALU_CYCLE_1)
	s_and_b32 s0, s28, s0
	s_and_b32 exec_lo, exec_lo, s0
	s_cbranch_execz .LBB43_62
; %bb.40:
	s_load_b64 s[2:3], s[2:3], 0x80
	s_waitcnt vmcnt(0)
	v_cmp_neq_f64_e32 vcc_lo, 0, v[8:9]
	v_cmp_neq_f64_e64 s0, 0, v[10:11]
	v_mad_u64_u32 v[2:3], null, s14, s10, v[1:2]
	s_mov_b32 s4, exec_lo
	s_delay_alu instid0(VALU_DEP_1) | instskip(SKIP_1) | instid1(VALU_DEP_1)
	v_ashrrev_i32_e32 v3, 31, v2
	s_waitcnt lgkmcnt(0)
	v_mul_lo_u32 v13, v3, s2
	v_mul_lo_u32 v15, v2, s3
	v_mad_u64_u32 v[0:1], null, v2, s2, 0
	v_lshlrev_b64 v[2:3], 4, v[2:3]
	s_delay_alu instid0(VALU_DEP_1) | instskip(NEXT) | instid1(VALU_DEP_3)
	v_add_co_u32 v20, s1, s6, v2
	v_add3_u32 v1, v1, v15, v13
	s_delay_alu instid0(VALU_DEP_3) | instskip(NEXT) | instid1(VALU_DEP_2)
	v_add_co_ci_u32_e64 v21, s1, s7, v3, s1
	v_lshlrev_b64 v[0:1], 4, v[0:1]
	s_or_b32 s1, vcc_lo, s0
	s_cmp_lg_u32 s16, 1
	s_delay_alu instid0(VALU_DEP_1) | instskip(NEXT) | instid1(VALU_DEP_2)
	v_add_co_u32 v24, vcc_lo, s6, v0
	v_add_co_ci_u32_e32 v25, vcc_lo, s7, v1, vcc_lo
	s_cselect_b32 s0, -1, 0
	v_cmpx_gt_i32_e64 s11, v14
	s_cbranch_execz .LBB43_51
; %bb.41:
	s_and_saveexec_b32 s5, s1
	s_delay_alu instid0(SALU_CYCLE_1)
	s_xor_b32 s5, exec_lo, s5
	s_cbranch_execz .LBB43_46
; %bb.42:
	v_ashrrev_i32_e32 v15, 31, v14
	s_and_b32 vcc_lo, exec_lo, s0
	s_mov_b32 s6, -1
	s_cbranch_vccz .LBB43_44
; %bb.43:
	s_delay_alu instid0(VALU_DEP_1) | instskip(SKIP_3) | instid1(VALU_DEP_3)
	v_lshlrev_b64 v[0:1], 4, v[14:15]
	v_mul_f64 v[30:31], v[28:29], -v[6:7]
	v_mul_f64 v[32:33], v[4:5], v[28:29]
	s_mov_b32 s6, 0
	v_add_co_u32 v26, vcc_lo, v24, v0
	s_delay_alu instid0(VALU_DEP_4) | instskip(SKIP_4) | instid1(VALU_DEP_2)
	v_add_co_ci_u32_e32 v27, vcc_lo, v25, v1, vcc_lo
	global_load_b128 v[0:3], v[26:27], off
	v_fma_f64 v[30:31], v[4:5], v[22:23], v[30:31]
	v_fma_f64 v[32:33], v[6:7], v[22:23], v[32:33]
	s_waitcnt vmcnt(0)
	v_fma_f64 v[30:31], v[8:9], v[0:1], v[30:31]
	s_delay_alu instid0(VALU_DEP_2) | instskip(NEXT) | instid1(VALU_DEP_2)
	v_fma_f64 v[32:33], v[10:11], v[0:1], v[32:33]
	v_fma_f64 v[0:1], -v[10:11], v[2:3], v[30:31]
	s_delay_alu instid0(VALU_DEP_2)
	v_fma_f64 v[2:3], v[8:9], v[2:3], v[32:33]
	global_store_b128 v[26:27], v[0:3], off
.LBB43_44:
	s_and_not1_b32 vcc_lo, exec_lo, s6
	s_cbranch_vccnz .LBB43_46
; %bb.45:
	v_mul_lo_u32 v2, v15, s2
	v_mul_lo_u32 v3, v14, s3
	v_mad_u64_u32 v[0:1], null, v14, s2, 0
	v_mul_f64 v[26:27], v[28:29], -v[6:7]
	v_mul_f64 v[28:29], v[4:5], v[28:29]
	s_delay_alu instid0(VALU_DEP_3) | instskip(NEXT) | instid1(VALU_DEP_1)
	v_add3_u32 v1, v1, v3, v2
	v_lshlrev_b64 v[0:1], 4, v[0:1]
	s_delay_alu instid0(VALU_DEP_1) | instskip(NEXT) | instid1(VALU_DEP_2)
	v_add_co_u32 v13, vcc_lo, v20, v0
	v_add_co_ci_u32_e32 v14, vcc_lo, v21, v1, vcc_lo
	global_load_b128 v[0:3], v[13:14], off
	v_fma_f64 v[26:27], v[4:5], v[22:23], v[26:27]
	v_fma_f64 v[22:23], v[6:7], v[22:23], v[28:29]
                                        ; implicit-def: $vgpr28_vgpr29
	s_waitcnt vmcnt(0)
	s_delay_alu instid0(VALU_DEP_2) | instskip(NEXT) | instid1(VALU_DEP_2)
	v_fma_f64 v[26:27], v[8:9], v[0:1], v[26:27]
	v_fma_f64 v[22:23], v[10:11], v[0:1], v[22:23]
	s_delay_alu instid0(VALU_DEP_2) | instskip(NEXT) | instid1(VALU_DEP_2)
	v_fma_f64 v[0:1], -v[10:11], v[2:3], v[26:27]
	v_fma_f64 v[2:3], v[8:9], v[2:3], v[22:23]
                                        ; implicit-def: $vgpr22_vgpr23
	global_store_b128 v[13:14], v[0:3], off
                                        ; implicit-def: $vgpr14
.LBB43_46:
	s_and_not1_saveexec_b32 s5, s5
	s_cbranch_execz .LBB43_51
; %bb.47:
	v_mul_f64 v[0:1], v[28:29], -v[6:7]
	v_mul_f64 v[2:3], v[4:5], v[28:29]
	v_ashrrev_i32_e32 v15, 31, v14
	s_and_b32 vcc_lo, exec_lo, s0
	s_mov_b32 s5, -1
	s_delay_alu instid0(VALU_DEP_3) | instskip(NEXT) | instid1(VALU_DEP_3)
	v_fma_f64 v[0:1], v[4:5], v[22:23], v[0:1]
	v_fma_f64 v[2:3], v[6:7], v[22:23], v[2:3]
	s_cbranch_vccz .LBB43_49
; %bb.48:
	v_lshlrev_b64 v[22:23], 4, v[14:15]
	s_mov_b32 s5, 0
	s_delay_alu instid0(VALU_DEP_1) | instskip(NEXT) | instid1(VALU_DEP_2)
	v_add_co_u32 v22, vcc_lo, v24, v22
	v_add_co_ci_u32_e32 v23, vcc_lo, v25, v23, vcc_lo
	global_store_b128 v[22:23], v[0:3], off
.LBB43_49:
	s_and_not1_b32 vcc_lo, exec_lo, s5
	s_cbranch_vccnz .LBB43_51
; %bb.50:
	v_mul_lo_u32 v13, v15, s2
	v_mul_lo_u32 v15, v14, s3
	v_mad_u64_u32 v[22:23], null, v14, s2, 0
	s_delay_alu instid0(VALU_DEP_1) | instskip(NEXT) | instid1(VALU_DEP_1)
	v_add3_u32 v23, v23, v15, v13
	v_lshlrev_b64 v[13:14], 4, v[22:23]
	s_delay_alu instid0(VALU_DEP_1) | instskip(NEXT) | instid1(VALU_DEP_2)
	v_add_co_u32 v13, vcc_lo, v20, v13
	v_add_co_ci_u32_e32 v14, vcc_lo, v21, v14, vcc_lo
	global_store_b128 v[13:14], v[0:3], off
.LBB43_51:
	s_or_b32 exec_lo, exec_lo, s4
	v_cmp_gt_i32_e32 vcc_lo, s11, v12
	s_and_b32 exec_lo, exec_lo, vcc_lo
	s_cbranch_execz .LBB43_62
; %bb.52:
	s_and_saveexec_b32 s4, s1
	s_delay_alu instid0(SALU_CYCLE_1)
	s_xor_b32 s1, exec_lo, s4
	s_cbranch_execz .LBB43_57
; %bb.53:
	v_ashrrev_i32_e32 v13, 31, v12
	s_and_not1_b32 vcc_lo, exec_lo, s0
	s_mov_b32 s4, -1
	s_cbranch_vccnz .LBB43_55
; %bb.54:
	s_delay_alu instid0(VALU_DEP_1) | instskip(SKIP_2) | instid1(VALU_DEP_2)
	v_lshlrev_b64 v[0:1], 4, v[12:13]
	v_mul_f64 v[22:23], v[16:17], -v[6:7]
	s_mov_b32 s4, 0
	v_add_co_u32 v14, vcc_lo, v24, v0
	s_delay_alu instid0(VALU_DEP_3)
	v_add_co_ci_u32_e32 v15, vcc_lo, v25, v1, vcc_lo
	v_mul_f64 v[24:25], v[4:5], v[16:17]
	global_load_b128 v[0:3], v[14:15], off
	v_fma_f64 v[22:23], v[4:5], v[18:19], v[22:23]
	v_fma_f64 v[24:25], v[6:7], v[18:19], v[24:25]
	s_waitcnt vmcnt(0)
	s_delay_alu instid0(VALU_DEP_2) | instskip(NEXT) | instid1(VALU_DEP_2)
	v_fma_f64 v[22:23], v[8:9], v[0:1], v[22:23]
	v_fma_f64 v[24:25], v[10:11], v[0:1], v[24:25]
	s_delay_alu instid0(VALU_DEP_2) | instskip(NEXT) | instid1(VALU_DEP_2)
	v_fma_f64 v[0:1], -v[10:11], v[2:3], v[22:23]
	v_fma_f64 v[2:3], v[8:9], v[2:3], v[24:25]
	global_store_b128 v[14:15], v[0:3], off
.LBB43_55:
	s_and_not1_b32 vcc_lo, exec_lo, s4
                                        ; implicit-def: $vgpr24
                                        ; implicit-def: $vgpr25
	s_cbranch_vccnz .LBB43_57
; %bb.56:
	v_mul_lo_u32 v2, v13, s2
	v_mul_lo_u32 v3, v12, s3
	v_mad_u64_u32 v[0:1], null, v12, s2, 0
	v_mul_f64 v[14:15], v[16:17], -v[6:7]
	v_mul_f64 v[16:17], v[4:5], v[16:17]
                                        ; implicit-def: $vgpr24
                                        ; implicit-def: $vgpr25
	s_delay_alu instid0(VALU_DEP_3) | instskip(NEXT) | instid1(VALU_DEP_1)
	v_add3_u32 v1, v1, v3, v2
	v_lshlrev_b64 v[0:1], 4, v[0:1]
	s_delay_alu instid0(VALU_DEP_1) | instskip(NEXT) | instid1(VALU_DEP_2)
	v_add_co_u32 v12, vcc_lo, v20, v0
	v_add_co_ci_u32_e32 v13, vcc_lo, v21, v1, vcc_lo
                                        ; implicit-def: $vgpr20
                                        ; implicit-def: $vgpr21
	global_load_b128 v[0:3], v[12:13], off
	v_fma_f64 v[4:5], v[4:5], v[18:19], v[14:15]
	v_fma_f64 v[6:7], v[6:7], v[18:19], v[16:17]
                                        ; implicit-def: $vgpr18_vgpr19
                                        ; implicit-def: $vgpr16_vgpr17
	s_waitcnt vmcnt(0)
	s_delay_alu instid0(VALU_DEP_2) | instskip(NEXT) | instid1(VALU_DEP_2)
	v_fma_f64 v[4:5], v[8:9], v[0:1], v[4:5]
	v_fma_f64 v[6:7], v[10:11], v[0:1], v[6:7]
	s_delay_alu instid0(VALU_DEP_2) | instskip(NEXT) | instid1(VALU_DEP_2)
	v_fma_f64 v[0:1], -v[10:11], v[2:3], v[4:5]
	v_fma_f64 v[2:3], v[8:9], v[2:3], v[6:7]
                                        ; implicit-def: $vgpr4_vgpr5
                                        ; implicit-def: $vgpr6_vgpr7
	global_store_b128 v[12:13], v[0:3], off
                                        ; implicit-def: $vgpr12
.LBB43_57:
	s_and_not1_saveexec_b32 s1, s1
	s_cbranch_execz .LBB43_62
; %bb.58:
	v_mul_f64 v[0:1], v[16:17], -v[6:7]
	v_mul_f64 v[2:3], v[4:5], v[16:17]
	v_ashrrev_i32_e32 v13, 31, v12
	s_and_not1_b32 vcc_lo, exec_lo, s0
	s_mov_b32 s0, -1
	s_delay_alu instid0(VALU_DEP_3) | instskip(NEXT) | instid1(VALU_DEP_3)
	v_fma_f64 v[0:1], v[4:5], v[18:19], v[0:1]
	v_fma_f64 v[2:3], v[6:7], v[18:19], v[2:3]
	s_cbranch_vccnz .LBB43_60
; %bb.59:
	v_lshlrev_b64 v[4:5], 4, v[12:13]
	s_mov_b32 s0, 0
	s_delay_alu instid0(VALU_DEP_1) | instskip(NEXT) | instid1(VALU_DEP_2)
	v_add_co_u32 v4, vcc_lo, v24, v4
	v_add_co_ci_u32_e32 v5, vcc_lo, v25, v5, vcc_lo
	global_store_b128 v[4:5], v[0:3], off
.LBB43_60:
	s_and_not1_b32 vcc_lo, exec_lo, s0
	s_cbranch_vccnz .LBB43_62
; %bb.61:
	v_mul_lo_u32 v6, v13, s2
	v_mul_lo_u32 v7, v12, s3
	v_mad_u64_u32 v[4:5], null, v12, s2, 0
	s_delay_alu instid0(VALU_DEP_1) | instskip(NEXT) | instid1(VALU_DEP_1)
	v_add3_u32 v5, v5, v7, v6
	v_lshlrev_b64 v[4:5], 4, v[4:5]
	s_delay_alu instid0(VALU_DEP_1) | instskip(NEXT) | instid1(VALU_DEP_2)
	v_add_co_u32 v4, vcc_lo, v20, v4
	v_add_co_ci_u32_e32 v5, vcc_lo, v21, v5, vcc_lo
	global_store_b128 v[4:5], v[0:3], off
.LBB43_62:
	s_nop 0
	s_sendmsg sendmsg(MSG_DEALLOC_VGPRS)
	s_endpgm
	.section	.rodata,"a",@progbits
	.p2align	6, 0x0
	.amdhsa_kernel _ZN9rocsparseL31bsrmm_large_blockdim_kernel_extILj32ELj32ELj2Eli21rocsparse_complex_numIdES2_S2_S2_EEvb20rocsparse_direction_T3_S4_llNS_24const_host_device_scalarIT7_EEPKT2_PKS4_PKT4_S4_PKT5_llS7_PT6_ll16rocsparse_order_21rocsparse_index_base_b
		.amdhsa_group_segment_fixed_size 65536
		.amdhsa_private_segment_fixed_size 0
		.amdhsa_kernarg_size 156
		.amdhsa_user_sgpr_count 14
		.amdhsa_user_sgpr_dispatch_ptr 1
		.amdhsa_user_sgpr_queue_ptr 0
		.amdhsa_user_sgpr_kernarg_segment_ptr 1
		.amdhsa_user_sgpr_dispatch_id 0
		.amdhsa_user_sgpr_private_segment_size 0
		.amdhsa_wavefront_size32 1
		.amdhsa_uses_dynamic_stack 0
		.amdhsa_enable_private_segment 0
		.amdhsa_system_sgpr_workgroup_id_x 1
		.amdhsa_system_sgpr_workgroup_id_y 1
		.amdhsa_system_sgpr_workgroup_id_z 0
		.amdhsa_system_sgpr_workgroup_info 0
		.amdhsa_system_vgpr_workitem_id 2
		.amdhsa_next_free_vgpr 53
		.amdhsa_next_free_sgpr 36
		.amdhsa_reserve_vcc 1
		.amdhsa_float_round_mode_32 0
		.amdhsa_float_round_mode_16_64 0
		.amdhsa_float_denorm_mode_32 3
		.amdhsa_float_denorm_mode_16_64 3
		.amdhsa_dx10_clamp 1
		.amdhsa_ieee_mode 1
		.amdhsa_fp16_overflow 0
		.amdhsa_workgroup_processor_mode 1
		.amdhsa_memory_ordered 1
		.amdhsa_forward_progress 0
		.amdhsa_shared_vgpr_count 0
		.amdhsa_exception_fp_ieee_invalid_op 0
		.amdhsa_exception_fp_denorm_src 0
		.amdhsa_exception_fp_ieee_div_zero 0
		.amdhsa_exception_fp_ieee_overflow 0
		.amdhsa_exception_fp_ieee_underflow 0
		.amdhsa_exception_fp_ieee_inexact 0
		.amdhsa_exception_int_div_zero 0
	.end_amdhsa_kernel
	.section	.text._ZN9rocsparseL31bsrmm_large_blockdim_kernel_extILj32ELj32ELj2Eli21rocsparse_complex_numIdES2_S2_S2_EEvb20rocsparse_direction_T3_S4_llNS_24const_host_device_scalarIT7_EEPKT2_PKS4_PKT4_S4_PKT5_llS7_PT6_ll16rocsparse_order_21rocsparse_index_base_b,"axG",@progbits,_ZN9rocsparseL31bsrmm_large_blockdim_kernel_extILj32ELj32ELj2Eli21rocsparse_complex_numIdES2_S2_S2_EEvb20rocsparse_direction_T3_S4_llNS_24const_host_device_scalarIT7_EEPKT2_PKS4_PKT4_S4_PKT5_llS7_PT6_ll16rocsparse_order_21rocsparse_index_base_b,comdat
.Lfunc_end43:
	.size	_ZN9rocsparseL31bsrmm_large_blockdim_kernel_extILj32ELj32ELj2Eli21rocsparse_complex_numIdES2_S2_S2_EEvb20rocsparse_direction_T3_S4_llNS_24const_host_device_scalarIT7_EEPKT2_PKS4_PKT4_S4_PKT5_llS7_PT6_ll16rocsparse_order_21rocsparse_index_base_b, .Lfunc_end43-_ZN9rocsparseL31bsrmm_large_blockdim_kernel_extILj32ELj32ELj2Eli21rocsparse_complex_numIdES2_S2_S2_EEvb20rocsparse_direction_T3_S4_llNS_24const_host_device_scalarIT7_EEPKT2_PKS4_PKT4_S4_PKT5_llS7_PT6_ll16rocsparse_order_21rocsparse_index_base_b
                                        ; -- End function
	.section	.AMDGPU.csdata,"",@progbits
; Kernel info:
; codeLenInByte = 3932
; NumSgprs: 38
; NumVgprs: 53
; ScratchSize: 0
; MemoryBound: 0
; FloatMode: 240
; IeeeMode: 1
; LDSByteSize: 65536 bytes/workgroup (compile time only)
; SGPRBlocks: 4
; VGPRBlocks: 6
; NumSGPRsForWavesPerEU: 38
; NumVGPRsForWavesPerEU: 53
; Occupancy: 16
; WaveLimiterHint : 1
; COMPUTE_PGM_RSRC2:SCRATCH_EN: 0
; COMPUTE_PGM_RSRC2:USER_SGPR: 14
; COMPUTE_PGM_RSRC2:TRAP_HANDLER: 0
; COMPUTE_PGM_RSRC2:TGID_X_EN: 1
; COMPUTE_PGM_RSRC2:TGID_Y_EN: 1
; COMPUTE_PGM_RSRC2:TGID_Z_EN: 0
; COMPUTE_PGM_RSRC2:TIDIG_COMP_CNT: 2
	.section	.text._ZN9rocsparseL31bsrmm_large_blockdim_kernel_extILj8ELj8ELj2Ell21rocsparse_complex_numIdES2_S2_S2_EEvb20rocsparse_direction_T3_S4_llNS_24const_host_device_scalarIT7_EEPKT2_PKS4_PKT4_S4_PKT5_llS7_PT6_ll16rocsparse_order_21rocsparse_index_base_b,"axG",@progbits,_ZN9rocsparseL31bsrmm_large_blockdim_kernel_extILj8ELj8ELj2Ell21rocsparse_complex_numIdES2_S2_S2_EEvb20rocsparse_direction_T3_S4_llNS_24const_host_device_scalarIT7_EEPKT2_PKS4_PKT4_S4_PKT5_llS7_PT6_ll16rocsparse_order_21rocsparse_index_base_b,comdat
	.globl	_ZN9rocsparseL31bsrmm_large_blockdim_kernel_extILj8ELj8ELj2Ell21rocsparse_complex_numIdES2_S2_S2_EEvb20rocsparse_direction_T3_S4_llNS_24const_host_device_scalarIT7_EEPKT2_PKS4_PKT4_S4_PKT5_llS7_PT6_ll16rocsparse_order_21rocsparse_index_base_b ; -- Begin function _ZN9rocsparseL31bsrmm_large_blockdim_kernel_extILj8ELj8ELj2Ell21rocsparse_complex_numIdES2_S2_S2_EEvb20rocsparse_direction_T3_S4_llNS_24const_host_device_scalarIT7_EEPKT2_PKS4_PKT4_S4_PKT5_llS7_PT6_ll16rocsparse_order_21rocsparse_index_base_b
	.p2align	8
	.type	_ZN9rocsparseL31bsrmm_large_blockdim_kernel_extILj8ELj8ELj2Ell21rocsparse_complex_numIdES2_S2_S2_EEvb20rocsparse_direction_T3_S4_llNS_24const_host_device_scalarIT7_EEPKT2_PKS4_PKT4_S4_PKT5_llS7_PT6_ll16rocsparse_order_21rocsparse_index_base_b,@function
_ZN9rocsparseL31bsrmm_large_blockdim_kernel_extILj8ELj8ELj2Ell21rocsparse_complex_numIdES2_S2_S2_EEvb20rocsparse_direction_T3_S4_llNS_24const_host_device_scalarIT7_EEPKT2_PKS4_PKT4_S4_PKT5_llS7_PT6_ll16rocsparse_order_21rocsparse_index_base_b: ; @_ZN9rocsparseL31bsrmm_large_blockdim_kernel_extILj8ELj8ELj2Ell21rocsparse_complex_numIdES2_S2_S2_EEvb20rocsparse_direction_T3_S4_llNS_24const_host_device_scalarIT7_EEPKT2_PKS4_PKT4_S4_PKT5_llS7_PT6_ll16rocsparse_order_21rocsparse_index_base_b
; %bb.0:
	s_load_b128 s[16:19], s[2:3], 0x98
	s_load_b64 s[6:7], s[0:1], 0x4
	s_load_b128 s[20:23], s[2:3], 0x28
	v_bfe_u32 v24, v0, 10, 10
	s_mov_b64 s[0:1], src_shared_base
	s_load_b128 s[8:11], s[2:3], 0x70
	v_and_b32_e32 v1, 0x3ff, v0
	v_bfe_u32 v0, v0, 20, 10
	s_mov_b32 s4, s15
	s_waitcnt lgkmcnt(0)
	s_bitcmp1_b32 s18, 0
	v_mul_u32_u24_e32 v2, s7, v24
	s_cselect_b32 s0, -1, 0
	s_delay_alu instid0(SALU_CYCLE_1) | instskip(SKIP_4) | instid1(SALU_CYCLE_1)
	s_and_b32 vcc_lo, s0, exec_lo
	s_cselect_b32 s5, s1, s21
	s_lshr_b32 s6, s6, 16
	v_dual_mov_b32 v4, s8 :: v_dual_mov_b32 v5, s9
	s_mul_i32 s6, s6, s7
	v_mad_u32_u24 v2, s6, v1, v2
	s_delay_alu instid0(VALU_DEP_1) | instskip(SKIP_3) | instid1(VALU_DEP_3)
	v_add_lshl_u32 v0, v2, v0, 3
	v_dual_mov_b32 v2, s20 :: v_dual_mov_b32 v7, s5
	v_mov_b32_e32 v3, s21
	s_xor_b32 s5, s0, -1
	v_add_nc_u32_e32 v6, 0xe00, v0
	ds_store_2addr_stride64_b64 v0, v[4:5], v[2:3] offset0:6 offset1:7
	v_add_nc_u32_e32 v0, 0xc00, v0
	v_cndmask_b32_e64 v6, s20, v6, s0
	flat_load_b64 v[4:5], v[6:7]
	v_dual_mov_b32 v6, s22 :: v_dual_mov_b32 v7, s23
	s_cbranch_vccnz .LBB44_2
; %bb.1:
	v_dual_mov_b32 v2, s20 :: v_dual_mov_b32 v3, s21
	flat_load_b64 v[6:7], v[2:3] offset:8
.LBB44_2:
	s_and_b32 s6, s0, exec_lo
	s_cselect_b32 s1, s1, s9
	v_cndmask_b32_e64 v2, s8, v0, s0
	v_dual_mov_b32 v3, s1 :: v_dual_mov_b32 v10, s10
	v_mov_b32_e32 v11, s11
	s_and_not1_b32 vcc_lo, exec_lo, s5
	flat_load_b64 v[8:9], v[2:3]
	s_cbranch_vccnz .LBB44_4
; %bb.3:
	v_dual_mov_b32 v2, s8 :: v_dual_mov_b32 v3, s9
	flat_load_b64 v[10:11], v[2:3] offset:8
.LBB44_4:
	s_waitcnt vmcnt(1) lgkmcnt(1)
	v_cmp_eq_f64_e32 vcc_lo, 0, v[4:5]
	v_cmp_eq_f64_e64 s0, 0, v[6:7]
	s_delay_alu instid0(VALU_DEP_1)
	s_and_b32 s5, vcc_lo, s0
	s_mov_b32 s0, -1
	s_and_saveexec_b32 s1, s5
	s_cbranch_execz .LBB44_6
; %bb.5:
	s_waitcnt vmcnt(0) lgkmcnt(0)
	v_cmp_neq_f64_e32 vcc_lo, 1.0, v[8:9]
	v_cmp_neq_f64_e64 s0, 0, v[10:11]
	s_delay_alu instid0(VALU_DEP_1) | instskip(NEXT) | instid1(SALU_CYCLE_1)
	s_or_b32 s0, vcc_lo, s0
	s_or_not1_b32 s0, s0, exec_lo
.LBB44_6:
	s_or_b32 exec_lo, exec_lo, s1
	s_and_saveexec_b32 s1, s0
	s_cbranch_execz .LBB44_62
; %bb.7:
	s_clause 0x1
	s_load_b128 s[8:11], s[2:3], 0x8
	s_load_b64 s[0:1], s[2:3], 0x38
	s_ashr_i32 s15, s14, 31
	s_mov_b64 s[12:13], 0
	s_waitcnt lgkmcnt(0)
	v_cmp_ge_i64_e64 s5, s[14:15], s[8:9]
	v_cmp_lt_i64_e64 s33, s[14:15], s[8:9]
	s_mov_b64 s[8:9], 0
	s_delay_alu instid0(VALU_DEP_2)
	s_and_b32 vcc_lo, exec_lo, s5
	s_cbranch_vccnz .LBB44_9
; %bb.8:
	s_lshl_b64 s[6:7], s[14:15], 3
	s_delay_alu instid0(SALU_CYCLE_1)
	s_add_u32 s6, s0, s6
	s_addc_u32 s7, s1, s7
	s_load_b64 s[6:7], s[6:7], 0x0
	s_waitcnt lgkmcnt(0)
	s_sub_u32 s12, s6, s17
	s_subb_u32 s13, s7, 0
.LBB44_9:
	s_delay_alu instid0(VALU_DEP_1)
	s_and_not1_b32 vcc_lo, exec_lo, s33
	s_cbranch_vccnz .LBB44_11
; %bb.10:
	s_lshl_b64 s[6:7], s[14:15], 3
	s_delay_alu instid0(SALU_CYCLE_1)
	s_add_u32 s0, s0, s6
	s_addc_u32 s1, s1, s7
	s_load_b64 s[0:1], s[0:1], 0x8
	s_waitcnt lgkmcnt(0)
	s_sub_u32 s8, s0, s17
	s_subb_u32 s9, s1, 0
.LBB44_11:
	s_clause 0x1
	s_load_b64 s[18:19], s[2:3], 0x50
	s_load_b64 s[6:7], s[2:3], 0x80
	v_lshl_add_u32 v14, s4, 4, v24
	v_dual_mov_b32 v15, 0 :: v_dual_mov_b32 v20, 0
	v_cmp_ge_i64_e64 s0, s[12:13], s[8:9]
	s_delay_alu instid0(VALU_DEP_3) | instskip(NEXT) | instid1(VALU_DEP_3)
	v_dual_mov_b32 v21, 0 :: v_dual_add_nc_u32 v12, 8, v14
	v_mov_b32_e32 v13, v15
	v_mov_b32_e32 v2, v15
	v_cmp_gt_i64_e64 s1, s[10:11], v[14:15]
	s_delay_alu instid0(VALU_DEP_4)
	v_mov_b32_e32 v23, v21
	s_and_b32 vcc_lo, exec_lo, s0
	v_mov_b32_e32 v22, v20
	v_cmp_gt_i64_e64 s4, s[10:11], v[12:13]
	v_dual_mov_b32 v18, v20 :: v_dual_mov_b32 v19, v21
	v_dual_mov_b32 v16, v20 :: v_dual_mov_b32 v17, v21
	s_mov_b32 s29, 0
	s_waitcnt lgkmcnt(0)
	v_cmp_gt_i64_e64 s0, s[18:19], v[1:2]
	s_cbranch_vccnz .LBB44_39
; %bb.12:
	v_mad_u64_u32 v[16:17], null, v24, s18, 0
	s_clause 0x2
	s_load_b64 s[30:31], s[2:3], 0x0
	s_load_b128 s[20:23], s[2:3], 0x40
	s_load_b128 s[24:27], s[2:3], 0x58
	v_mad_u64_u32 v[18:19], null, v1, s18, 0
	s_mul_i32 s5, s18, s19
	s_mul_hi_u32 s28, s18, s18
	v_lshl_add_u32 v22, v1, 3, v24
	v_dual_mov_b32 v0, v17 :: v_dual_mov_b32 v25, v15
	s_add_i32 s28, s28, s5
	v_lshlrev_b32_e32 v37, 7, v24
	s_add_i32 s34, s28, s5
	s_delay_alu instid0(VALU_DEP_2)
	v_mad_u64_u32 v[20:21], null, v24, s19, v[0:1]
	v_cmp_gt_i64_e32 vcc_lo, s[18:19], v[24:25]
	v_dual_mov_b32 v0, v19 :: v_dual_lshlrev_b32 v21, 4, v1
	v_lshl_add_u32 v32, v22, 4, 0x800
	v_lshlrev_b32_e32 v25, 3, v24
	v_lshlrev_b64 v[30:31], 4, v[12:13]
	v_mov_b32_e32 v17, v20
	v_mad_u64_u32 v[19:20], null, v1, s19, v[0:1]
	s_and_b32 s35, s0, vcc_lo
	s_waitcnt lgkmcnt(0)
	v_add_co_u32 v0, s28, s24, v21
	v_lshlrev_b64 v[16:17], 4, v[16:17]
	s_bitcmp1_b32 s30, 0
	v_add_co_ci_u32_e64 v3, null, s25, 0, s28
	s_cselect_b32 s5, -1, 0
	s_cmp_eq_u32 s31, 0
	s_delay_alu instid0(VALU_DEP_2) | instskip(SKIP_2) | instid1(VALU_DEP_3)
	v_add_co_u32 v16, vcc_lo, s22, v16
	v_add_co_ci_u32_e32 v17, vcc_lo, s23, v17, vcc_lo
	v_lshl_add_u32 v38, v1, 7, 0x800
	v_add_co_u32 v26, vcc_lo, v16, v21
	s_delay_alu instid0(VALU_DEP_3) | instskip(SKIP_4) | instid1(VALU_DEP_4)
	v_add_co_ci_u32_e32 v27, vcc_lo, 0, v17, vcc_lo
	v_lshlrev_b64 v[16:17], 4, v[18:19]
	v_mad_u64_u32 v[18:19], null, v14, s26, 0
	v_mad_u64_u32 v[20:21], null, v12, s26, 0
	v_add_nc_u32_e32 v39, 0x400, v37
	v_add_co_u32 v28, vcc_lo, s22, v16
	v_add_co_ci_u32_e32 v29, vcc_lo, s23, v17, vcc_lo
	s_delay_alu instid0(VALU_DEP_4) | instskip(SKIP_3) | instid1(VALU_DEP_3)
	v_dual_mov_b32 v16, v19 :: v_dual_mov_b32 v17, v21
	v_lshlrev_b32_e32 v19, 4, v24
	v_cmp_gt_i64_e64 s22, s[18:19], 0
	s_mul_i32 s15, s18, s18
	v_mad_u64_u32 v[21:22], null, v14, s27, v[16:17]
	s_delay_alu instid0(VALU_DEP_3) | instskip(SKIP_3) | instid1(VALU_DEP_3)
	v_add_co_u32 v16, vcc_lo, v28, v19
	v_mad_u64_u32 v[22:23], null, v12, s27, v[17:18]
	v_add_co_ci_u32_e32 v17, vcc_lo, 0, v29, vcc_lo
	s_cselect_b32 vcc_lo, -1, 0
	v_dual_mov_b32 v19, v21 :: v_dual_cndmask_b32 v36, v26, v16
	s_delay_alu instid0(VALU_DEP_2)
	v_dual_cndmask_b32 v35, v27, v17 :: v_dual_mov_b32 v16, 0
	v_mov_b32_e32 v17, 0
	v_mov_b32_e32 v21, v22
	v_add_lshl_u32 v33, v25, v1, 4
	s_and_b32 s36, s1, s22
	s_and_b32 s37, s4, s22
	s_add_u32 s30, s18, -1
	s_addc_u32 s31, s19, -1
	v_dual_mov_b32 v23, v17 :: v_dual_mov_b32 v22, v16
	s_and_b32 s28, s18, 3
	v_lshlrev_b64 v[24:25], 4, v[18:19]
	v_lshlrev_b64 v[26:27], 4, v[20:21]
	;; [unrolled: 1-line block ×3, first 2 shown]
	v_cmp_gt_u64_e64 s38, s[30:31], 2
	v_mov_b32_e32 v19, v17
	v_dual_mov_b32 v21, v17 :: v_dual_add_nc_u32 v34, 0x400, v33
	s_and_b32 s23, s19, 0x7fffffff
	s_and_b32 s22, s18, -4
	v_mov_b32_e32 v18, v16
	v_mov_b32_e32 v20, v16
	s_cmp_lg_u64 s[28:29], 0
	s_cselect_b32 s39, -1, 0
	s_branch .LBB44_15
.LBB44_13:                              ;   in Loop: Header=BB44_15 Depth=1
	s_or_b32 exec_lo, exec_lo, s41
.LBB44_14:                              ;   in Loop: Header=BB44_15 Depth=1
	s_delay_alu instid0(SALU_CYCLE_1) | instskip(SKIP_2) | instid1(SALU_CYCLE_1)
	s_or_b32 exec_lo, exec_lo, s40
	s_add_u32 s12, s12, 1
	s_addc_u32 s13, s13, 0
	v_cmp_ge_i64_e64 s30, s[12:13], s[8:9]
	s_barrier
	buffer_gl0_inv
	s_and_b32 vcc_lo, exec_lo, s30
	s_cbranch_vccnz .LBB44_39
.LBB44_15:                              ; =>This Loop Header: Depth=1
                                        ;     Child Loop BB44_26 Depth 2
                                        ;     Child Loop BB44_30 Depth 2
	;; [unrolled: 1-line block ×4, first 2 shown]
	s_and_saveexec_b32 s30, s0
	s_cbranch_execz .LBB44_20
; %bb.16:                               ;   in Loop: Header=BB44_15 Depth=1
	s_lshl_b64 s[40:41], s[12:13], 3
	s_delay_alu instid0(SALU_CYCLE_1)
	s_add_u32 s40, s20, s40
	s_addc_u32 s41, s21, s41
	s_load_b64 s[40:41], s[40:41], 0x0
	s_waitcnt lgkmcnt(0)
	s_sub_u32 s31, s40, s17
	s_subb_u32 s40, s41, 0
	s_mul_i32 s41, s31, s19
	s_mul_hi_u32 s42, s31, s18
	s_mul_i32 s43, s40, s18
	s_add_i32 s41, s42, s41
	s_mul_i32 s40, s31, s18
	s_add_i32 s41, s41, s43
	v_add_co_u32 v42, s31, s40, v1
	s_delay_alu instid0(VALU_DEP_1) | instskip(SKIP_1) | instid1(VALU_DEP_2)
	v_add_co_ci_u32_e64 v43, null, s41, 0, s31
	s_lshl_b64 s[40:41], s[40:41], 4
	v_mul_lo_u32 v44, v42, s27
	v_mad_u64_u32 v[40:41], null, v42, s26, 0
	s_delay_alu instid0(VALU_DEP_3) | instskip(NEXT) | instid1(VALU_DEP_1)
	v_mul_lo_u32 v42, v43, s26
	v_add3_u32 v41, v41, v44, v42
	s_delay_alu instid0(VALU_DEP_1) | instskip(NEXT) | instid1(VALU_DEP_1)
	v_lshlrev_b64 v[40:41], 4, v[40:41]
	v_add_co_u32 v40, vcc_lo, s24, v40
	s_delay_alu instid0(VALU_DEP_2)
	v_add_co_ci_u32_e32 v41, vcc_lo, s25, v41, vcc_lo
	v_add_co_u32 v42, vcc_lo, v0, s40
	v_add_co_ci_u32_e32 v43, vcc_lo, s41, v3, vcc_lo
	s_and_saveexec_b32 s31, s1
	s_cbranch_execz .LBB44_18
; %bb.17:                               ;   in Loop: Header=BB44_15 Depth=1
	v_add_co_u32 v44, vcc_lo, v40, v28
	v_add_co_ci_u32_e32 v45, vcc_lo, v41, v29, vcc_lo
	v_add_co_u32 v46, vcc_lo, v42, v24
	v_add_co_ci_u32_e32 v47, vcc_lo, v43, v25, vcc_lo
	s_delay_alu instid0(VALU_DEP_2) | instskip(NEXT) | instid1(VALU_DEP_2)
	v_cndmask_b32_e64 v44, v44, v46, s5
	v_cndmask_b32_e64 v45, v45, v47, s5
	global_load_b128 v[44:47], v[44:45], off
	s_waitcnt vmcnt(0)
	ds_store_2addr_b64 v33, v[44:45], v[46:47] offset1:1
.LBB44_18:                              ;   in Loop: Header=BB44_15 Depth=1
	s_or_b32 exec_lo, exec_lo, s31
	s_delay_alu instid0(SALU_CYCLE_1)
	s_and_b32 exec_lo, exec_lo, s4
	s_cbranch_execz .LBB44_20
; %bb.19:                               ;   in Loop: Header=BB44_15 Depth=1
	v_add_co_u32 v42, vcc_lo, v42, v26
	v_add_co_ci_u32_e32 v43, vcc_lo, v43, v27, vcc_lo
	v_add_co_u32 v40, vcc_lo, v40, v30
	v_add_co_ci_u32_e32 v41, vcc_lo, v41, v31, vcc_lo
	s_delay_alu instid0(VALU_DEP_2) | instskip(NEXT) | instid1(VALU_DEP_2)
	v_cndmask_b32_e64 v40, v40, v42, s5
	v_cndmask_b32_e64 v41, v41, v43, s5
	global_load_b128 v[40:43], v[40:41], off
	s_waitcnt vmcnt(0)
	ds_store_2addr_b64 v34, v[40:41], v[42:43] offset1:1
.LBB44_20:                              ;   in Loop: Header=BB44_15 Depth=1
	s_or_b32 exec_lo, exec_lo, s30
	s_and_saveexec_b32 s30, s35
	s_cbranch_execz .LBB44_22
; %bb.21:                               ;   in Loop: Header=BB44_15 Depth=1
	s_mul_i32 s31, s15, s13
	s_mul_hi_u32 s40, s15, s12
	s_mul_i32 s41, s34, s12
	s_add_i32 s31, s40, s31
	s_mul_i32 s40, s15, s12
	s_add_i32 s41, s31, s41
	s_delay_alu instid0(SALU_CYCLE_1) | instskip(NEXT) | instid1(SALU_CYCLE_1)
	s_lshl_b64 s[40:41], s[40:41], 4
	v_add_co_u32 v40, vcc_lo, v36, s40
	v_add_co_ci_u32_e32 v41, vcc_lo, s41, v35, vcc_lo
	global_load_b128 v[40:43], v[40:41], off
	s_waitcnt vmcnt(0)
	ds_store_2addr_b64 v32, v[40:41], v[42:43] offset1:1
.LBB44_22:                              ;   in Loop: Header=BB44_15 Depth=1
	s_or_b32 exec_lo, exec_lo, s30
	s_waitcnt vmcnt(0) lgkmcnt(0)
	s_barrier
	buffer_gl0_inv
	s_and_saveexec_b32 s40, s0
	s_cbranch_execz .LBB44_14
; %bb.23:                               ;   in Loop: Header=BB44_15 Depth=1
	s_and_saveexec_b32 s41, s36
	s_cbranch_execz .LBB44_31
; %bb.24:                               ;   in Loop: Header=BB44_15 Depth=1
	s_and_not1_b32 vcc_lo, exec_lo, s38
	s_cbranch_vccnz .LBB44_28
; %bb.25:                               ;   in Loop: Header=BB44_15 Depth=1
	v_dual_mov_b32 v40, v38 :: v_dual_mov_b32 v41, v37
	s_mov_b64 s[30:31], 0
.LBB44_26:                              ;   Parent Loop BB44_15 Depth=1
                                        ; =>  This Inner Loop Header: Depth=2
	ds_load_b128 v[42:45], v41
	ds_load_b128 v[46:49], v40
	ds_load_b128 v[50:53], v40 offset:16
	ds_load_b128 v[54:57], v41 offset:16
	s_add_u32 s30, s30, 4
	s_addc_u32 s31, s31, 0
	s_delay_alu instid0(SALU_CYCLE_1) | instskip(SKIP_3) | instid1(VALU_DEP_2)
	s_cmp_lg_u64 s[22:23], s[30:31]
	s_waitcnt lgkmcnt(2)
	v_fma_f64 v[20:21], v[46:47], v[42:43], v[20:21]
	v_fma_f64 v[22:23], v[48:49], v[42:43], v[22:23]
	v_fma_f64 v[20:21], -v[48:49], v[44:45], v[20:21]
	s_delay_alu instid0(VALU_DEP_2) | instskip(SKIP_1) | instid1(VALU_DEP_2)
	v_fma_f64 v[22:23], v[46:47], v[44:45], v[22:23]
	s_waitcnt lgkmcnt(0)
	v_fma_f64 v[20:21], v[50:51], v[54:55], v[20:21]
	s_delay_alu instid0(VALU_DEP_2) | instskip(NEXT) | instid1(VALU_DEP_2)
	v_fma_f64 v[22:23], v[52:53], v[54:55], v[22:23]
	v_fma_f64 v[54:55], -v[52:53], v[56:57], v[20:21]
	s_delay_alu instid0(VALU_DEP_2)
	v_fma_f64 v[56:57], v[50:51], v[56:57], v[22:23]
	ds_load_b128 v[20:23], v41 offset:32
	ds_load_b128 v[42:45], v40 offset:32
	;; [unrolled: 1-line block ×4, first 2 shown]
	v_add_nc_u32_e32 v41, 64, v41
	v_add_nc_u32_e32 v40, 64, v40
	s_waitcnt lgkmcnt(2)
	v_fma_f64 v[54:55], v[42:43], v[20:21], v[54:55]
	v_fma_f64 v[20:21], v[44:45], v[20:21], v[56:57]
	s_delay_alu instid0(VALU_DEP_2) | instskip(NEXT) | instid1(VALU_DEP_2)
	v_fma_f64 v[44:45], -v[44:45], v[22:23], v[54:55]
	v_fma_f64 v[20:21], v[42:43], v[22:23], v[20:21]
	s_waitcnt lgkmcnt(0)
	s_delay_alu instid0(VALU_DEP_2) | instskip(NEXT) | instid1(VALU_DEP_2)
	v_fma_f64 v[22:23], v[46:47], v[50:51], v[44:45]
	v_fma_f64 v[42:43], v[48:49], v[50:51], v[20:21]
	s_delay_alu instid0(VALU_DEP_2) | instskip(NEXT) | instid1(VALU_DEP_2)
	v_fma_f64 v[20:21], -v[48:49], v[52:53], v[22:23]
	v_fma_f64 v[22:23], v[46:47], v[52:53], v[42:43]
	s_cbranch_scc1 .LBB44_26
; %bb.27:                               ;   in Loop: Header=BB44_15 Depth=1
	s_mov_b64 s[30:31], s[22:23]
	s_and_not1_b32 vcc_lo, exec_lo, s39
	s_cbranch_vccz .LBB44_29
	s_branch .LBB44_31
.LBB44_28:                              ;   in Loop: Header=BB44_15 Depth=1
	s_mov_b64 s[30:31], 0
	s_and_not1_b32 vcc_lo, exec_lo, s39
	s_cbranch_vccnz .LBB44_31
.LBB44_29:                              ;   in Loop: Header=BB44_15 Depth=1
	s_lshl_b32 s30, s30, 4
	s_delay_alu instid0(SALU_CYCLE_1)
	v_add_nc_u32_e32 v40, s30, v37
	v_add_nc_u32_e32 v41, s30, v38
	s_mov_b64 s[30:31], s[28:29]
	.p2align	6
.LBB44_30:                              ;   Parent Loop BB44_15 Depth=1
                                        ; =>  This Inner Loop Header: Depth=2
	ds_load_b128 v[42:45], v41
	ds_load_b128 v[46:49], v40
	v_add_nc_u32_e32 v40, 16, v40
	v_add_nc_u32_e32 v41, 16, v41
	s_add_u32 s30, s30, -1
	s_addc_u32 s31, s31, -1
	s_delay_alu instid0(SALU_CYCLE_1) | instskip(SKIP_3) | instid1(VALU_DEP_2)
	s_cmp_lg_u64 s[30:31], 0
	s_waitcnt lgkmcnt(0)
	v_fma_f64 v[20:21], v[42:43], v[46:47], v[20:21]
	v_fma_f64 v[22:23], v[44:45], v[46:47], v[22:23]
	v_fma_f64 v[20:21], -v[44:45], v[48:49], v[20:21]
	s_delay_alu instid0(VALU_DEP_2)
	v_fma_f64 v[22:23], v[42:43], v[48:49], v[22:23]
	s_cbranch_scc1 .LBB44_30
.LBB44_31:                              ;   in Loop: Header=BB44_15 Depth=1
	s_or_b32 exec_lo, exec_lo, s41
	s_and_saveexec_b32 s41, s37
	s_cbranch_execz .LBB44_13
; %bb.32:                               ;   in Loop: Header=BB44_15 Depth=1
	s_and_not1_b32 vcc_lo, exec_lo, s38
	s_cbranch_vccnz .LBB44_36
; %bb.33:                               ;   in Loop: Header=BB44_15 Depth=1
	v_dual_mov_b32 v40, v38 :: v_dual_mov_b32 v41, v39
	s_mov_b64 s[30:31], 0
.LBB44_34:                              ;   Parent Loop BB44_15 Depth=1
                                        ; =>  This Inner Loop Header: Depth=2
	ds_load_b128 v[42:45], v41
	ds_load_b128 v[46:49], v40
	ds_load_b128 v[50:53], v40 offset:16
	ds_load_b128 v[54:57], v41 offset:16
	s_add_u32 s30, s30, 4
	s_addc_u32 s31, s31, 0
	s_delay_alu instid0(SALU_CYCLE_1) | instskip(SKIP_3) | instid1(VALU_DEP_2)
	s_cmp_lg_u64 s[22:23], s[30:31]
	s_waitcnt lgkmcnt(2)
	v_fma_f64 v[18:19], v[46:47], v[42:43], v[18:19]
	v_fma_f64 v[16:17], v[48:49], v[42:43], v[16:17]
	v_fma_f64 v[18:19], -v[48:49], v[44:45], v[18:19]
	s_delay_alu instid0(VALU_DEP_2) | instskip(SKIP_1) | instid1(VALU_DEP_2)
	v_fma_f64 v[16:17], v[46:47], v[44:45], v[16:17]
	s_waitcnt lgkmcnt(0)
	v_fma_f64 v[18:19], v[50:51], v[54:55], v[18:19]
	s_delay_alu instid0(VALU_DEP_2) | instskip(NEXT) | instid1(VALU_DEP_2)
	v_fma_f64 v[16:17], v[52:53], v[54:55], v[16:17]
	v_fma_f64 v[54:55], -v[52:53], v[56:57], v[18:19]
	s_delay_alu instid0(VALU_DEP_2)
	v_fma_f64 v[56:57], v[50:51], v[56:57], v[16:17]
	ds_load_b128 v[16:19], v41 offset:32
	ds_load_b128 v[42:45], v40 offset:32
	ds_load_b128 v[46:49], v40 offset:48
	ds_load_b128 v[50:53], v41 offset:48
	v_add_nc_u32_e32 v41, 64, v41
	v_add_nc_u32_e32 v40, 64, v40
	s_waitcnt lgkmcnt(2)
	v_fma_f64 v[54:55], v[42:43], v[16:17], v[54:55]
	v_fma_f64 v[16:17], v[44:45], v[16:17], v[56:57]
	s_delay_alu instid0(VALU_DEP_2) | instskip(NEXT) | instid1(VALU_DEP_2)
	v_fma_f64 v[44:45], -v[44:45], v[18:19], v[54:55]
	v_fma_f64 v[16:17], v[42:43], v[18:19], v[16:17]
	s_waitcnt lgkmcnt(0)
	s_delay_alu instid0(VALU_DEP_2) | instskip(NEXT) | instid1(VALU_DEP_2)
	v_fma_f64 v[18:19], v[46:47], v[50:51], v[44:45]
	v_fma_f64 v[16:17], v[48:49], v[50:51], v[16:17]
	s_delay_alu instid0(VALU_DEP_2) | instskip(NEXT) | instid1(VALU_DEP_2)
	v_fma_f64 v[18:19], -v[48:49], v[52:53], v[18:19]
	v_fma_f64 v[16:17], v[46:47], v[52:53], v[16:17]
	s_cbranch_scc1 .LBB44_34
; %bb.35:                               ;   in Loop: Header=BB44_15 Depth=1
	s_mov_b64 s[30:31], s[22:23]
	s_and_not1_b32 vcc_lo, exec_lo, s39
	s_cbranch_vccz .LBB44_37
	s_branch .LBB44_13
.LBB44_36:                              ;   in Loop: Header=BB44_15 Depth=1
	s_mov_b64 s[30:31], 0
	s_and_not1_b32 vcc_lo, exec_lo, s39
	s_cbranch_vccnz .LBB44_13
.LBB44_37:                              ;   in Loop: Header=BB44_15 Depth=1
	s_lshl_b32 s30, s30, 4
	s_delay_alu instid0(SALU_CYCLE_1)
	v_add_nc_u32_e32 v40, s30, v39
	v_add_nc_u32_e32 v41, s30, v38
	s_mov_b64 s[30:31], s[28:29]
	.p2align	6
.LBB44_38:                              ;   Parent Loop BB44_15 Depth=1
                                        ; =>  This Inner Loop Header: Depth=2
	ds_load_b128 v[42:45], v41
	ds_load_b128 v[46:49], v40
	v_add_nc_u32_e32 v40, 16, v40
	v_add_nc_u32_e32 v41, 16, v41
	s_add_u32 s30, s30, -1
	s_addc_u32 s31, s31, -1
	s_delay_alu instid0(SALU_CYCLE_1) | instskip(SKIP_3) | instid1(VALU_DEP_2)
	s_cmp_lg_u64 s[30:31], 0
	s_waitcnt lgkmcnt(0)
	v_fma_f64 v[18:19], v[42:43], v[46:47], v[18:19]
	v_fma_f64 v[16:17], v[44:45], v[46:47], v[16:17]
	v_fma_f64 v[18:19], -v[44:45], v[48:49], v[18:19]
	s_delay_alu instid0(VALU_DEP_2)
	v_fma_f64 v[16:17], v[42:43], v[48:49], v[16:17]
	s_cbranch_scc1 .LBB44_38
	s_branch .LBB44_13
.LBB44_39:
	s_delay_alu instid0(VALU_DEP_1) | instskip(NEXT) | instid1(SALU_CYCLE_1)
	s_and_b32 s0, s33, s0
	s_and_b32 exec_lo, exec_lo, s0
	s_cbranch_execz .LBB44_62
; %bb.40:
	v_mad_u64_u32 v[24:25], null, s14, s18, v[1:2]
	s_load_b64 s[2:3], s[2:3], 0x88
	s_waitcnt vmcnt(0)
	v_cmp_neq_f64_e32 vcc_lo, 0, v[8:9]
	v_cmp_neq_f64_e64 s0, 0, v[10:11]
	s_mov_b32 s5, exec_lo
	s_delay_alu instid0(VALU_DEP_3) | instskip(NEXT) | instid1(VALU_DEP_1)
	v_mov_b32_e32 v0, v25
	v_mad_u64_u32 v[1:2], null, s14, s19, v[0:1]
	s_waitcnt lgkmcnt(0)
	v_mul_lo_u32 v0, v24, s3
	v_mad_u64_u32 v[2:3], null, v24, s2, 0
	s_delay_alu instid0(VALU_DEP_3) | instskip(NEXT) | instid1(VALU_DEP_1)
	v_mul_lo_u32 v25, v1, s2
	v_add3_u32 v3, v3, v0, v25
	v_mov_b32_e32 v25, v1
	s_delay_alu instid0(VALU_DEP_2) | instskip(NEXT) | instid1(VALU_DEP_2)
	v_lshlrev_b64 v[0:1], 4, v[2:3]
	v_lshlrev_b64 v[2:3], 4, v[24:25]
	s_or_b32 s4, vcc_lo, s0
	s_cmp_lg_u32 s16, 1
	s_delay_alu instid0(VALU_DEP_2) | instskip(NEXT) | instid1(VALU_DEP_3)
	v_add_co_u32 v26, vcc_lo, s6, v0
	v_add_co_ci_u32_e32 v27, vcc_lo, s7, v1, vcc_lo
	s_delay_alu instid0(VALU_DEP_3)
	v_add_co_u32 v24, vcc_lo, s6, v2
	v_add_co_ci_u32_e32 v25, vcc_lo, s7, v3, vcc_lo
	s_cselect_b32 s0, -1, 0
	v_cmpx_gt_i64_e64 s[10:11], v[14:15]
	s_cbranch_execz .LBB44_51
; %bb.41:
	s_and_saveexec_b32 s1, s4
	s_delay_alu instid0(SALU_CYCLE_1)
	s_xor_b32 s1, exec_lo, s1
	s_cbranch_execz .LBB44_46
; %bb.42:
	s_and_b32 vcc_lo, exec_lo, s0
	s_mov_b32 s6, -1
	s_cbranch_vccz .LBB44_44
; %bb.43:
	v_lshlrev_b64 v[0:1], 4, v[14:15]
	v_mul_f64 v[30:31], v[22:23], -v[6:7]
	v_mul_f64 v[32:33], v[4:5], v[22:23]
	s_mov_b32 s6, 0
	s_delay_alu instid0(VALU_DEP_3) | instskip(NEXT) | instid1(VALU_DEP_4)
	v_add_co_u32 v28, vcc_lo, v26, v0
	v_add_co_ci_u32_e32 v29, vcc_lo, v27, v1, vcc_lo
	global_load_b128 v[0:3], v[28:29], off
	v_fma_f64 v[30:31], v[4:5], v[20:21], v[30:31]
	v_fma_f64 v[32:33], v[6:7], v[20:21], v[32:33]
	s_waitcnt vmcnt(0)
	s_delay_alu instid0(VALU_DEP_2) | instskip(NEXT) | instid1(VALU_DEP_2)
	v_fma_f64 v[30:31], v[8:9], v[0:1], v[30:31]
	v_fma_f64 v[32:33], v[10:11], v[0:1], v[32:33]
	s_delay_alu instid0(VALU_DEP_2) | instskip(NEXT) | instid1(VALU_DEP_2)
	v_fma_f64 v[0:1], -v[10:11], v[2:3], v[30:31]
	v_fma_f64 v[2:3], v[8:9], v[2:3], v[32:33]
	global_store_b128 v[28:29], v[0:3], off
.LBB44_44:
	s_and_not1_b32 vcc_lo, exec_lo, s6
	s_cbranch_vccnz .LBB44_46
; %bb.45:
	v_mad_u64_u32 v[0:1], null, v14, s2, 0
	v_mul_f64 v[28:29], v[22:23], -v[6:7]
	v_mul_f64 v[22:23], v[4:5], v[22:23]
	s_delay_alu instid0(VALU_DEP_3) | instskip(NEXT) | instid1(VALU_DEP_1)
	v_mad_u64_u32 v[2:3], null, v14, s3, v[1:2]
	v_mov_b32_e32 v1, v2
	s_delay_alu instid0(VALU_DEP_1) | instskip(NEXT) | instid1(VALU_DEP_1)
	v_lshlrev_b64 v[0:1], 4, v[0:1]
	v_add_co_u32 v14, vcc_lo, v24, v0
	s_delay_alu instid0(VALU_DEP_2) | instskip(SKIP_4) | instid1(VALU_DEP_2)
	v_add_co_ci_u32_e32 v15, vcc_lo, v25, v1, vcc_lo
	global_load_b128 v[0:3], v[14:15], off
	v_fma_f64 v[28:29], v[4:5], v[20:21], v[28:29]
	v_fma_f64 v[20:21], v[6:7], v[20:21], v[22:23]
	s_waitcnt vmcnt(0)
	v_fma_f64 v[22:23], v[8:9], v[0:1], v[28:29]
	s_delay_alu instid0(VALU_DEP_2) | instskip(NEXT) | instid1(VALU_DEP_2)
	v_fma_f64 v[20:21], v[10:11], v[0:1], v[20:21]
	v_fma_f64 v[0:1], -v[10:11], v[2:3], v[22:23]
	s_delay_alu instid0(VALU_DEP_2)
	v_fma_f64 v[2:3], v[8:9], v[2:3], v[20:21]
                                        ; implicit-def: $vgpr22_vgpr23
                                        ; implicit-def: $vgpr20_vgpr21
	global_store_b128 v[14:15], v[0:3], off
                                        ; implicit-def: $vgpr14_vgpr15
.LBB44_46:
	s_and_not1_saveexec_b32 s1, s1
	s_cbranch_execz .LBB44_51
; %bb.47:
	v_mul_f64 v[0:1], v[22:23], -v[6:7]
	v_mul_f64 v[2:3], v[4:5], v[22:23]
	s_and_b32 vcc_lo, exec_lo, s0
	s_mov_b32 s1, -1
	s_delay_alu instid0(VALU_DEP_2) | instskip(NEXT) | instid1(VALU_DEP_2)
	v_fma_f64 v[0:1], v[4:5], v[20:21], v[0:1]
	v_fma_f64 v[2:3], v[6:7], v[20:21], v[2:3]
	s_cbranch_vccz .LBB44_49
; %bb.48:
	v_lshlrev_b64 v[20:21], 4, v[14:15]
	s_mov_b32 s1, 0
	s_delay_alu instid0(VALU_DEP_1) | instskip(NEXT) | instid1(VALU_DEP_2)
	v_add_co_u32 v20, vcc_lo, v26, v20
	v_add_co_ci_u32_e32 v21, vcc_lo, v27, v21, vcc_lo
	global_store_b128 v[20:21], v[0:3], off
.LBB44_49:
	s_and_not1_b32 vcc_lo, exec_lo, s1
	s_cbranch_vccnz .LBB44_51
; %bb.50:
	v_mad_u64_u32 v[20:21], null, v14, s2, 0
	s_delay_alu instid0(VALU_DEP_1) | instskip(NEXT) | instid1(VALU_DEP_1)
	v_mov_b32_e32 v15, v21
	v_mad_u64_u32 v[21:22], null, v14, s3, v[15:16]
	s_delay_alu instid0(VALU_DEP_1) | instskip(NEXT) | instid1(VALU_DEP_1)
	v_lshlrev_b64 v[14:15], 4, v[20:21]
	v_add_co_u32 v14, vcc_lo, v24, v14
	s_delay_alu instid0(VALU_DEP_2)
	v_add_co_ci_u32_e32 v15, vcc_lo, v25, v15, vcc_lo
	global_store_b128 v[14:15], v[0:3], off
.LBB44_51:
	s_or_b32 exec_lo, exec_lo, s5
	v_cmp_gt_i64_e32 vcc_lo, s[10:11], v[12:13]
	s_and_b32 exec_lo, exec_lo, vcc_lo
	s_cbranch_execz .LBB44_62
; %bb.52:
	s_and_saveexec_b32 s1, s4
	s_delay_alu instid0(SALU_CYCLE_1)
	s_xor_b32 s1, exec_lo, s1
	s_cbranch_execz .LBB44_57
; %bb.53:
	s_and_not1_b32 vcc_lo, exec_lo, s0
	s_mov_b32 s4, -1
	s_cbranch_vccnz .LBB44_55
; %bb.54:
	v_lshlrev_b64 v[0:1], 4, v[12:13]
	v_mul_f64 v[20:21], v[16:17], -v[6:7]
	v_mul_f64 v[22:23], v[4:5], v[16:17]
	s_mov_b32 s4, 0
	s_delay_alu instid0(VALU_DEP_3) | instskip(NEXT) | instid1(VALU_DEP_4)
	v_add_co_u32 v13, vcc_lo, v26, v0
	v_add_co_ci_u32_e32 v14, vcc_lo, v27, v1, vcc_lo
	global_load_b128 v[0:3], v[13:14], off
	v_fma_f64 v[20:21], v[4:5], v[18:19], v[20:21]
	v_fma_f64 v[22:23], v[6:7], v[18:19], v[22:23]
	s_waitcnt vmcnt(0)
	s_delay_alu instid0(VALU_DEP_2) | instskip(NEXT) | instid1(VALU_DEP_2)
	v_fma_f64 v[20:21], v[8:9], v[0:1], v[20:21]
	v_fma_f64 v[22:23], v[10:11], v[0:1], v[22:23]
	s_delay_alu instid0(VALU_DEP_2) | instskip(NEXT) | instid1(VALU_DEP_2)
	v_fma_f64 v[0:1], -v[10:11], v[2:3], v[20:21]
	v_fma_f64 v[2:3], v[8:9], v[2:3], v[22:23]
	global_store_b128 v[13:14], v[0:3], off
.LBB44_55:
	s_and_not1_b32 vcc_lo, exec_lo, s4
                                        ; implicit-def: $vgpr26
                                        ; implicit-def: $vgpr27
	s_cbranch_vccnz .LBB44_57
; %bb.56:
	v_mad_u64_u32 v[0:1], null, v12, s2, 0
	v_mul_f64 v[14:15], v[16:17], -v[6:7]
	v_mul_f64 v[16:17], v[4:5], v[16:17]
                                        ; implicit-def: $vgpr26
                                        ; implicit-def: $vgpr27
	s_delay_alu instid0(VALU_DEP_3) | instskip(NEXT) | instid1(VALU_DEP_1)
	v_mad_u64_u32 v[2:3], null, v12, s3, v[1:2]
	v_mov_b32_e32 v1, v2
	s_delay_alu instid0(VALU_DEP_1) | instskip(NEXT) | instid1(VALU_DEP_1)
	v_lshlrev_b64 v[0:1], 4, v[0:1]
	v_add_co_u32 v12, vcc_lo, v24, v0
	s_delay_alu instid0(VALU_DEP_2) | instskip(SKIP_4) | instid1(VALU_DEP_2)
	v_add_co_ci_u32_e32 v13, vcc_lo, v25, v1, vcc_lo
                                        ; implicit-def: $vgpr24
                                        ; implicit-def: $vgpr25
	global_load_b128 v[0:3], v[12:13], off
	v_fma_f64 v[4:5], v[4:5], v[18:19], v[14:15]
	v_fma_f64 v[6:7], v[6:7], v[18:19], v[16:17]
                                        ; implicit-def: $vgpr18_vgpr19
                                        ; implicit-def: $vgpr16_vgpr17
	s_waitcnt vmcnt(0)
	v_fma_f64 v[4:5], v[8:9], v[0:1], v[4:5]
	s_delay_alu instid0(VALU_DEP_2) | instskip(NEXT) | instid1(VALU_DEP_2)
	v_fma_f64 v[6:7], v[10:11], v[0:1], v[6:7]
	v_fma_f64 v[0:1], -v[10:11], v[2:3], v[4:5]
	s_delay_alu instid0(VALU_DEP_2)
	v_fma_f64 v[2:3], v[8:9], v[2:3], v[6:7]
                                        ; implicit-def: $vgpr4_vgpr5
                                        ; implicit-def: $vgpr6_vgpr7
	global_store_b128 v[12:13], v[0:3], off
                                        ; implicit-def: $vgpr12_vgpr13
.LBB44_57:
	s_and_not1_saveexec_b32 s1, s1
	s_cbranch_execz .LBB44_62
; %bb.58:
	v_mul_f64 v[0:1], v[16:17], -v[6:7]
	v_mul_f64 v[2:3], v[4:5], v[16:17]
	s_and_not1_b32 vcc_lo, exec_lo, s0
	s_mov_b32 s0, -1
	s_delay_alu instid0(VALU_DEP_2) | instskip(NEXT) | instid1(VALU_DEP_2)
	v_fma_f64 v[0:1], v[4:5], v[18:19], v[0:1]
	v_fma_f64 v[2:3], v[6:7], v[18:19], v[2:3]
	s_cbranch_vccnz .LBB44_60
; %bb.59:
	v_lshlrev_b64 v[4:5], 4, v[12:13]
	s_mov_b32 s0, 0
	s_delay_alu instid0(VALU_DEP_1) | instskip(NEXT) | instid1(VALU_DEP_2)
	v_add_co_u32 v4, vcc_lo, v26, v4
	v_add_co_ci_u32_e32 v5, vcc_lo, v27, v5, vcc_lo
	global_store_b128 v[4:5], v[0:3], off
.LBB44_60:
	s_and_not1_b32 vcc_lo, exec_lo, s0
	s_cbranch_vccnz .LBB44_62
; %bb.61:
	v_mad_u64_u32 v[4:5], null, v12, s2, 0
	s_delay_alu instid0(VALU_DEP_1) | instskip(NEXT) | instid1(VALU_DEP_1)
	v_mad_u64_u32 v[6:7], null, v12, s3, v[5:6]
	v_mov_b32_e32 v5, v6
	s_delay_alu instid0(VALU_DEP_1) | instskip(NEXT) | instid1(VALU_DEP_1)
	v_lshlrev_b64 v[4:5], 4, v[4:5]
	v_add_co_u32 v4, vcc_lo, v24, v4
	s_delay_alu instid0(VALU_DEP_2)
	v_add_co_ci_u32_e32 v5, vcc_lo, v25, v5, vcc_lo
	global_store_b128 v[4:5], v[0:3], off
.LBB44_62:
	s_nop 0
	s_sendmsg sendmsg(MSG_DEALLOC_VGPRS)
	s_endpgm
	.section	.rodata,"a",@progbits
	.p2align	6, 0x0
	.amdhsa_kernel _ZN9rocsparseL31bsrmm_large_blockdim_kernel_extILj8ELj8ELj2Ell21rocsparse_complex_numIdES2_S2_S2_EEvb20rocsparse_direction_T3_S4_llNS_24const_host_device_scalarIT7_EEPKT2_PKS4_PKT4_S4_PKT5_llS7_PT6_ll16rocsparse_order_21rocsparse_index_base_b
		.amdhsa_group_segment_fixed_size 4096
		.amdhsa_private_segment_fixed_size 0
		.amdhsa_kernarg_size 164
		.amdhsa_user_sgpr_count 14
		.amdhsa_user_sgpr_dispatch_ptr 1
		.amdhsa_user_sgpr_queue_ptr 0
		.amdhsa_user_sgpr_kernarg_segment_ptr 1
		.amdhsa_user_sgpr_dispatch_id 0
		.amdhsa_user_sgpr_private_segment_size 0
		.amdhsa_wavefront_size32 1
		.amdhsa_uses_dynamic_stack 0
		.amdhsa_enable_private_segment 0
		.amdhsa_system_sgpr_workgroup_id_x 1
		.amdhsa_system_sgpr_workgroup_id_y 1
		.amdhsa_system_sgpr_workgroup_id_z 0
		.amdhsa_system_sgpr_workgroup_info 0
		.amdhsa_system_vgpr_workitem_id 2
		.amdhsa_next_free_vgpr 58
		.amdhsa_next_free_sgpr 44
		.amdhsa_reserve_vcc 1
		.amdhsa_float_round_mode_32 0
		.amdhsa_float_round_mode_16_64 0
		.amdhsa_float_denorm_mode_32 3
		.amdhsa_float_denorm_mode_16_64 3
		.amdhsa_dx10_clamp 1
		.amdhsa_ieee_mode 1
		.amdhsa_fp16_overflow 0
		.amdhsa_workgroup_processor_mode 1
		.amdhsa_memory_ordered 1
		.amdhsa_forward_progress 0
		.amdhsa_shared_vgpr_count 0
		.amdhsa_exception_fp_ieee_invalid_op 0
		.amdhsa_exception_fp_denorm_src 0
		.amdhsa_exception_fp_ieee_div_zero 0
		.amdhsa_exception_fp_ieee_overflow 0
		.amdhsa_exception_fp_ieee_underflow 0
		.amdhsa_exception_fp_ieee_inexact 0
		.amdhsa_exception_int_div_zero 0
	.end_amdhsa_kernel
	.section	.text._ZN9rocsparseL31bsrmm_large_blockdim_kernel_extILj8ELj8ELj2Ell21rocsparse_complex_numIdES2_S2_S2_EEvb20rocsparse_direction_T3_S4_llNS_24const_host_device_scalarIT7_EEPKT2_PKS4_PKT4_S4_PKT5_llS7_PT6_ll16rocsparse_order_21rocsparse_index_base_b,"axG",@progbits,_ZN9rocsparseL31bsrmm_large_blockdim_kernel_extILj8ELj8ELj2Ell21rocsparse_complex_numIdES2_S2_S2_EEvb20rocsparse_direction_T3_S4_llNS_24const_host_device_scalarIT7_EEPKT2_PKS4_PKT4_S4_PKT5_llS7_PT6_ll16rocsparse_order_21rocsparse_index_base_b,comdat
.Lfunc_end44:
	.size	_ZN9rocsparseL31bsrmm_large_blockdim_kernel_extILj8ELj8ELj2Ell21rocsparse_complex_numIdES2_S2_S2_EEvb20rocsparse_direction_T3_S4_llNS_24const_host_device_scalarIT7_EEPKT2_PKS4_PKT4_S4_PKT5_llS7_PT6_ll16rocsparse_order_21rocsparse_index_base_b, .Lfunc_end44-_ZN9rocsparseL31bsrmm_large_blockdim_kernel_extILj8ELj8ELj2Ell21rocsparse_complex_numIdES2_S2_S2_EEvb20rocsparse_direction_T3_S4_llNS_24const_host_device_scalarIT7_EEPKT2_PKS4_PKT4_S4_PKT5_llS7_PT6_ll16rocsparse_order_21rocsparse_index_base_b
                                        ; -- End function
	.section	.AMDGPU.csdata,"",@progbits
; Kernel info:
; codeLenInByte = 3564
; NumSgprs: 46
; NumVgprs: 58
; ScratchSize: 0
; MemoryBound: 0
; FloatMode: 240
; IeeeMode: 1
; LDSByteSize: 4096 bytes/workgroup (compile time only)
; SGPRBlocks: 5
; VGPRBlocks: 7
; NumSGPRsForWavesPerEU: 46
; NumVGPRsForWavesPerEU: 58
; Occupancy: 16
; WaveLimiterHint : 1
; COMPUTE_PGM_RSRC2:SCRATCH_EN: 0
; COMPUTE_PGM_RSRC2:USER_SGPR: 14
; COMPUTE_PGM_RSRC2:TRAP_HANDLER: 0
; COMPUTE_PGM_RSRC2:TGID_X_EN: 1
; COMPUTE_PGM_RSRC2:TGID_Y_EN: 1
; COMPUTE_PGM_RSRC2:TGID_Z_EN: 0
; COMPUTE_PGM_RSRC2:TIDIG_COMP_CNT: 2
	.section	.text._ZN9rocsparseL31bsrmm_large_blockdim_kernel_extILj4ELj16ELj2Ell21rocsparse_complex_numIdES2_S2_S2_EEvb20rocsparse_direction_T3_S4_llNS_24const_host_device_scalarIT7_EEPKT2_PKS4_PKT4_S4_PKT5_llS7_PT6_ll16rocsparse_order_21rocsparse_index_base_b,"axG",@progbits,_ZN9rocsparseL31bsrmm_large_blockdim_kernel_extILj4ELj16ELj2Ell21rocsparse_complex_numIdES2_S2_S2_EEvb20rocsparse_direction_T3_S4_llNS_24const_host_device_scalarIT7_EEPKT2_PKS4_PKT4_S4_PKT5_llS7_PT6_ll16rocsparse_order_21rocsparse_index_base_b,comdat
	.globl	_ZN9rocsparseL31bsrmm_large_blockdim_kernel_extILj4ELj16ELj2Ell21rocsparse_complex_numIdES2_S2_S2_EEvb20rocsparse_direction_T3_S4_llNS_24const_host_device_scalarIT7_EEPKT2_PKS4_PKT4_S4_PKT5_llS7_PT6_ll16rocsparse_order_21rocsparse_index_base_b ; -- Begin function _ZN9rocsparseL31bsrmm_large_blockdim_kernel_extILj4ELj16ELj2Ell21rocsparse_complex_numIdES2_S2_S2_EEvb20rocsparse_direction_T3_S4_llNS_24const_host_device_scalarIT7_EEPKT2_PKS4_PKT4_S4_PKT5_llS7_PT6_ll16rocsparse_order_21rocsparse_index_base_b
	.p2align	8
	.type	_ZN9rocsparseL31bsrmm_large_blockdim_kernel_extILj4ELj16ELj2Ell21rocsparse_complex_numIdES2_S2_S2_EEvb20rocsparse_direction_T3_S4_llNS_24const_host_device_scalarIT7_EEPKT2_PKS4_PKT4_S4_PKT5_llS7_PT6_ll16rocsparse_order_21rocsparse_index_base_b,@function
_ZN9rocsparseL31bsrmm_large_blockdim_kernel_extILj4ELj16ELj2Ell21rocsparse_complex_numIdES2_S2_S2_EEvb20rocsparse_direction_T3_S4_llNS_24const_host_device_scalarIT7_EEPKT2_PKS4_PKT4_S4_PKT5_llS7_PT6_ll16rocsparse_order_21rocsparse_index_base_b: ; @_ZN9rocsparseL31bsrmm_large_blockdim_kernel_extILj4ELj16ELj2Ell21rocsparse_complex_numIdES2_S2_S2_EEvb20rocsparse_direction_T3_S4_llNS_24const_host_device_scalarIT7_EEPKT2_PKS4_PKT4_S4_PKT5_llS7_PT6_ll16rocsparse_order_21rocsparse_index_base_b
; %bb.0:
	s_load_b128 s[16:19], s[2:3], 0x98
	s_load_b64 s[6:7], s[0:1], 0x4
	s_load_b128 s[20:23], s[2:3], 0x28
	v_bfe_u32 v24, v0, 10, 10
	s_mov_b64 s[0:1], src_shared_base
	s_load_b128 s[8:11], s[2:3], 0x70
	v_and_b32_e32 v1, 0x3ff, v0
	v_bfe_u32 v0, v0, 20, 10
	s_mov_b32 s4, s15
	s_waitcnt lgkmcnt(0)
	s_bitcmp1_b32 s18, 0
	v_mul_u32_u24_e32 v2, s7, v24
	s_cselect_b32 s0, -1, 0
	s_delay_alu instid0(SALU_CYCLE_1)
	s_and_b32 vcc_lo, s0, exec_lo
	s_cselect_b32 s5, s1, s21
	s_lshr_b32 s6, s6, 16
	v_dual_mov_b32 v4, s8 :: v_dual_mov_b32 v5, s9
	s_mul_i32 s6, s6, s7
	v_mov_b32_e32 v7, s5
	v_mad_u32_u24 v2, s6, v1, v2
	s_xor_b32 s5, s0, -1
	s_delay_alu instid0(VALU_DEP_1) | instskip(SKIP_1) | instid1(VALU_DEP_2)
	v_add_lshl_u32 v0, v2, v0, 3
	v_dual_mov_b32 v2, s20 :: v_dual_mov_b32 v3, s21
	v_add_nc_u32_e32 v6, 0xb00, v0
	v_add_nc_u32_e32 v8, 0x100, v0
	;; [unrolled: 1-line block ×3, first 2 shown]
	s_delay_alu instid0(VALU_DEP_3)
	v_cndmask_b32_e64 v6, s20, v6, s0
	ds_store_2addr_stride64_b64 v8, v[4:5], v[2:3] offset0:4 offset1:5
	flat_load_b64 v[4:5], v[6:7]
	v_dual_mov_b32 v6, s22 :: v_dual_mov_b32 v7, s23
	s_cbranch_vccnz .LBB45_2
; %bb.1:
	v_dual_mov_b32 v2, s20 :: v_dual_mov_b32 v3, s21
	flat_load_b64 v[6:7], v[2:3] offset:8
.LBB45_2:
	s_and_b32 s6, s0, exec_lo
	s_cselect_b32 s1, s1, s9
	v_cndmask_b32_e64 v2, s8, v0, s0
	v_dual_mov_b32 v3, s1 :: v_dual_mov_b32 v10, s10
	v_mov_b32_e32 v11, s11
	s_and_not1_b32 vcc_lo, exec_lo, s5
	flat_load_b64 v[8:9], v[2:3]
	s_cbranch_vccnz .LBB45_4
; %bb.3:
	v_dual_mov_b32 v2, s8 :: v_dual_mov_b32 v3, s9
	flat_load_b64 v[10:11], v[2:3] offset:8
.LBB45_4:
	s_waitcnt vmcnt(1) lgkmcnt(1)
	v_cmp_eq_f64_e32 vcc_lo, 0, v[4:5]
	v_cmp_eq_f64_e64 s0, 0, v[6:7]
	s_delay_alu instid0(VALU_DEP_1)
	s_and_b32 s5, vcc_lo, s0
	s_mov_b32 s0, -1
	s_and_saveexec_b32 s1, s5
	s_cbranch_execz .LBB45_6
; %bb.5:
	s_waitcnt vmcnt(0) lgkmcnt(0)
	v_cmp_neq_f64_e32 vcc_lo, 1.0, v[8:9]
	v_cmp_neq_f64_e64 s0, 0, v[10:11]
	s_delay_alu instid0(VALU_DEP_1) | instskip(NEXT) | instid1(SALU_CYCLE_1)
	s_or_b32 s0, vcc_lo, s0
	s_or_not1_b32 s0, s0, exec_lo
.LBB45_6:
	s_or_b32 exec_lo, exec_lo, s1
	s_and_saveexec_b32 s1, s0
	s_cbranch_execz .LBB45_62
; %bb.7:
	s_clause 0x1
	s_load_b128 s[8:11], s[2:3], 0x8
	s_load_b64 s[0:1], s[2:3], 0x38
	s_ashr_i32 s15, s14, 31
	s_mov_b64 s[12:13], 0
	s_waitcnt lgkmcnt(0)
	v_cmp_ge_i64_e64 s5, s[14:15], s[8:9]
	v_cmp_lt_i64_e64 s33, s[14:15], s[8:9]
	s_mov_b64 s[8:9], 0
	s_delay_alu instid0(VALU_DEP_2)
	s_and_b32 vcc_lo, exec_lo, s5
	s_cbranch_vccnz .LBB45_9
; %bb.8:
	s_lshl_b64 s[6:7], s[14:15], 3
	s_delay_alu instid0(SALU_CYCLE_1)
	s_add_u32 s6, s0, s6
	s_addc_u32 s7, s1, s7
	s_load_b64 s[6:7], s[6:7], 0x0
	s_waitcnt lgkmcnt(0)
	s_sub_u32 s12, s6, s17
	s_subb_u32 s13, s7, 0
.LBB45_9:
	s_delay_alu instid0(VALU_DEP_1)
	s_and_not1_b32 vcc_lo, exec_lo, s33
	s_cbranch_vccnz .LBB45_11
; %bb.10:
	s_lshl_b64 s[6:7], s[14:15], 3
	s_delay_alu instid0(SALU_CYCLE_1)
	s_add_u32 s0, s0, s6
	s_addc_u32 s1, s1, s7
	s_load_b64 s[0:1], s[0:1], 0x8
	s_waitcnt lgkmcnt(0)
	s_sub_u32 s8, s0, s17
	s_subb_u32 s9, s1, 0
.LBB45_11:
	s_clause 0x1
	s_load_b64 s[18:19], s[2:3], 0x50
	s_load_b64 s[6:7], s[2:3], 0x80
	v_lshl_add_u32 v14, s4, 5, v24
	v_dual_mov_b32 v15, 0 :: v_dual_mov_b32 v20, 0
	v_cmp_ge_i64_e64 s0, s[12:13], s[8:9]
	s_delay_alu instid0(VALU_DEP_3) | instskip(NEXT) | instid1(VALU_DEP_3)
	v_dual_mov_b32 v21, 0 :: v_dual_add_nc_u32 v12, 16, v14
	v_mov_b32_e32 v13, v15
	v_mov_b32_e32 v2, v15
	v_cmp_gt_i64_e64 s1, s[10:11], v[14:15]
	s_delay_alu instid0(VALU_DEP_4)
	v_mov_b32_e32 v23, v21
	s_and_b32 vcc_lo, exec_lo, s0
	v_mov_b32_e32 v22, v20
	v_cmp_gt_i64_e64 s4, s[10:11], v[12:13]
	v_dual_mov_b32 v18, v20 :: v_dual_mov_b32 v19, v21
	v_dual_mov_b32 v16, v20 :: v_dual_mov_b32 v17, v21
	s_mov_b32 s29, 0
	s_waitcnt lgkmcnt(0)
	v_cmp_gt_i64_e64 s0, s[18:19], v[1:2]
	s_cbranch_vccnz .LBB45_39
; %bb.12:
	v_mad_u64_u32 v[16:17], null, v24, s18, 0
	s_clause 0x2
	s_load_b64 s[30:31], s[2:3], 0x0
	s_load_b128 s[20:23], s[2:3], 0x40
	s_load_b128 s[24:27], s[2:3], 0x58
	v_mad_u64_u32 v[18:19], null, v1, s18, 0
	s_mul_i32 s5, s18, s19
	s_mul_hi_u32 s28, s18, s18
	v_lshl_add_u32 v22, v1, 2, v24
	v_dual_mov_b32 v0, v17 :: v_dual_mov_b32 v25, v15
	s_add_i32 s28, s28, s5
	v_lshlrev_b32_e32 v37, 6, v24
	s_add_i32 s34, s28, s5
	s_delay_alu instid0(VALU_DEP_2)
	v_mad_u64_u32 v[20:21], null, v24, s19, v[0:1]
	v_cmp_gt_i64_e32 vcc_lo, s[18:19], v[24:25]
	v_dual_mov_b32 v0, v19 :: v_dual_lshlrev_b32 v21, 4, v1
	v_lshl_add_u32 v32, v22, 4, 0x800
	v_lshlrev_b32_e32 v25, 2, v24
	v_lshlrev_b64 v[30:31], 4, v[12:13]
	v_mov_b32_e32 v17, v20
	v_mad_u64_u32 v[19:20], null, v1, s19, v[0:1]
	s_and_b32 s35, s0, vcc_lo
	s_waitcnt lgkmcnt(0)
	v_add_co_u32 v0, s28, s24, v21
	v_lshlrev_b64 v[16:17], 4, v[16:17]
	s_bitcmp1_b32 s30, 0
	v_add_co_ci_u32_e64 v3, null, s25, 0, s28
	s_cselect_b32 s5, -1, 0
	s_cmp_eq_u32 s31, 0
	s_delay_alu instid0(VALU_DEP_2) | instskip(SKIP_2) | instid1(VALU_DEP_3)
	v_add_co_u32 v16, vcc_lo, s22, v16
	v_add_co_ci_u32_e32 v17, vcc_lo, s23, v17, vcc_lo
	v_lshl_add_u32 v38, v1, 6, 0x800
	v_add_co_u32 v26, vcc_lo, v16, v21
	s_delay_alu instid0(VALU_DEP_3) | instskip(SKIP_4) | instid1(VALU_DEP_4)
	v_add_co_ci_u32_e32 v27, vcc_lo, 0, v17, vcc_lo
	v_lshlrev_b64 v[16:17], 4, v[18:19]
	v_mad_u64_u32 v[18:19], null, v14, s26, 0
	v_mad_u64_u32 v[20:21], null, v12, s26, 0
	v_add_nc_u32_e32 v39, 0x400, v37
	v_add_co_u32 v28, vcc_lo, s22, v16
	v_add_co_ci_u32_e32 v29, vcc_lo, s23, v17, vcc_lo
	s_delay_alu instid0(VALU_DEP_4) | instskip(SKIP_3) | instid1(VALU_DEP_3)
	v_dual_mov_b32 v16, v19 :: v_dual_mov_b32 v17, v21
	v_lshlrev_b32_e32 v19, 4, v24
	v_cmp_gt_i64_e64 s22, s[18:19], 0
	s_mul_i32 s15, s18, s18
	v_mad_u64_u32 v[21:22], null, v14, s27, v[16:17]
	s_delay_alu instid0(VALU_DEP_3) | instskip(SKIP_3) | instid1(VALU_DEP_3)
	v_add_co_u32 v16, vcc_lo, v28, v19
	v_mad_u64_u32 v[22:23], null, v12, s27, v[17:18]
	v_add_co_ci_u32_e32 v17, vcc_lo, 0, v29, vcc_lo
	s_cselect_b32 vcc_lo, -1, 0
	v_dual_mov_b32 v19, v21 :: v_dual_cndmask_b32 v36, v26, v16
	s_delay_alu instid0(VALU_DEP_2)
	v_dual_cndmask_b32 v35, v27, v17 :: v_dual_mov_b32 v16, 0
	v_mov_b32_e32 v17, 0
	v_mov_b32_e32 v21, v22
	v_add_lshl_u32 v33, v25, v1, 4
	s_and_b32 s36, s1, s22
	s_and_b32 s37, s4, s22
	s_add_u32 s30, s18, -1
	s_addc_u32 s31, s19, -1
	v_dual_mov_b32 v23, v17 :: v_dual_mov_b32 v22, v16
	s_and_b32 s28, s18, 3
	v_lshlrev_b64 v[24:25], 4, v[18:19]
	v_lshlrev_b64 v[26:27], 4, v[20:21]
	;; [unrolled: 1-line block ×3, first 2 shown]
	v_cmp_gt_u64_e64 s38, s[30:31], 2
	v_mov_b32_e32 v19, v17
	v_dual_mov_b32 v21, v17 :: v_dual_add_nc_u32 v34, 0x400, v33
	s_and_b32 s23, s19, 0x7fffffff
	s_and_b32 s22, s18, -4
	v_mov_b32_e32 v18, v16
	v_mov_b32_e32 v20, v16
	s_cmp_lg_u64 s[28:29], 0
	s_cselect_b32 s39, -1, 0
	s_branch .LBB45_15
.LBB45_13:                              ;   in Loop: Header=BB45_15 Depth=1
	s_or_b32 exec_lo, exec_lo, s41
.LBB45_14:                              ;   in Loop: Header=BB45_15 Depth=1
	s_delay_alu instid0(SALU_CYCLE_1) | instskip(SKIP_2) | instid1(SALU_CYCLE_1)
	s_or_b32 exec_lo, exec_lo, s40
	s_add_u32 s12, s12, 1
	s_addc_u32 s13, s13, 0
	v_cmp_ge_i64_e64 s30, s[12:13], s[8:9]
	s_barrier
	buffer_gl0_inv
	s_and_b32 vcc_lo, exec_lo, s30
	s_cbranch_vccnz .LBB45_39
.LBB45_15:                              ; =>This Loop Header: Depth=1
                                        ;     Child Loop BB45_26 Depth 2
                                        ;     Child Loop BB45_30 Depth 2
	;; [unrolled: 1-line block ×4, first 2 shown]
	s_and_saveexec_b32 s30, s0
	s_cbranch_execz .LBB45_20
; %bb.16:                               ;   in Loop: Header=BB45_15 Depth=1
	s_lshl_b64 s[40:41], s[12:13], 3
	s_delay_alu instid0(SALU_CYCLE_1)
	s_add_u32 s40, s20, s40
	s_addc_u32 s41, s21, s41
	s_load_b64 s[40:41], s[40:41], 0x0
	s_waitcnt lgkmcnt(0)
	s_sub_u32 s31, s40, s17
	s_subb_u32 s40, s41, 0
	s_mul_i32 s41, s31, s19
	s_mul_hi_u32 s42, s31, s18
	s_mul_i32 s43, s40, s18
	s_add_i32 s41, s42, s41
	s_mul_i32 s40, s31, s18
	s_add_i32 s41, s41, s43
	v_add_co_u32 v42, s31, s40, v1
	s_delay_alu instid0(VALU_DEP_1) | instskip(SKIP_1) | instid1(VALU_DEP_2)
	v_add_co_ci_u32_e64 v43, null, s41, 0, s31
	s_lshl_b64 s[40:41], s[40:41], 4
	v_mul_lo_u32 v44, v42, s27
	v_mad_u64_u32 v[40:41], null, v42, s26, 0
	s_delay_alu instid0(VALU_DEP_3) | instskip(NEXT) | instid1(VALU_DEP_1)
	v_mul_lo_u32 v42, v43, s26
	v_add3_u32 v41, v41, v44, v42
	s_delay_alu instid0(VALU_DEP_1) | instskip(NEXT) | instid1(VALU_DEP_1)
	v_lshlrev_b64 v[40:41], 4, v[40:41]
	v_add_co_u32 v40, vcc_lo, s24, v40
	s_delay_alu instid0(VALU_DEP_2)
	v_add_co_ci_u32_e32 v41, vcc_lo, s25, v41, vcc_lo
	v_add_co_u32 v42, vcc_lo, v0, s40
	v_add_co_ci_u32_e32 v43, vcc_lo, s41, v3, vcc_lo
	s_and_saveexec_b32 s31, s1
	s_cbranch_execz .LBB45_18
; %bb.17:                               ;   in Loop: Header=BB45_15 Depth=1
	v_add_co_u32 v44, vcc_lo, v40, v28
	v_add_co_ci_u32_e32 v45, vcc_lo, v41, v29, vcc_lo
	v_add_co_u32 v46, vcc_lo, v42, v24
	v_add_co_ci_u32_e32 v47, vcc_lo, v43, v25, vcc_lo
	s_delay_alu instid0(VALU_DEP_2) | instskip(NEXT) | instid1(VALU_DEP_2)
	v_cndmask_b32_e64 v44, v44, v46, s5
	v_cndmask_b32_e64 v45, v45, v47, s5
	global_load_b128 v[44:47], v[44:45], off
	s_waitcnt vmcnt(0)
	ds_store_2addr_b64 v33, v[44:45], v[46:47] offset1:1
.LBB45_18:                              ;   in Loop: Header=BB45_15 Depth=1
	s_or_b32 exec_lo, exec_lo, s31
	s_delay_alu instid0(SALU_CYCLE_1)
	s_and_b32 exec_lo, exec_lo, s4
	s_cbranch_execz .LBB45_20
; %bb.19:                               ;   in Loop: Header=BB45_15 Depth=1
	v_add_co_u32 v42, vcc_lo, v42, v26
	v_add_co_ci_u32_e32 v43, vcc_lo, v43, v27, vcc_lo
	v_add_co_u32 v40, vcc_lo, v40, v30
	v_add_co_ci_u32_e32 v41, vcc_lo, v41, v31, vcc_lo
	s_delay_alu instid0(VALU_DEP_2) | instskip(NEXT) | instid1(VALU_DEP_2)
	v_cndmask_b32_e64 v40, v40, v42, s5
	v_cndmask_b32_e64 v41, v41, v43, s5
	global_load_b128 v[40:43], v[40:41], off
	s_waitcnt vmcnt(0)
	ds_store_2addr_b64 v34, v[40:41], v[42:43] offset1:1
.LBB45_20:                              ;   in Loop: Header=BB45_15 Depth=1
	s_or_b32 exec_lo, exec_lo, s30
	s_and_saveexec_b32 s30, s35
	s_cbranch_execz .LBB45_22
; %bb.21:                               ;   in Loop: Header=BB45_15 Depth=1
	s_mul_i32 s31, s15, s13
	s_mul_hi_u32 s40, s15, s12
	s_mul_i32 s41, s34, s12
	s_add_i32 s31, s40, s31
	s_mul_i32 s40, s15, s12
	s_add_i32 s41, s31, s41
	s_delay_alu instid0(SALU_CYCLE_1) | instskip(NEXT) | instid1(SALU_CYCLE_1)
	s_lshl_b64 s[40:41], s[40:41], 4
	v_add_co_u32 v40, vcc_lo, v36, s40
	v_add_co_ci_u32_e32 v41, vcc_lo, s41, v35, vcc_lo
	global_load_b128 v[40:43], v[40:41], off
	s_waitcnt vmcnt(0)
	ds_store_2addr_b64 v32, v[40:41], v[42:43] offset1:1
.LBB45_22:                              ;   in Loop: Header=BB45_15 Depth=1
	s_or_b32 exec_lo, exec_lo, s30
	s_waitcnt vmcnt(0) lgkmcnt(0)
	s_barrier
	buffer_gl0_inv
	s_and_saveexec_b32 s40, s0
	s_cbranch_execz .LBB45_14
; %bb.23:                               ;   in Loop: Header=BB45_15 Depth=1
	s_and_saveexec_b32 s41, s36
	s_cbranch_execz .LBB45_31
; %bb.24:                               ;   in Loop: Header=BB45_15 Depth=1
	s_and_not1_b32 vcc_lo, exec_lo, s38
	s_cbranch_vccnz .LBB45_28
; %bb.25:                               ;   in Loop: Header=BB45_15 Depth=1
	v_dual_mov_b32 v40, v38 :: v_dual_mov_b32 v41, v37
	s_mov_b64 s[30:31], 0
.LBB45_26:                              ;   Parent Loop BB45_15 Depth=1
                                        ; =>  This Inner Loop Header: Depth=2
	ds_load_b128 v[42:45], v41
	ds_load_b128 v[46:49], v40
	ds_load_b128 v[50:53], v40 offset:16
	ds_load_b128 v[54:57], v41 offset:16
	s_add_u32 s30, s30, 4
	s_addc_u32 s31, s31, 0
	s_delay_alu instid0(SALU_CYCLE_1) | instskip(SKIP_3) | instid1(VALU_DEP_2)
	s_cmp_lg_u64 s[22:23], s[30:31]
	s_waitcnt lgkmcnt(2)
	v_fma_f64 v[20:21], v[46:47], v[42:43], v[20:21]
	v_fma_f64 v[22:23], v[48:49], v[42:43], v[22:23]
	v_fma_f64 v[20:21], -v[48:49], v[44:45], v[20:21]
	s_delay_alu instid0(VALU_DEP_2) | instskip(SKIP_1) | instid1(VALU_DEP_2)
	v_fma_f64 v[22:23], v[46:47], v[44:45], v[22:23]
	s_waitcnt lgkmcnt(0)
	v_fma_f64 v[20:21], v[50:51], v[54:55], v[20:21]
	s_delay_alu instid0(VALU_DEP_2) | instskip(NEXT) | instid1(VALU_DEP_2)
	v_fma_f64 v[22:23], v[52:53], v[54:55], v[22:23]
	v_fma_f64 v[54:55], -v[52:53], v[56:57], v[20:21]
	s_delay_alu instid0(VALU_DEP_2)
	v_fma_f64 v[56:57], v[50:51], v[56:57], v[22:23]
	ds_load_b128 v[20:23], v41 offset:32
	ds_load_b128 v[42:45], v40 offset:32
	;; [unrolled: 1-line block ×4, first 2 shown]
	v_add_nc_u32_e32 v41, 64, v41
	v_add_nc_u32_e32 v40, 64, v40
	s_waitcnt lgkmcnt(2)
	v_fma_f64 v[54:55], v[42:43], v[20:21], v[54:55]
	v_fma_f64 v[20:21], v[44:45], v[20:21], v[56:57]
	s_delay_alu instid0(VALU_DEP_2) | instskip(NEXT) | instid1(VALU_DEP_2)
	v_fma_f64 v[44:45], -v[44:45], v[22:23], v[54:55]
	v_fma_f64 v[20:21], v[42:43], v[22:23], v[20:21]
	s_waitcnt lgkmcnt(0)
	s_delay_alu instid0(VALU_DEP_2) | instskip(NEXT) | instid1(VALU_DEP_2)
	v_fma_f64 v[22:23], v[46:47], v[50:51], v[44:45]
	v_fma_f64 v[42:43], v[48:49], v[50:51], v[20:21]
	s_delay_alu instid0(VALU_DEP_2) | instskip(NEXT) | instid1(VALU_DEP_2)
	v_fma_f64 v[20:21], -v[48:49], v[52:53], v[22:23]
	v_fma_f64 v[22:23], v[46:47], v[52:53], v[42:43]
	s_cbranch_scc1 .LBB45_26
; %bb.27:                               ;   in Loop: Header=BB45_15 Depth=1
	s_mov_b64 s[30:31], s[22:23]
	s_and_not1_b32 vcc_lo, exec_lo, s39
	s_cbranch_vccz .LBB45_29
	s_branch .LBB45_31
.LBB45_28:                              ;   in Loop: Header=BB45_15 Depth=1
	s_mov_b64 s[30:31], 0
	s_and_not1_b32 vcc_lo, exec_lo, s39
	s_cbranch_vccnz .LBB45_31
.LBB45_29:                              ;   in Loop: Header=BB45_15 Depth=1
	s_lshl_b32 s30, s30, 4
	s_delay_alu instid0(SALU_CYCLE_1)
	v_add_nc_u32_e32 v40, s30, v37
	v_add_nc_u32_e32 v41, s30, v38
	s_mov_b64 s[30:31], s[28:29]
	.p2align	6
.LBB45_30:                              ;   Parent Loop BB45_15 Depth=1
                                        ; =>  This Inner Loop Header: Depth=2
	ds_load_b128 v[42:45], v41
	ds_load_b128 v[46:49], v40
	v_add_nc_u32_e32 v40, 16, v40
	v_add_nc_u32_e32 v41, 16, v41
	s_add_u32 s30, s30, -1
	s_addc_u32 s31, s31, -1
	s_delay_alu instid0(SALU_CYCLE_1) | instskip(SKIP_3) | instid1(VALU_DEP_2)
	s_cmp_lg_u64 s[30:31], 0
	s_waitcnt lgkmcnt(0)
	v_fma_f64 v[20:21], v[42:43], v[46:47], v[20:21]
	v_fma_f64 v[22:23], v[44:45], v[46:47], v[22:23]
	v_fma_f64 v[20:21], -v[44:45], v[48:49], v[20:21]
	s_delay_alu instid0(VALU_DEP_2)
	v_fma_f64 v[22:23], v[42:43], v[48:49], v[22:23]
	s_cbranch_scc1 .LBB45_30
.LBB45_31:                              ;   in Loop: Header=BB45_15 Depth=1
	s_or_b32 exec_lo, exec_lo, s41
	s_and_saveexec_b32 s41, s37
	s_cbranch_execz .LBB45_13
; %bb.32:                               ;   in Loop: Header=BB45_15 Depth=1
	s_and_not1_b32 vcc_lo, exec_lo, s38
	s_cbranch_vccnz .LBB45_36
; %bb.33:                               ;   in Loop: Header=BB45_15 Depth=1
	v_dual_mov_b32 v40, v38 :: v_dual_mov_b32 v41, v39
	s_mov_b64 s[30:31], 0
.LBB45_34:                              ;   Parent Loop BB45_15 Depth=1
                                        ; =>  This Inner Loop Header: Depth=2
	ds_load_b128 v[42:45], v41
	ds_load_b128 v[46:49], v40
	ds_load_b128 v[50:53], v40 offset:16
	ds_load_b128 v[54:57], v41 offset:16
	s_add_u32 s30, s30, 4
	s_addc_u32 s31, s31, 0
	s_delay_alu instid0(SALU_CYCLE_1) | instskip(SKIP_3) | instid1(VALU_DEP_2)
	s_cmp_lg_u64 s[22:23], s[30:31]
	s_waitcnt lgkmcnt(2)
	v_fma_f64 v[18:19], v[46:47], v[42:43], v[18:19]
	v_fma_f64 v[16:17], v[48:49], v[42:43], v[16:17]
	v_fma_f64 v[18:19], -v[48:49], v[44:45], v[18:19]
	s_delay_alu instid0(VALU_DEP_2) | instskip(SKIP_1) | instid1(VALU_DEP_2)
	v_fma_f64 v[16:17], v[46:47], v[44:45], v[16:17]
	s_waitcnt lgkmcnt(0)
	v_fma_f64 v[18:19], v[50:51], v[54:55], v[18:19]
	s_delay_alu instid0(VALU_DEP_2) | instskip(NEXT) | instid1(VALU_DEP_2)
	v_fma_f64 v[16:17], v[52:53], v[54:55], v[16:17]
	v_fma_f64 v[54:55], -v[52:53], v[56:57], v[18:19]
	s_delay_alu instid0(VALU_DEP_2)
	v_fma_f64 v[56:57], v[50:51], v[56:57], v[16:17]
	ds_load_b128 v[16:19], v41 offset:32
	ds_load_b128 v[42:45], v40 offset:32
	;; [unrolled: 1-line block ×4, first 2 shown]
	v_add_nc_u32_e32 v41, 64, v41
	v_add_nc_u32_e32 v40, 64, v40
	s_waitcnt lgkmcnt(2)
	v_fma_f64 v[54:55], v[42:43], v[16:17], v[54:55]
	v_fma_f64 v[16:17], v[44:45], v[16:17], v[56:57]
	s_delay_alu instid0(VALU_DEP_2) | instskip(NEXT) | instid1(VALU_DEP_2)
	v_fma_f64 v[44:45], -v[44:45], v[18:19], v[54:55]
	v_fma_f64 v[16:17], v[42:43], v[18:19], v[16:17]
	s_waitcnt lgkmcnt(0)
	s_delay_alu instid0(VALU_DEP_2) | instskip(NEXT) | instid1(VALU_DEP_2)
	v_fma_f64 v[18:19], v[46:47], v[50:51], v[44:45]
	v_fma_f64 v[16:17], v[48:49], v[50:51], v[16:17]
	s_delay_alu instid0(VALU_DEP_2) | instskip(NEXT) | instid1(VALU_DEP_2)
	v_fma_f64 v[18:19], -v[48:49], v[52:53], v[18:19]
	v_fma_f64 v[16:17], v[46:47], v[52:53], v[16:17]
	s_cbranch_scc1 .LBB45_34
; %bb.35:                               ;   in Loop: Header=BB45_15 Depth=1
	s_mov_b64 s[30:31], s[22:23]
	s_and_not1_b32 vcc_lo, exec_lo, s39
	s_cbranch_vccz .LBB45_37
	s_branch .LBB45_13
.LBB45_36:                              ;   in Loop: Header=BB45_15 Depth=1
	s_mov_b64 s[30:31], 0
	s_and_not1_b32 vcc_lo, exec_lo, s39
	s_cbranch_vccnz .LBB45_13
.LBB45_37:                              ;   in Loop: Header=BB45_15 Depth=1
	s_lshl_b32 s30, s30, 4
	s_delay_alu instid0(SALU_CYCLE_1)
	v_add_nc_u32_e32 v40, s30, v39
	v_add_nc_u32_e32 v41, s30, v38
	s_mov_b64 s[30:31], s[28:29]
	.p2align	6
.LBB45_38:                              ;   Parent Loop BB45_15 Depth=1
                                        ; =>  This Inner Loop Header: Depth=2
	ds_load_b128 v[42:45], v41
	ds_load_b128 v[46:49], v40
	v_add_nc_u32_e32 v40, 16, v40
	v_add_nc_u32_e32 v41, 16, v41
	s_add_u32 s30, s30, -1
	s_addc_u32 s31, s31, -1
	s_delay_alu instid0(SALU_CYCLE_1) | instskip(SKIP_3) | instid1(VALU_DEP_2)
	s_cmp_lg_u64 s[30:31], 0
	s_waitcnt lgkmcnt(0)
	v_fma_f64 v[18:19], v[42:43], v[46:47], v[18:19]
	v_fma_f64 v[16:17], v[44:45], v[46:47], v[16:17]
	v_fma_f64 v[18:19], -v[44:45], v[48:49], v[18:19]
	s_delay_alu instid0(VALU_DEP_2)
	v_fma_f64 v[16:17], v[42:43], v[48:49], v[16:17]
	s_cbranch_scc1 .LBB45_38
	s_branch .LBB45_13
.LBB45_39:
	s_delay_alu instid0(VALU_DEP_1) | instskip(NEXT) | instid1(SALU_CYCLE_1)
	s_and_b32 s0, s33, s0
	s_and_b32 exec_lo, exec_lo, s0
	s_cbranch_execz .LBB45_62
; %bb.40:
	v_mad_u64_u32 v[24:25], null, s14, s18, v[1:2]
	s_load_b64 s[2:3], s[2:3], 0x88
	s_waitcnt vmcnt(0)
	v_cmp_neq_f64_e32 vcc_lo, 0, v[8:9]
	v_cmp_neq_f64_e64 s0, 0, v[10:11]
	s_mov_b32 s5, exec_lo
	s_delay_alu instid0(VALU_DEP_3) | instskip(NEXT) | instid1(VALU_DEP_1)
	v_mov_b32_e32 v0, v25
	v_mad_u64_u32 v[1:2], null, s14, s19, v[0:1]
	s_waitcnt lgkmcnt(0)
	v_mul_lo_u32 v0, v24, s3
	v_mad_u64_u32 v[2:3], null, v24, s2, 0
	s_delay_alu instid0(VALU_DEP_3) | instskip(NEXT) | instid1(VALU_DEP_1)
	v_mul_lo_u32 v25, v1, s2
	v_add3_u32 v3, v3, v0, v25
	v_mov_b32_e32 v25, v1
	s_delay_alu instid0(VALU_DEP_2) | instskip(NEXT) | instid1(VALU_DEP_2)
	v_lshlrev_b64 v[0:1], 4, v[2:3]
	v_lshlrev_b64 v[2:3], 4, v[24:25]
	s_or_b32 s4, vcc_lo, s0
	s_cmp_lg_u32 s16, 1
	s_delay_alu instid0(VALU_DEP_2) | instskip(NEXT) | instid1(VALU_DEP_3)
	v_add_co_u32 v26, vcc_lo, s6, v0
	v_add_co_ci_u32_e32 v27, vcc_lo, s7, v1, vcc_lo
	s_delay_alu instid0(VALU_DEP_3)
	v_add_co_u32 v24, vcc_lo, s6, v2
	v_add_co_ci_u32_e32 v25, vcc_lo, s7, v3, vcc_lo
	s_cselect_b32 s0, -1, 0
	v_cmpx_gt_i64_e64 s[10:11], v[14:15]
	s_cbranch_execz .LBB45_51
; %bb.41:
	s_and_saveexec_b32 s1, s4
	s_delay_alu instid0(SALU_CYCLE_1)
	s_xor_b32 s1, exec_lo, s1
	s_cbranch_execz .LBB45_46
; %bb.42:
	s_and_b32 vcc_lo, exec_lo, s0
	s_mov_b32 s6, -1
	s_cbranch_vccz .LBB45_44
; %bb.43:
	v_lshlrev_b64 v[0:1], 4, v[14:15]
	v_mul_f64 v[30:31], v[22:23], -v[6:7]
	v_mul_f64 v[32:33], v[4:5], v[22:23]
	s_mov_b32 s6, 0
	s_delay_alu instid0(VALU_DEP_3) | instskip(NEXT) | instid1(VALU_DEP_4)
	v_add_co_u32 v28, vcc_lo, v26, v0
	v_add_co_ci_u32_e32 v29, vcc_lo, v27, v1, vcc_lo
	global_load_b128 v[0:3], v[28:29], off
	v_fma_f64 v[30:31], v[4:5], v[20:21], v[30:31]
	v_fma_f64 v[32:33], v[6:7], v[20:21], v[32:33]
	s_waitcnt vmcnt(0)
	s_delay_alu instid0(VALU_DEP_2) | instskip(NEXT) | instid1(VALU_DEP_2)
	v_fma_f64 v[30:31], v[8:9], v[0:1], v[30:31]
	v_fma_f64 v[32:33], v[10:11], v[0:1], v[32:33]
	s_delay_alu instid0(VALU_DEP_2) | instskip(NEXT) | instid1(VALU_DEP_2)
	v_fma_f64 v[0:1], -v[10:11], v[2:3], v[30:31]
	v_fma_f64 v[2:3], v[8:9], v[2:3], v[32:33]
	global_store_b128 v[28:29], v[0:3], off
.LBB45_44:
	s_and_not1_b32 vcc_lo, exec_lo, s6
	s_cbranch_vccnz .LBB45_46
; %bb.45:
	v_mad_u64_u32 v[0:1], null, v14, s2, 0
	v_mul_f64 v[28:29], v[22:23], -v[6:7]
	v_mul_f64 v[22:23], v[4:5], v[22:23]
	s_delay_alu instid0(VALU_DEP_3) | instskip(NEXT) | instid1(VALU_DEP_1)
	v_mad_u64_u32 v[2:3], null, v14, s3, v[1:2]
	v_mov_b32_e32 v1, v2
	s_delay_alu instid0(VALU_DEP_1) | instskip(NEXT) | instid1(VALU_DEP_1)
	v_lshlrev_b64 v[0:1], 4, v[0:1]
	v_add_co_u32 v14, vcc_lo, v24, v0
	s_delay_alu instid0(VALU_DEP_2) | instskip(SKIP_4) | instid1(VALU_DEP_2)
	v_add_co_ci_u32_e32 v15, vcc_lo, v25, v1, vcc_lo
	global_load_b128 v[0:3], v[14:15], off
	v_fma_f64 v[28:29], v[4:5], v[20:21], v[28:29]
	v_fma_f64 v[20:21], v[6:7], v[20:21], v[22:23]
	s_waitcnt vmcnt(0)
	v_fma_f64 v[22:23], v[8:9], v[0:1], v[28:29]
	s_delay_alu instid0(VALU_DEP_2) | instskip(NEXT) | instid1(VALU_DEP_2)
	v_fma_f64 v[20:21], v[10:11], v[0:1], v[20:21]
	v_fma_f64 v[0:1], -v[10:11], v[2:3], v[22:23]
	s_delay_alu instid0(VALU_DEP_2)
	v_fma_f64 v[2:3], v[8:9], v[2:3], v[20:21]
                                        ; implicit-def: $vgpr22_vgpr23
                                        ; implicit-def: $vgpr20_vgpr21
	global_store_b128 v[14:15], v[0:3], off
                                        ; implicit-def: $vgpr14_vgpr15
.LBB45_46:
	s_and_not1_saveexec_b32 s1, s1
	s_cbranch_execz .LBB45_51
; %bb.47:
	v_mul_f64 v[0:1], v[22:23], -v[6:7]
	v_mul_f64 v[2:3], v[4:5], v[22:23]
	s_and_b32 vcc_lo, exec_lo, s0
	s_mov_b32 s1, -1
	s_delay_alu instid0(VALU_DEP_2) | instskip(NEXT) | instid1(VALU_DEP_2)
	v_fma_f64 v[0:1], v[4:5], v[20:21], v[0:1]
	v_fma_f64 v[2:3], v[6:7], v[20:21], v[2:3]
	s_cbranch_vccz .LBB45_49
; %bb.48:
	v_lshlrev_b64 v[20:21], 4, v[14:15]
	s_mov_b32 s1, 0
	s_delay_alu instid0(VALU_DEP_1) | instskip(NEXT) | instid1(VALU_DEP_2)
	v_add_co_u32 v20, vcc_lo, v26, v20
	v_add_co_ci_u32_e32 v21, vcc_lo, v27, v21, vcc_lo
	global_store_b128 v[20:21], v[0:3], off
.LBB45_49:
	s_and_not1_b32 vcc_lo, exec_lo, s1
	s_cbranch_vccnz .LBB45_51
; %bb.50:
	v_mad_u64_u32 v[20:21], null, v14, s2, 0
	s_delay_alu instid0(VALU_DEP_1) | instskip(NEXT) | instid1(VALU_DEP_1)
	v_mov_b32_e32 v15, v21
	v_mad_u64_u32 v[21:22], null, v14, s3, v[15:16]
	s_delay_alu instid0(VALU_DEP_1) | instskip(NEXT) | instid1(VALU_DEP_1)
	v_lshlrev_b64 v[14:15], 4, v[20:21]
	v_add_co_u32 v14, vcc_lo, v24, v14
	s_delay_alu instid0(VALU_DEP_2)
	v_add_co_ci_u32_e32 v15, vcc_lo, v25, v15, vcc_lo
	global_store_b128 v[14:15], v[0:3], off
.LBB45_51:
	s_or_b32 exec_lo, exec_lo, s5
	v_cmp_gt_i64_e32 vcc_lo, s[10:11], v[12:13]
	s_and_b32 exec_lo, exec_lo, vcc_lo
	s_cbranch_execz .LBB45_62
; %bb.52:
	s_and_saveexec_b32 s1, s4
	s_delay_alu instid0(SALU_CYCLE_1)
	s_xor_b32 s1, exec_lo, s1
	s_cbranch_execz .LBB45_57
; %bb.53:
	s_and_not1_b32 vcc_lo, exec_lo, s0
	s_mov_b32 s4, -1
	s_cbranch_vccnz .LBB45_55
; %bb.54:
	v_lshlrev_b64 v[0:1], 4, v[12:13]
	v_mul_f64 v[20:21], v[16:17], -v[6:7]
	v_mul_f64 v[22:23], v[4:5], v[16:17]
	s_mov_b32 s4, 0
	s_delay_alu instid0(VALU_DEP_3) | instskip(NEXT) | instid1(VALU_DEP_4)
	v_add_co_u32 v13, vcc_lo, v26, v0
	v_add_co_ci_u32_e32 v14, vcc_lo, v27, v1, vcc_lo
	global_load_b128 v[0:3], v[13:14], off
	v_fma_f64 v[20:21], v[4:5], v[18:19], v[20:21]
	v_fma_f64 v[22:23], v[6:7], v[18:19], v[22:23]
	s_waitcnt vmcnt(0)
	s_delay_alu instid0(VALU_DEP_2) | instskip(NEXT) | instid1(VALU_DEP_2)
	v_fma_f64 v[20:21], v[8:9], v[0:1], v[20:21]
	v_fma_f64 v[22:23], v[10:11], v[0:1], v[22:23]
	s_delay_alu instid0(VALU_DEP_2) | instskip(NEXT) | instid1(VALU_DEP_2)
	v_fma_f64 v[0:1], -v[10:11], v[2:3], v[20:21]
	v_fma_f64 v[2:3], v[8:9], v[2:3], v[22:23]
	global_store_b128 v[13:14], v[0:3], off
.LBB45_55:
	s_and_not1_b32 vcc_lo, exec_lo, s4
                                        ; implicit-def: $vgpr26
                                        ; implicit-def: $vgpr27
	s_cbranch_vccnz .LBB45_57
; %bb.56:
	v_mad_u64_u32 v[0:1], null, v12, s2, 0
	v_mul_f64 v[14:15], v[16:17], -v[6:7]
	v_mul_f64 v[16:17], v[4:5], v[16:17]
                                        ; implicit-def: $vgpr26
                                        ; implicit-def: $vgpr27
	s_delay_alu instid0(VALU_DEP_3) | instskip(NEXT) | instid1(VALU_DEP_1)
	v_mad_u64_u32 v[2:3], null, v12, s3, v[1:2]
	v_mov_b32_e32 v1, v2
	s_delay_alu instid0(VALU_DEP_1) | instskip(NEXT) | instid1(VALU_DEP_1)
	v_lshlrev_b64 v[0:1], 4, v[0:1]
	v_add_co_u32 v12, vcc_lo, v24, v0
	s_delay_alu instid0(VALU_DEP_2) | instskip(SKIP_4) | instid1(VALU_DEP_2)
	v_add_co_ci_u32_e32 v13, vcc_lo, v25, v1, vcc_lo
                                        ; implicit-def: $vgpr24
                                        ; implicit-def: $vgpr25
	global_load_b128 v[0:3], v[12:13], off
	v_fma_f64 v[4:5], v[4:5], v[18:19], v[14:15]
	v_fma_f64 v[6:7], v[6:7], v[18:19], v[16:17]
                                        ; implicit-def: $vgpr18_vgpr19
                                        ; implicit-def: $vgpr16_vgpr17
	s_waitcnt vmcnt(0)
	v_fma_f64 v[4:5], v[8:9], v[0:1], v[4:5]
	s_delay_alu instid0(VALU_DEP_2) | instskip(NEXT) | instid1(VALU_DEP_2)
	v_fma_f64 v[6:7], v[10:11], v[0:1], v[6:7]
	v_fma_f64 v[0:1], -v[10:11], v[2:3], v[4:5]
	s_delay_alu instid0(VALU_DEP_2)
	v_fma_f64 v[2:3], v[8:9], v[2:3], v[6:7]
                                        ; implicit-def: $vgpr4_vgpr5
                                        ; implicit-def: $vgpr6_vgpr7
	global_store_b128 v[12:13], v[0:3], off
                                        ; implicit-def: $vgpr12_vgpr13
.LBB45_57:
	s_and_not1_saveexec_b32 s1, s1
	s_cbranch_execz .LBB45_62
; %bb.58:
	v_mul_f64 v[0:1], v[16:17], -v[6:7]
	v_mul_f64 v[2:3], v[4:5], v[16:17]
	s_and_not1_b32 vcc_lo, exec_lo, s0
	s_mov_b32 s0, -1
	s_delay_alu instid0(VALU_DEP_2) | instskip(NEXT) | instid1(VALU_DEP_2)
	v_fma_f64 v[0:1], v[4:5], v[18:19], v[0:1]
	v_fma_f64 v[2:3], v[6:7], v[18:19], v[2:3]
	s_cbranch_vccnz .LBB45_60
; %bb.59:
	v_lshlrev_b64 v[4:5], 4, v[12:13]
	s_mov_b32 s0, 0
	s_delay_alu instid0(VALU_DEP_1) | instskip(NEXT) | instid1(VALU_DEP_2)
	v_add_co_u32 v4, vcc_lo, v26, v4
	v_add_co_ci_u32_e32 v5, vcc_lo, v27, v5, vcc_lo
	global_store_b128 v[4:5], v[0:3], off
.LBB45_60:
	s_and_not1_b32 vcc_lo, exec_lo, s0
	s_cbranch_vccnz .LBB45_62
; %bb.61:
	v_mad_u64_u32 v[4:5], null, v12, s2, 0
	s_delay_alu instid0(VALU_DEP_1) | instskip(NEXT) | instid1(VALU_DEP_1)
	v_mad_u64_u32 v[6:7], null, v12, s3, v[5:6]
	v_mov_b32_e32 v5, v6
	s_delay_alu instid0(VALU_DEP_1) | instskip(NEXT) | instid1(VALU_DEP_1)
	v_lshlrev_b64 v[4:5], 4, v[4:5]
	v_add_co_u32 v4, vcc_lo, v24, v4
	s_delay_alu instid0(VALU_DEP_2)
	v_add_co_ci_u32_e32 v5, vcc_lo, v25, v5, vcc_lo
	global_store_b128 v[4:5], v[0:3], off
.LBB45_62:
	s_nop 0
	s_sendmsg sendmsg(MSG_DEALLOC_VGPRS)
	s_endpgm
	.section	.rodata,"a",@progbits
	.p2align	6, 0x0
	.amdhsa_kernel _ZN9rocsparseL31bsrmm_large_blockdim_kernel_extILj4ELj16ELj2Ell21rocsparse_complex_numIdES2_S2_S2_EEvb20rocsparse_direction_T3_S4_llNS_24const_host_device_scalarIT7_EEPKT2_PKS4_PKT4_S4_PKT5_llS7_PT6_ll16rocsparse_order_21rocsparse_index_base_b
		.amdhsa_group_segment_fixed_size 3328
		.amdhsa_private_segment_fixed_size 0
		.amdhsa_kernarg_size 164
		.amdhsa_user_sgpr_count 14
		.amdhsa_user_sgpr_dispatch_ptr 1
		.amdhsa_user_sgpr_queue_ptr 0
		.amdhsa_user_sgpr_kernarg_segment_ptr 1
		.amdhsa_user_sgpr_dispatch_id 0
		.amdhsa_user_sgpr_private_segment_size 0
		.amdhsa_wavefront_size32 1
		.amdhsa_uses_dynamic_stack 0
		.amdhsa_enable_private_segment 0
		.amdhsa_system_sgpr_workgroup_id_x 1
		.amdhsa_system_sgpr_workgroup_id_y 1
		.amdhsa_system_sgpr_workgroup_id_z 0
		.amdhsa_system_sgpr_workgroup_info 0
		.amdhsa_system_vgpr_workitem_id 2
		.amdhsa_next_free_vgpr 58
		.amdhsa_next_free_sgpr 44
		.amdhsa_reserve_vcc 1
		.amdhsa_float_round_mode_32 0
		.amdhsa_float_round_mode_16_64 0
		.amdhsa_float_denorm_mode_32 3
		.amdhsa_float_denorm_mode_16_64 3
		.amdhsa_dx10_clamp 1
		.amdhsa_ieee_mode 1
		.amdhsa_fp16_overflow 0
		.amdhsa_workgroup_processor_mode 1
		.amdhsa_memory_ordered 1
		.amdhsa_forward_progress 0
		.amdhsa_shared_vgpr_count 0
		.amdhsa_exception_fp_ieee_invalid_op 0
		.amdhsa_exception_fp_denorm_src 0
		.amdhsa_exception_fp_ieee_div_zero 0
		.amdhsa_exception_fp_ieee_overflow 0
		.amdhsa_exception_fp_ieee_underflow 0
		.amdhsa_exception_fp_ieee_inexact 0
		.amdhsa_exception_int_div_zero 0
	.end_amdhsa_kernel
	.section	.text._ZN9rocsparseL31bsrmm_large_blockdim_kernel_extILj4ELj16ELj2Ell21rocsparse_complex_numIdES2_S2_S2_EEvb20rocsparse_direction_T3_S4_llNS_24const_host_device_scalarIT7_EEPKT2_PKS4_PKT4_S4_PKT5_llS7_PT6_ll16rocsparse_order_21rocsparse_index_base_b,"axG",@progbits,_ZN9rocsparseL31bsrmm_large_blockdim_kernel_extILj4ELj16ELj2Ell21rocsparse_complex_numIdES2_S2_S2_EEvb20rocsparse_direction_T3_S4_llNS_24const_host_device_scalarIT7_EEPKT2_PKS4_PKT4_S4_PKT5_llS7_PT6_ll16rocsparse_order_21rocsparse_index_base_b,comdat
.Lfunc_end45:
	.size	_ZN9rocsparseL31bsrmm_large_blockdim_kernel_extILj4ELj16ELj2Ell21rocsparse_complex_numIdES2_S2_S2_EEvb20rocsparse_direction_T3_S4_llNS_24const_host_device_scalarIT7_EEPKT2_PKS4_PKT4_S4_PKT5_llS7_PT6_ll16rocsparse_order_21rocsparse_index_base_b, .Lfunc_end45-_ZN9rocsparseL31bsrmm_large_blockdim_kernel_extILj4ELj16ELj2Ell21rocsparse_complex_numIdES2_S2_S2_EEvb20rocsparse_direction_T3_S4_llNS_24const_host_device_scalarIT7_EEPKT2_PKS4_PKT4_S4_PKT5_llS7_PT6_ll16rocsparse_order_21rocsparse_index_base_b
                                        ; -- End function
	.section	.AMDGPU.csdata,"",@progbits
; Kernel info:
; codeLenInByte = 3576
; NumSgprs: 46
; NumVgprs: 58
; ScratchSize: 0
; MemoryBound: 0
; FloatMode: 240
; IeeeMode: 1
; LDSByteSize: 3328 bytes/workgroup (compile time only)
; SGPRBlocks: 5
; VGPRBlocks: 7
; NumSGPRsForWavesPerEU: 46
; NumVGPRsForWavesPerEU: 58
; Occupancy: 16
; WaveLimiterHint : 1
; COMPUTE_PGM_RSRC2:SCRATCH_EN: 0
; COMPUTE_PGM_RSRC2:USER_SGPR: 14
; COMPUTE_PGM_RSRC2:TRAP_HANDLER: 0
; COMPUTE_PGM_RSRC2:TGID_X_EN: 1
; COMPUTE_PGM_RSRC2:TGID_Y_EN: 1
; COMPUTE_PGM_RSRC2:TGID_Z_EN: 0
; COMPUTE_PGM_RSRC2:TIDIG_COMP_CNT: 2
	.section	.text._ZN9rocsparseL31bsrmm_large_blockdim_kernel_extILj16ELj16ELj2Ell21rocsparse_complex_numIdES2_S2_S2_EEvb20rocsparse_direction_T3_S4_llNS_24const_host_device_scalarIT7_EEPKT2_PKS4_PKT4_S4_PKT5_llS7_PT6_ll16rocsparse_order_21rocsparse_index_base_b,"axG",@progbits,_ZN9rocsparseL31bsrmm_large_blockdim_kernel_extILj16ELj16ELj2Ell21rocsparse_complex_numIdES2_S2_S2_EEvb20rocsparse_direction_T3_S4_llNS_24const_host_device_scalarIT7_EEPKT2_PKS4_PKT4_S4_PKT5_llS7_PT6_ll16rocsparse_order_21rocsparse_index_base_b,comdat
	.globl	_ZN9rocsparseL31bsrmm_large_blockdim_kernel_extILj16ELj16ELj2Ell21rocsparse_complex_numIdES2_S2_S2_EEvb20rocsparse_direction_T3_S4_llNS_24const_host_device_scalarIT7_EEPKT2_PKS4_PKT4_S4_PKT5_llS7_PT6_ll16rocsparse_order_21rocsparse_index_base_b ; -- Begin function _ZN9rocsparseL31bsrmm_large_blockdim_kernel_extILj16ELj16ELj2Ell21rocsparse_complex_numIdES2_S2_S2_EEvb20rocsparse_direction_T3_S4_llNS_24const_host_device_scalarIT7_EEPKT2_PKS4_PKT4_S4_PKT5_llS7_PT6_ll16rocsparse_order_21rocsparse_index_base_b
	.p2align	8
	.type	_ZN9rocsparseL31bsrmm_large_blockdim_kernel_extILj16ELj16ELj2Ell21rocsparse_complex_numIdES2_S2_S2_EEvb20rocsparse_direction_T3_S4_llNS_24const_host_device_scalarIT7_EEPKT2_PKS4_PKT4_S4_PKT5_llS7_PT6_ll16rocsparse_order_21rocsparse_index_base_b,@function
_ZN9rocsparseL31bsrmm_large_blockdim_kernel_extILj16ELj16ELj2Ell21rocsparse_complex_numIdES2_S2_S2_EEvb20rocsparse_direction_T3_S4_llNS_24const_host_device_scalarIT7_EEPKT2_PKS4_PKT4_S4_PKT5_llS7_PT6_ll16rocsparse_order_21rocsparse_index_base_b: ; @_ZN9rocsparseL31bsrmm_large_blockdim_kernel_extILj16ELj16ELj2Ell21rocsparse_complex_numIdES2_S2_S2_EEvb20rocsparse_direction_T3_S4_llNS_24const_host_device_scalarIT7_EEPKT2_PKS4_PKT4_S4_PKT5_llS7_PT6_ll16rocsparse_order_21rocsparse_index_base_b
; %bb.0:
	s_clause 0x1
	s_load_b128 s[16:19], s[2:3], 0x98
	s_load_b128 s[8:11], s[2:3], 0x28
	s_load_b64 s[6:7], s[0:1], 0x4
	s_mov_b64 s[0:1], src_shared_base
	v_and_b32_e32 v1, 0x3ff, v0
	s_load_b128 s[20:23], s[2:3], 0x70
	v_bfe_u32 v24, v0, 10, 10
	v_bfe_u32 v0, v0, 20, 10
	s_mov_b32 s4, s15
	s_waitcnt lgkmcnt(0)
	s_bitcmp1_b32 s18, 0
	s_cselect_b32 s0, -1, 0
	s_delay_alu instid0(SALU_CYCLE_1) | instskip(SKIP_4) | instid1(SALU_CYCLE_1)
	s_and_b32 vcc_lo, s0, exec_lo
	s_cselect_b32 s5, s1, s9
	s_lshr_b32 s6, s6, 16
	v_dual_mov_b32 v4, s20 :: v_dual_mov_b32 v5, s21
	s_mul_i32 s6, s6, s7
	v_mul_lo_u32 v2, s6, v1
	s_delay_alu instid0(VALU_DEP_1) | instskip(NEXT) | instid1(VALU_DEP_1)
	v_mad_u32_u24 v2, v24, s7, v2
	v_add_lshl_u32 v0, v2, v0, 3
	v_dual_mov_b32 v2, s8 :: v_dual_mov_b32 v7, s5
	v_mov_b32_e32 v3, s9
	s_xor_b32 s5, s0, -1
	s_delay_alu instid0(VALU_DEP_3)
	v_add_nc_u32_e32 v6, 0x3800, v0
	ds_store_2addr_stride64_b64 v0, v[4:5], v[2:3] offset0:24 offset1:28
	v_add_nc_u32_e32 v0, 0x3000, v0
	v_cndmask_b32_e64 v6, s8, v6, s0
	flat_load_b64 v[4:5], v[6:7]
	v_dual_mov_b32 v6, s10 :: v_dual_mov_b32 v7, s11
	s_cbranch_vccnz .LBB46_2
; %bb.1:
	v_dual_mov_b32 v2, s8 :: v_dual_mov_b32 v3, s9
	flat_load_b64 v[6:7], v[2:3] offset:8
.LBB46_2:
	s_and_b32 s6, s0, exec_lo
	s_cselect_b32 s1, s1, s21
	v_cndmask_b32_e64 v2, s20, v0, s0
	v_dual_mov_b32 v3, s1 :: v_dual_mov_b32 v10, s22
	v_mov_b32_e32 v11, s23
	s_and_not1_b32 vcc_lo, exec_lo, s5
	flat_load_b64 v[8:9], v[2:3]
	s_cbranch_vccnz .LBB46_4
; %bb.3:
	v_dual_mov_b32 v2, s20 :: v_dual_mov_b32 v3, s21
	flat_load_b64 v[10:11], v[2:3] offset:8
.LBB46_4:
	s_waitcnt vmcnt(1) lgkmcnt(1)
	v_cmp_eq_f64_e32 vcc_lo, 0, v[4:5]
	v_cmp_eq_f64_e64 s0, 0, v[6:7]
	s_delay_alu instid0(VALU_DEP_1)
	s_and_b32 s5, vcc_lo, s0
	s_mov_b32 s0, -1
	s_and_saveexec_b32 s1, s5
	s_cbranch_execz .LBB46_6
; %bb.5:
	s_waitcnt vmcnt(0) lgkmcnt(0)
	v_cmp_neq_f64_e32 vcc_lo, 1.0, v[8:9]
	v_cmp_neq_f64_e64 s0, 0, v[10:11]
	s_delay_alu instid0(VALU_DEP_1) | instskip(NEXT) | instid1(SALU_CYCLE_1)
	s_or_b32 s0, vcc_lo, s0
	s_or_not1_b32 s0, s0, exec_lo
.LBB46_6:
	s_or_b32 exec_lo, exec_lo, s1
	s_and_saveexec_b32 s1, s0
	s_cbranch_execz .LBB46_62
; %bb.7:
	s_clause 0x1
	s_load_b128 s[8:11], s[2:3], 0x8
	s_load_b64 s[0:1], s[2:3], 0x38
	s_ashr_i32 s15, s14, 31
	s_mov_b64 s[12:13], 0
	s_waitcnt lgkmcnt(0)
	v_cmp_ge_i64_e64 s5, s[14:15], s[8:9]
	v_cmp_lt_i64_e64 s33, s[14:15], s[8:9]
	s_mov_b64 s[8:9], 0
	s_delay_alu instid0(VALU_DEP_2)
	s_and_b32 vcc_lo, exec_lo, s5
	s_cbranch_vccnz .LBB46_9
; %bb.8:
	s_lshl_b64 s[6:7], s[14:15], 3
	s_delay_alu instid0(SALU_CYCLE_1)
	s_add_u32 s6, s0, s6
	s_addc_u32 s7, s1, s7
	s_load_b64 s[6:7], s[6:7], 0x0
	s_waitcnt lgkmcnt(0)
	s_sub_u32 s12, s6, s17
	s_subb_u32 s13, s7, 0
.LBB46_9:
	s_delay_alu instid0(VALU_DEP_1)
	s_and_not1_b32 vcc_lo, exec_lo, s33
	s_cbranch_vccnz .LBB46_11
; %bb.10:
	s_lshl_b64 s[6:7], s[14:15], 3
	s_delay_alu instid0(SALU_CYCLE_1)
	s_add_u32 s0, s0, s6
	s_addc_u32 s1, s1, s7
	s_load_b64 s[0:1], s[0:1], 0x8
	s_waitcnt lgkmcnt(0)
	s_sub_u32 s8, s0, s17
	s_subb_u32 s9, s1, 0
.LBB46_11:
	s_clause 0x1
	s_load_b64 s[18:19], s[2:3], 0x50
	s_load_b64 s[6:7], s[2:3], 0x80
	v_lshl_add_u32 v14, s4, 5, v24
	v_dual_mov_b32 v15, 0 :: v_dual_mov_b32 v20, 0
	v_cmp_ge_i64_e64 s0, s[12:13], s[8:9]
	s_delay_alu instid0(VALU_DEP_3) | instskip(NEXT) | instid1(VALU_DEP_3)
	v_dual_mov_b32 v21, 0 :: v_dual_add_nc_u32 v12, 16, v14
	v_mov_b32_e32 v13, v15
	v_mov_b32_e32 v2, v15
	v_cmp_gt_i64_e64 s1, s[10:11], v[14:15]
	s_delay_alu instid0(VALU_DEP_4)
	v_mov_b32_e32 v23, v21
	s_and_b32 vcc_lo, exec_lo, s0
	v_mov_b32_e32 v22, v20
	v_cmp_gt_i64_e64 s4, s[10:11], v[12:13]
	v_dual_mov_b32 v18, v20 :: v_dual_mov_b32 v19, v21
	v_dual_mov_b32 v16, v20 :: v_dual_mov_b32 v17, v21
	s_mov_b32 s29, 0
	s_waitcnt lgkmcnt(0)
	v_cmp_gt_i64_e64 s0, s[18:19], v[1:2]
	s_cbranch_vccnz .LBB46_39
; %bb.12:
	v_mad_u64_u32 v[16:17], null, v24, s18, 0
	s_clause 0x2
	s_load_b64 s[30:31], s[2:3], 0x0
	s_load_b128 s[20:23], s[2:3], 0x40
	s_load_b128 s[24:27], s[2:3], 0x58
	v_mad_u64_u32 v[18:19], null, v1, s18, 0
	v_lshl_add_u32 v27, v1, 4, v24
	s_mul_i32 s5, s18, s19
	s_mul_hi_u32 s28, s18, s18
	v_dual_mov_b32 v0, v17 :: v_dual_mov_b32 v25, v15
	s_delay_alu instid0(VALU_DEP_2) | instskip(SKIP_2) | instid1(VALU_DEP_3)
	v_lshl_add_u32 v32, v27, 4, 0x2000
	s_add_i32 s28, s28, s5
	v_lshlrev_b32_e32 v37, 8, v24
	v_mad_u64_u32 v[20:21], null, v24, s19, v[0:1]
	v_lshlrev_b32_e32 v22, 4, v1
	v_mov_b32_e32 v0, v19
	v_cmp_gt_i64_e32 vcc_lo, s[18:19], v[24:25]
	v_lshlrev_b32_e32 v25, 4, v24
	s_add_i32 s34, s28, s5
	v_lshlrev_b64 v[30:31], 4, v[12:13]
	v_mov_b32_e32 v17, v20
	v_mad_u64_u32 v[19:20], null, v1, s19, v[0:1]
	s_and_b32 s35, s0, vcc_lo
	s_waitcnt lgkmcnt(0)
	v_mad_u64_u32 v[20:21], null, v12, s26, 0
	v_lshlrev_b64 v[16:17], 4, v[16:17]
	v_add_co_u32 v0, s28, s24, v22
	s_bitcmp1_b32 s30, 0
	v_add_lshl_u32 v33, v25, v1, 4
	s_cselect_b32 s5, -1, 0
	s_delay_alu instid0(VALU_DEP_3) | instskip(SKIP_2) | instid1(VALU_DEP_3)
	v_add_co_u32 v23, vcc_lo, s22, v16
	v_add_co_ci_u32_e32 v26, vcc_lo, s23, v17, vcc_lo
	v_lshlrev_b64 v[16:17], 4, v[18:19]
	v_add_co_u32 v28, vcc_lo, v23, v22
	v_mad_u64_u32 v[18:19], null, v14, s26, 0
	s_delay_alu instid0(VALU_DEP_4) | instskip(NEXT) | instid1(VALU_DEP_4)
	v_add_co_ci_u32_e32 v26, vcc_lo, 0, v26, vcc_lo
	v_add_co_u32 v27, vcc_lo, s22, v16
	v_add_co_ci_u32_e32 v17, vcc_lo, s23, v17, vcc_lo
	v_mov_b32_e32 v16, v21
	v_mad_u64_u32 v[21:22], null, v14, s27, v[19:20]
	s_cmp_eq_u32 s31, 0
	v_cmp_gt_i64_e64 s22, s[18:19], 0
	s_delay_alu instid0(VALU_DEP_3) | instskip(SKIP_4) | instid1(VALU_DEP_2)
	v_mad_u64_u32 v[22:23], null, v12, s27, v[16:17]
	v_add_co_u32 v16, vcc_lo, v27, v25
	v_add_co_ci_u32_e32 v17, vcc_lo, 0, v17, vcc_lo
	s_cselect_b32 vcc_lo, -1, 0
	v_dual_mov_b32 v19, v21 :: v_dual_add_nc_u32 v34, 0x1000, v33
	v_dual_cndmask_b32 v35, v26, v17 :: v_dual_cndmask_b32 v36, v28, v16
	v_dual_mov_b32 v16, 0 :: v_dual_mov_b32 v21, v22
	v_mov_b32_e32 v17, 0
	s_and_b32 s36, s1, s22
	s_and_b32 s37, s4, s22
	s_add_u32 s22, s18, -1
	s_addc_u32 s23, s19, -1
	v_add_co_ci_u32_e64 v3, null, s25, 0, s28
	s_and_b32 s28, s18, 3
	v_cmp_gt_u64_e64 s38, s[22:23], 2
	v_lshlrev_b64 v[24:25], 4, v[18:19]
	v_lshlrev_b64 v[26:27], 4, v[20:21]
	;; [unrolled: 1-line block ×3, first 2 shown]
	v_mov_b32_e32 v19, v17
	v_mov_b32_e32 v23, v17
	v_dual_mov_b32 v21, v17 :: v_dual_mov_b32 v20, v16
	s_and_b32 s23, s19, 0x7fffffff
	s_and_b32 s22, s18, -4
	v_lshl_add_u32 v38, v1, 8, 0x2000
	v_dual_mov_b32 v18, v16 :: v_dual_add_nc_u32 v39, 0x1000, v37
	v_mov_b32_e32 v22, v16
	s_cmp_lg_u64 s[28:29], 0
	s_mul_i32 s15, s18, s18
	s_cselect_b32 s39, -1, 0
	s_branch .LBB46_15
.LBB46_13:                              ;   in Loop: Header=BB46_15 Depth=1
	s_or_b32 exec_lo, exec_lo, s41
.LBB46_14:                              ;   in Loop: Header=BB46_15 Depth=1
	s_delay_alu instid0(SALU_CYCLE_1) | instskip(SKIP_2) | instid1(SALU_CYCLE_1)
	s_or_b32 exec_lo, exec_lo, s40
	s_add_u32 s12, s12, 1
	s_addc_u32 s13, s13, 0
	v_cmp_ge_i64_e64 s30, s[12:13], s[8:9]
	s_barrier
	buffer_gl0_inv
	s_and_b32 vcc_lo, exec_lo, s30
	s_cbranch_vccnz .LBB46_39
.LBB46_15:                              ; =>This Loop Header: Depth=1
                                        ;     Child Loop BB46_26 Depth 2
                                        ;     Child Loop BB46_30 Depth 2
	;; [unrolled: 1-line block ×4, first 2 shown]
	s_and_saveexec_b32 s30, s0
	s_cbranch_execz .LBB46_20
; %bb.16:                               ;   in Loop: Header=BB46_15 Depth=1
	s_lshl_b64 s[40:41], s[12:13], 3
	s_delay_alu instid0(SALU_CYCLE_1)
	s_add_u32 s40, s20, s40
	s_addc_u32 s41, s21, s41
	s_load_b64 s[40:41], s[40:41], 0x0
	s_waitcnt lgkmcnt(0)
	s_sub_u32 s31, s40, s17
	s_subb_u32 s40, s41, 0
	s_mul_i32 s41, s31, s19
	s_mul_hi_u32 s42, s31, s18
	s_mul_i32 s43, s40, s18
	s_add_i32 s41, s42, s41
	s_mul_i32 s40, s31, s18
	s_add_i32 s41, s41, s43
	v_add_co_u32 v42, s31, s40, v1
	s_delay_alu instid0(VALU_DEP_1) | instskip(SKIP_1) | instid1(VALU_DEP_2)
	v_add_co_ci_u32_e64 v43, null, s41, 0, s31
	s_lshl_b64 s[40:41], s[40:41], 4
	v_mul_lo_u32 v44, v42, s27
	v_mad_u64_u32 v[40:41], null, v42, s26, 0
	s_delay_alu instid0(VALU_DEP_3) | instskip(NEXT) | instid1(VALU_DEP_1)
	v_mul_lo_u32 v42, v43, s26
	v_add3_u32 v41, v41, v44, v42
	s_delay_alu instid0(VALU_DEP_1) | instskip(NEXT) | instid1(VALU_DEP_1)
	v_lshlrev_b64 v[40:41], 4, v[40:41]
	v_add_co_u32 v40, vcc_lo, s24, v40
	s_delay_alu instid0(VALU_DEP_2)
	v_add_co_ci_u32_e32 v41, vcc_lo, s25, v41, vcc_lo
	v_add_co_u32 v42, vcc_lo, v0, s40
	v_add_co_ci_u32_e32 v43, vcc_lo, s41, v3, vcc_lo
	s_and_saveexec_b32 s31, s1
	s_cbranch_execz .LBB46_18
; %bb.17:                               ;   in Loop: Header=BB46_15 Depth=1
	v_add_co_u32 v44, vcc_lo, v40, v28
	v_add_co_ci_u32_e32 v45, vcc_lo, v41, v29, vcc_lo
	v_add_co_u32 v46, vcc_lo, v42, v24
	v_add_co_ci_u32_e32 v47, vcc_lo, v43, v25, vcc_lo
	s_delay_alu instid0(VALU_DEP_2) | instskip(NEXT) | instid1(VALU_DEP_2)
	v_cndmask_b32_e64 v44, v44, v46, s5
	v_cndmask_b32_e64 v45, v45, v47, s5
	global_load_b128 v[44:47], v[44:45], off
	s_waitcnt vmcnt(0)
	ds_store_2addr_b64 v33, v[44:45], v[46:47] offset1:1
.LBB46_18:                              ;   in Loop: Header=BB46_15 Depth=1
	s_or_b32 exec_lo, exec_lo, s31
	s_delay_alu instid0(SALU_CYCLE_1)
	s_and_b32 exec_lo, exec_lo, s4
	s_cbranch_execz .LBB46_20
; %bb.19:                               ;   in Loop: Header=BB46_15 Depth=1
	v_add_co_u32 v42, vcc_lo, v42, v26
	v_add_co_ci_u32_e32 v43, vcc_lo, v43, v27, vcc_lo
	v_add_co_u32 v40, vcc_lo, v40, v30
	v_add_co_ci_u32_e32 v41, vcc_lo, v41, v31, vcc_lo
	s_delay_alu instid0(VALU_DEP_2) | instskip(NEXT) | instid1(VALU_DEP_2)
	v_cndmask_b32_e64 v40, v40, v42, s5
	v_cndmask_b32_e64 v41, v41, v43, s5
	global_load_b128 v[40:43], v[40:41], off
	s_waitcnt vmcnt(0)
	ds_store_2addr_b64 v34, v[40:41], v[42:43] offset1:1
.LBB46_20:                              ;   in Loop: Header=BB46_15 Depth=1
	s_or_b32 exec_lo, exec_lo, s30
	s_and_saveexec_b32 s30, s35
	s_cbranch_execz .LBB46_22
; %bb.21:                               ;   in Loop: Header=BB46_15 Depth=1
	s_mul_i32 s31, s15, s13
	s_mul_hi_u32 s40, s15, s12
	s_mul_i32 s41, s34, s12
	s_add_i32 s31, s40, s31
	s_mul_i32 s40, s15, s12
	s_add_i32 s41, s31, s41
	s_delay_alu instid0(SALU_CYCLE_1) | instskip(NEXT) | instid1(SALU_CYCLE_1)
	s_lshl_b64 s[40:41], s[40:41], 4
	v_add_co_u32 v40, vcc_lo, v36, s40
	v_add_co_ci_u32_e32 v41, vcc_lo, s41, v35, vcc_lo
	global_load_b128 v[40:43], v[40:41], off
	s_waitcnt vmcnt(0)
	ds_store_2addr_b64 v32, v[40:41], v[42:43] offset1:1
.LBB46_22:                              ;   in Loop: Header=BB46_15 Depth=1
	s_or_b32 exec_lo, exec_lo, s30
	s_waitcnt vmcnt(0) lgkmcnt(0)
	s_barrier
	buffer_gl0_inv
	s_and_saveexec_b32 s40, s0
	s_cbranch_execz .LBB46_14
; %bb.23:                               ;   in Loop: Header=BB46_15 Depth=1
	s_and_saveexec_b32 s41, s36
	s_cbranch_execz .LBB46_31
; %bb.24:                               ;   in Loop: Header=BB46_15 Depth=1
	s_and_not1_b32 vcc_lo, exec_lo, s38
	s_cbranch_vccnz .LBB46_28
; %bb.25:                               ;   in Loop: Header=BB46_15 Depth=1
	v_dual_mov_b32 v40, v38 :: v_dual_mov_b32 v41, v37
	s_mov_b64 s[30:31], 0
.LBB46_26:                              ;   Parent Loop BB46_15 Depth=1
                                        ; =>  This Inner Loop Header: Depth=2
	ds_load_b128 v[42:45], v41
	ds_load_b128 v[46:49], v40
	ds_load_b128 v[50:53], v40 offset:16
	ds_load_b128 v[54:57], v41 offset:16
	s_add_u32 s30, s30, 4
	s_addc_u32 s31, s31, 0
	s_delay_alu instid0(SALU_CYCLE_1) | instskip(SKIP_3) | instid1(VALU_DEP_2)
	s_cmp_lg_u64 s[22:23], s[30:31]
	s_waitcnt lgkmcnt(2)
	v_fma_f64 v[20:21], v[46:47], v[42:43], v[20:21]
	v_fma_f64 v[22:23], v[48:49], v[42:43], v[22:23]
	v_fma_f64 v[20:21], -v[48:49], v[44:45], v[20:21]
	s_delay_alu instid0(VALU_DEP_2) | instskip(SKIP_1) | instid1(VALU_DEP_2)
	v_fma_f64 v[22:23], v[46:47], v[44:45], v[22:23]
	s_waitcnt lgkmcnt(0)
	v_fma_f64 v[20:21], v[50:51], v[54:55], v[20:21]
	s_delay_alu instid0(VALU_DEP_2) | instskip(NEXT) | instid1(VALU_DEP_2)
	v_fma_f64 v[22:23], v[52:53], v[54:55], v[22:23]
	v_fma_f64 v[54:55], -v[52:53], v[56:57], v[20:21]
	s_delay_alu instid0(VALU_DEP_2)
	v_fma_f64 v[56:57], v[50:51], v[56:57], v[22:23]
	ds_load_b128 v[20:23], v41 offset:32
	ds_load_b128 v[42:45], v40 offset:32
	;; [unrolled: 1-line block ×4, first 2 shown]
	v_add_nc_u32_e32 v41, 64, v41
	v_add_nc_u32_e32 v40, 64, v40
	s_waitcnt lgkmcnt(2)
	v_fma_f64 v[54:55], v[42:43], v[20:21], v[54:55]
	v_fma_f64 v[20:21], v[44:45], v[20:21], v[56:57]
	s_delay_alu instid0(VALU_DEP_2) | instskip(NEXT) | instid1(VALU_DEP_2)
	v_fma_f64 v[44:45], -v[44:45], v[22:23], v[54:55]
	v_fma_f64 v[20:21], v[42:43], v[22:23], v[20:21]
	s_waitcnt lgkmcnt(0)
	s_delay_alu instid0(VALU_DEP_2) | instskip(NEXT) | instid1(VALU_DEP_2)
	v_fma_f64 v[22:23], v[46:47], v[50:51], v[44:45]
	v_fma_f64 v[42:43], v[48:49], v[50:51], v[20:21]
	s_delay_alu instid0(VALU_DEP_2) | instskip(NEXT) | instid1(VALU_DEP_2)
	v_fma_f64 v[20:21], -v[48:49], v[52:53], v[22:23]
	v_fma_f64 v[22:23], v[46:47], v[52:53], v[42:43]
	s_cbranch_scc1 .LBB46_26
; %bb.27:                               ;   in Loop: Header=BB46_15 Depth=1
	s_mov_b64 s[30:31], s[22:23]
	s_and_not1_b32 vcc_lo, exec_lo, s39
	s_cbranch_vccz .LBB46_29
	s_branch .LBB46_31
.LBB46_28:                              ;   in Loop: Header=BB46_15 Depth=1
	s_mov_b64 s[30:31], 0
	s_and_not1_b32 vcc_lo, exec_lo, s39
	s_cbranch_vccnz .LBB46_31
.LBB46_29:                              ;   in Loop: Header=BB46_15 Depth=1
	s_lshl_b32 s30, s30, 4
	s_delay_alu instid0(SALU_CYCLE_1)
	v_add_nc_u32_e32 v40, s30, v37
	v_add_nc_u32_e32 v41, s30, v38
	s_mov_b64 s[30:31], s[28:29]
	.p2align	6
.LBB46_30:                              ;   Parent Loop BB46_15 Depth=1
                                        ; =>  This Inner Loop Header: Depth=2
	ds_load_b128 v[42:45], v41
	ds_load_b128 v[46:49], v40
	v_add_nc_u32_e32 v40, 16, v40
	v_add_nc_u32_e32 v41, 16, v41
	s_add_u32 s30, s30, -1
	s_addc_u32 s31, s31, -1
	s_delay_alu instid0(SALU_CYCLE_1) | instskip(SKIP_3) | instid1(VALU_DEP_2)
	s_cmp_lg_u64 s[30:31], 0
	s_waitcnt lgkmcnt(0)
	v_fma_f64 v[20:21], v[42:43], v[46:47], v[20:21]
	v_fma_f64 v[22:23], v[44:45], v[46:47], v[22:23]
	v_fma_f64 v[20:21], -v[44:45], v[48:49], v[20:21]
	s_delay_alu instid0(VALU_DEP_2)
	v_fma_f64 v[22:23], v[42:43], v[48:49], v[22:23]
	s_cbranch_scc1 .LBB46_30
.LBB46_31:                              ;   in Loop: Header=BB46_15 Depth=1
	s_or_b32 exec_lo, exec_lo, s41
	s_and_saveexec_b32 s41, s37
	s_cbranch_execz .LBB46_13
; %bb.32:                               ;   in Loop: Header=BB46_15 Depth=1
	s_and_not1_b32 vcc_lo, exec_lo, s38
	s_cbranch_vccnz .LBB46_36
; %bb.33:                               ;   in Loop: Header=BB46_15 Depth=1
	v_dual_mov_b32 v40, v38 :: v_dual_mov_b32 v41, v39
	s_mov_b64 s[30:31], 0
.LBB46_34:                              ;   Parent Loop BB46_15 Depth=1
                                        ; =>  This Inner Loop Header: Depth=2
	ds_load_b128 v[42:45], v41
	ds_load_b128 v[46:49], v40
	ds_load_b128 v[50:53], v40 offset:16
	ds_load_b128 v[54:57], v41 offset:16
	s_add_u32 s30, s30, 4
	s_addc_u32 s31, s31, 0
	s_delay_alu instid0(SALU_CYCLE_1) | instskip(SKIP_3) | instid1(VALU_DEP_2)
	s_cmp_lg_u64 s[22:23], s[30:31]
	s_waitcnt lgkmcnt(2)
	v_fma_f64 v[18:19], v[46:47], v[42:43], v[18:19]
	v_fma_f64 v[16:17], v[48:49], v[42:43], v[16:17]
	v_fma_f64 v[18:19], -v[48:49], v[44:45], v[18:19]
	s_delay_alu instid0(VALU_DEP_2) | instskip(SKIP_1) | instid1(VALU_DEP_2)
	v_fma_f64 v[16:17], v[46:47], v[44:45], v[16:17]
	s_waitcnt lgkmcnt(0)
	v_fma_f64 v[18:19], v[50:51], v[54:55], v[18:19]
	s_delay_alu instid0(VALU_DEP_2) | instskip(NEXT) | instid1(VALU_DEP_2)
	v_fma_f64 v[16:17], v[52:53], v[54:55], v[16:17]
	v_fma_f64 v[54:55], -v[52:53], v[56:57], v[18:19]
	s_delay_alu instid0(VALU_DEP_2)
	v_fma_f64 v[56:57], v[50:51], v[56:57], v[16:17]
	ds_load_b128 v[16:19], v41 offset:32
	ds_load_b128 v[42:45], v40 offset:32
	;; [unrolled: 1-line block ×4, first 2 shown]
	v_add_nc_u32_e32 v41, 64, v41
	v_add_nc_u32_e32 v40, 64, v40
	s_waitcnt lgkmcnt(2)
	v_fma_f64 v[54:55], v[42:43], v[16:17], v[54:55]
	v_fma_f64 v[16:17], v[44:45], v[16:17], v[56:57]
	s_delay_alu instid0(VALU_DEP_2) | instskip(NEXT) | instid1(VALU_DEP_2)
	v_fma_f64 v[44:45], -v[44:45], v[18:19], v[54:55]
	v_fma_f64 v[16:17], v[42:43], v[18:19], v[16:17]
	s_waitcnt lgkmcnt(0)
	s_delay_alu instid0(VALU_DEP_2) | instskip(NEXT) | instid1(VALU_DEP_2)
	v_fma_f64 v[18:19], v[46:47], v[50:51], v[44:45]
	v_fma_f64 v[16:17], v[48:49], v[50:51], v[16:17]
	s_delay_alu instid0(VALU_DEP_2) | instskip(NEXT) | instid1(VALU_DEP_2)
	v_fma_f64 v[18:19], -v[48:49], v[52:53], v[18:19]
	v_fma_f64 v[16:17], v[46:47], v[52:53], v[16:17]
	s_cbranch_scc1 .LBB46_34
; %bb.35:                               ;   in Loop: Header=BB46_15 Depth=1
	s_mov_b64 s[30:31], s[22:23]
	s_and_not1_b32 vcc_lo, exec_lo, s39
	s_cbranch_vccz .LBB46_37
	s_branch .LBB46_13
.LBB46_36:                              ;   in Loop: Header=BB46_15 Depth=1
	s_mov_b64 s[30:31], 0
	s_and_not1_b32 vcc_lo, exec_lo, s39
	s_cbranch_vccnz .LBB46_13
.LBB46_37:                              ;   in Loop: Header=BB46_15 Depth=1
	s_lshl_b32 s30, s30, 4
	s_delay_alu instid0(SALU_CYCLE_1)
	v_add_nc_u32_e32 v40, s30, v39
	v_add_nc_u32_e32 v41, s30, v38
	s_mov_b64 s[30:31], s[28:29]
	.p2align	6
.LBB46_38:                              ;   Parent Loop BB46_15 Depth=1
                                        ; =>  This Inner Loop Header: Depth=2
	ds_load_b128 v[42:45], v41
	ds_load_b128 v[46:49], v40
	v_add_nc_u32_e32 v40, 16, v40
	v_add_nc_u32_e32 v41, 16, v41
	s_add_u32 s30, s30, -1
	s_addc_u32 s31, s31, -1
	s_delay_alu instid0(SALU_CYCLE_1) | instskip(SKIP_3) | instid1(VALU_DEP_2)
	s_cmp_lg_u64 s[30:31], 0
	s_waitcnt lgkmcnt(0)
	v_fma_f64 v[18:19], v[42:43], v[46:47], v[18:19]
	v_fma_f64 v[16:17], v[44:45], v[46:47], v[16:17]
	v_fma_f64 v[18:19], -v[44:45], v[48:49], v[18:19]
	s_delay_alu instid0(VALU_DEP_2)
	v_fma_f64 v[16:17], v[42:43], v[48:49], v[16:17]
	s_cbranch_scc1 .LBB46_38
	s_branch .LBB46_13
.LBB46_39:
	s_delay_alu instid0(VALU_DEP_1) | instskip(NEXT) | instid1(SALU_CYCLE_1)
	s_and_b32 s0, s33, s0
	s_and_b32 exec_lo, exec_lo, s0
	s_cbranch_execz .LBB46_62
; %bb.40:
	v_mad_u64_u32 v[24:25], null, s14, s18, v[1:2]
	s_load_b64 s[2:3], s[2:3], 0x88
	s_waitcnt vmcnt(0)
	v_cmp_neq_f64_e32 vcc_lo, 0, v[8:9]
	v_cmp_neq_f64_e64 s0, 0, v[10:11]
	s_mov_b32 s5, exec_lo
	s_delay_alu instid0(VALU_DEP_3) | instskip(NEXT) | instid1(VALU_DEP_1)
	v_mov_b32_e32 v0, v25
	v_mad_u64_u32 v[1:2], null, s14, s19, v[0:1]
	s_waitcnt lgkmcnt(0)
	v_mul_lo_u32 v0, v24, s3
	v_mad_u64_u32 v[2:3], null, v24, s2, 0
	s_delay_alu instid0(VALU_DEP_3) | instskip(NEXT) | instid1(VALU_DEP_1)
	v_mul_lo_u32 v25, v1, s2
	v_add3_u32 v3, v3, v0, v25
	v_mov_b32_e32 v25, v1
	s_delay_alu instid0(VALU_DEP_2) | instskip(NEXT) | instid1(VALU_DEP_2)
	v_lshlrev_b64 v[0:1], 4, v[2:3]
	v_lshlrev_b64 v[2:3], 4, v[24:25]
	s_or_b32 s4, vcc_lo, s0
	s_cmp_lg_u32 s16, 1
	s_delay_alu instid0(VALU_DEP_2) | instskip(NEXT) | instid1(VALU_DEP_3)
	v_add_co_u32 v26, vcc_lo, s6, v0
	v_add_co_ci_u32_e32 v27, vcc_lo, s7, v1, vcc_lo
	s_delay_alu instid0(VALU_DEP_3)
	v_add_co_u32 v24, vcc_lo, s6, v2
	v_add_co_ci_u32_e32 v25, vcc_lo, s7, v3, vcc_lo
	s_cselect_b32 s0, -1, 0
	v_cmpx_gt_i64_e64 s[10:11], v[14:15]
	s_cbranch_execz .LBB46_51
; %bb.41:
	s_and_saveexec_b32 s1, s4
	s_delay_alu instid0(SALU_CYCLE_1)
	s_xor_b32 s1, exec_lo, s1
	s_cbranch_execz .LBB46_46
; %bb.42:
	s_and_b32 vcc_lo, exec_lo, s0
	s_mov_b32 s6, -1
	s_cbranch_vccz .LBB46_44
; %bb.43:
	v_lshlrev_b64 v[0:1], 4, v[14:15]
	v_mul_f64 v[30:31], v[22:23], -v[6:7]
	v_mul_f64 v[32:33], v[4:5], v[22:23]
	s_mov_b32 s6, 0
	s_delay_alu instid0(VALU_DEP_3) | instskip(NEXT) | instid1(VALU_DEP_4)
	v_add_co_u32 v28, vcc_lo, v26, v0
	v_add_co_ci_u32_e32 v29, vcc_lo, v27, v1, vcc_lo
	global_load_b128 v[0:3], v[28:29], off
	v_fma_f64 v[30:31], v[4:5], v[20:21], v[30:31]
	v_fma_f64 v[32:33], v[6:7], v[20:21], v[32:33]
	s_waitcnt vmcnt(0)
	s_delay_alu instid0(VALU_DEP_2) | instskip(NEXT) | instid1(VALU_DEP_2)
	v_fma_f64 v[30:31], v[8:9], v[0:1], v[30:31]
	v_fma_f64 v[32:33], v[10:11], v[0:1], v[32:33]
	s_delay_alu instid0(VALU_DEP_2) | instskip(NEXT) | instid1(VALU_DEP_2)
	v_fma_f64 v[0:1], -v[10:11], v[2:3], v[30:31]
	v_fma_f64 v[2:3], v[8:9], v[2:3], v[32:33]
	global_store_b128 v[28:29], v[0:3], off
.LBB46_44:
	s_and_not1_b32 vcc_lo, exec_lo, s6
	s_cbranch_vccnz .LBB46_46
; %bb.45:
	v_mad_u64_u32 v[0:1], null, v14, s2, 0
	v_mul_f64 v[28:29], v[22:23], -v[6:7]
	v_mul_f64 v[22:23], v[4:5], v[22:23]
	s_delay_alu instid0(VALU_DEP_3) | instskip(NEXT) | instid1(VALU_DEP_1)
	v_mad_u64_u32 v[2:3], null, v14, s3, v[1:2]
	v_mov_b32_e32 v1, v2
	s_delay_alu instid0(VALU_DEP_1) | instskip(NEXT) | instid1(VALU_DEP_1)
	v_lshlrev_b64 v[0:1], 4, v[0:1]
	v_add_co_u32 v14, vcc_lo, v24, v0
	s_delay_alu instid0(VALU_DEP_2) | instskip(SKIP_4) | instid1(VALU_DEP_2)
	v_add_co_ci_u32_e32 v15, vcc_lo, v25, v1, vcc_lo
	global_load_b128 v[0:3], v[14:15], off
	v_fma_f64 v[28:29], v[4:5], v[20:21], v[28:29]
	v_fma_f64 v[20:21], v[6:7], v[20:21], v[22:23]
	s_waitcnt vmcnt(0)
	v_fma_f64 v[22:23], v[8:9], v[0:1], v[28:29]
	s_delay_alu instid0(VALU_DEP_2) | instskip(NEXT) | instid1(VALU_DEP_2)
	v_fma_f64 v[20:21], v[10:11], v[0:1], v[20:21]
	v_fma_f64 v[0:1], -v[10:11], v[2:3], v[22:23]
	s_delay_alu instid0(VALU_DEP_2)
	v_fma_f64 v[2:3], v[8:9], v[2:3], v[20:21]
                                        ; implicit-def: $vgpr22_vgpr23
                                        ; implicit-def: $vgpr20_vgpr21
	global_store_b128 v[14:15], v[0:3], off
                                        ; implicit-def: $vgpr14_vgpr15
.LBB46_46:
	s_and_not1_saveexec_b32 s1, s1
	s_cbranch_execz .LBB46_51
; %bb.47:
	v_mul_f64 v[0:1], v[22:23], -v[6:7]
	v_mul_f64 v[2:3], v[4:5], v[22:23]
	s_and_b32 vcc_lo, exec_lo, s0
	s_mov_b32 s1, -1
	s_delay_alu instid0(VALU_DEP_2) | instskip(NEXT) | instid1(VALU_DEP_2)
	v_fma_f64 v[0:1], v[4:5], v[20:21], v[0:1]
	v_fma_f64 v[2:3], v[6:7], v[20:21], v[2:3]
	s_cbranch_vccz .LBB46_49
; %bb.48:
	v_lshlrev_b64 v[20:21], 4, v[14:15]
	s_mov_b32 s1, 0
	s_delay_alu instid0(VALU_DEP_1) | instskip(NEXT) | instid1(VALU_DEP_2)
	v_add_co_u32 v20, vcc_lo, v26, v20
	v_add_co_ci_u32_e32 v21, vcc_lo, v27, v21, vcc_lo
	global_store_b128 v[20:21], v[0:3], off
.LBB46_49:
	s_and_not1_b32 vcc_lo, exec_lo, s1
	s_cbranch_vccnz .LBB46_51
; %bb.50:
	v_mad_u64_u32 v[20:21], null, v14, s2, 0
	s_delay_alu instid0(VALU_DEP_1) | instskip(NEXT) | instid1(VALU_DEP_1)
	v_mov_b32_e32 v15, v21
	v_mad_u64_u32 v[21:22], null, v14, s3, v[15:16]
	s_delay_alu instid0(VALU_DEP_1) | instskip(NEXT) | instid1(VALU_DEP_1)
	v_lshlrev_b64 v[14:15], 4, v[20:21]
	v_add_co_u32 v14, vcc_lo, v24, v14
	s_delay_alu instid0(VALU_DEP_2)
	v_add_co_ci_u32_e32 v15, vcc_lo, v25, v15, vcc_lo
	global_store_b128 v[14:15], v[0:3], off
.LBB46_51:
	s_or_b32 exec_lo, exec_lo, s5
	v_cmp_gt_i64_e32 vcc_lo, s[10:11], v[12:13]
	s_and_b32 exec_lo, exec_lo, vcc_lo
	s_cbranch_execz .LBB46_62
; %bb.52:
	s_and_saveexec_b32 s1, s4
	s_delay_alu instid0(SALU_CYCLE_1)
	s_xor_b32 s1, exec_lo, s1
	s_cbranch_execz .LBB46_57
; %bb.53:
	s_and_not1_b32 vcc_lo, exec_lo, s0
	s_mov_b32 s4, -1
	s_cbranch_vccnz .LBB46_55
; %bb.54:
	v_lshlrev_b64 v[0:1], 4, v[12:13]
	v_mul_f64 v[20:21], v[16:17], -v[6:7]
	v_mul_f64 v[22:23], v[4:5], v[16:17]
	s_mov_b32 s4, 0
	s_delay_alu instid0(VALU_DEP_3) | instskip(NEXT) | instid1(VALU_DEP_4)
	v_add_co_u32 v13, vcc_lo, v26, v0
	v_add_co_ci_u32_e32 v14, vcc_lo, v27, v1, vcc_lo
	global_load_b128 v[0:3], v[13:14], off
	v_fma_f64 v[20:21], v[4:5], v[18:19], v[20:21]
	v_fma_f64 v[22:23], v[6:7], v[18:19], v[22:23]
	s_waitcnt vmcnt(0)
	s_delay_alu instid0(VALU_DEP_2) | instskip(NEXT) | instid1(VALU_DEP_2)
	v_fma_f64 v[20:21], v[8:9], v[0:1], v[20:21]
	v_fma_f64 v[22:23], v[10:11], v[0:1], v[22:23]
	s_delay_alu instid0(VALU_DEP_2) | instskip(NEXT) | instid1(VALU_DEP_2)
	v_fma_f64 v[0:1], -v[10:11], v[2:3], v[20:21]
	v_fma_f64 v[2:3], v[8:9], v[2:3], v[22:23]
	global_store_b128 v[13:14], v[0:3], off
.LBB46_55:
	s_and_not1_b32 vcc_lo, exec_lo, s4
                                        ; implicit-def: $vgpr26
                                        ; implicit-def: $vgpr27
	s_cbranch_vccnz .LBB46_57
; %bb.56:
	v_mad_u64_u32 v[0:1], null, v12, s2, 0
	v_mul_f64 v[14:15], v[16:17], -v[6:7]
	v_mul_f64 v[16:17], v[4:5], v[16:17]
                                        ; implicit-def: $vgpr26
                                        ; implicit-def: $vgpr27
	s_delay_alu instid0(VALU_DEP_3) | instskip(NEXT) | instid1(VALU_DEP_1)
	v_mad_u64_u32 v[2:3], null, v12, s3, v[1:2]
	v_mov_b32_e32 v1, v2
	s_delay_alu instid0(VALU_DEP_1) | instskip(NEXT) | instid1(VALU_DEP_1)
	v_lshlrev_b64 v[0:1], 4, v[0:1]
	v_add_co_u32 v12, vcc_lo, v24, v0
	s_delay_alu instid0(VALU_DEP_2) | instskip(SKIP_4) | instid1(VALU_DEP_2)
	v_add_co_ci_u32_e32 v13, vcc_lo, v25, v1, vcc_lo
                                        ; implicit-def: $vgpr24
                                        ; implicit-def: $vgpr25
	global_load_b128 v[0:3], v[12:13], off
	v_fma_f64 v[4:5], v[4:5], v[18:19], v[14:15]
	v_fma_f64 v[6:7], v[6:7], v[18:19], v[16:17]
                                        ; implicit-def: $vgpr18_vgpr19
                                        ; implicit-def: $vgpr16_vgpr17
	s_waitcnt vmcnt(0)
	v_fma_f64 v[4:5], v[8:9], v[0:1], v[4:5]
	s_delay_alu instid0(VALU_DEP_2) | instskip(NEXT) | instid1(VALU_DEP_2)
	v_fma_f64 v[6:7], v[10:11], v[0:1], v[6:7]
	v_fma_f64 v[0:1], -v[10:11], v[2:3], v[4:5]
	s_delay_alu instid0(VALU_DEP_2)
	v_fma_f64 v[2:3], v[8:9], v[2:3], v[6:7]
                                        ; implicit-def: $vgpr4_vgpr5
                                        ; implicit-def: $vgpr6_vgpr7
	global_store_b128 v[12:13], v[0:3], off
                                        ; implicit-def: $vgpr12_vgpr13
.LBB46_57:
	s_and_not1_saveexec_b32 s1, s1
	s_cbranch_execz .LBB46_62
; %bb.58:
	v_mul_f64 v[0:1], v[16:17], -v[6:7]
	v_mul_f64 v[2:3], v[4:5], v[16:17]
	s_and_not1_b32 vcc_lo, exec_lo, s0
	s_mov_b32 s0, -1
	s_delay_alu instid0(VALU_DEP_2) | instskip(NEXT) | instid1(VALU_DEP_2)
	v_fma_f64 v[0:1], v[4:5], v[18:19], v[0:1]
	v_fma_f64 v[2:3], v[6:7], v[18:19], v[2:3]
	s_cbranch_vccnz .LBB46_60
; %bb.59:
	v_lshlrev_b64 v[4:5], 4, v[12:13]
	s_mov_b32 s0, 0
	s_delay_alu instid0(VALU_DEP_1) | instskip(NEXT) | instid1(VALU_DEP_2)
	v_add_co_u32 v4, vcc_lo, v26, v4
	v_add_co_ci_u32_e32 v5, vcc_lo, v27, v5, vcc_lo
	global_store_b128 v[4:5], v[0:3], off
.LBB46_60:
	s_and_not1_b32 vcc_lo, exec_lo, s0
	s_cbranch_vccnz .LBB46_62
; %bb.61:
	v_mad_u64_u32 v[4:5], null, v12, s2, 0
	s_delay_alu instid0(VALU_DEP_1) | instskip(NEXT) | instid1(VALU_DEP_1)
	v_mad_u64_u32 v[6:7], null, v12, s3, v[5:6]
	v_mov_b32_e32 v5, v6
	s_delay_alu instid0(VALU_DEP_1) | instskip(NEXT) | instid1(VALU_DEP_1)
	v_lshlrev_b64 v[4:5], 4, v[4:5]
	v_add_co_u32 v4, vcc_lo, v24, v4
	s_delay_alu instid0(VALU_DEP_2)
	v_add_co_ci_u32_e32 v5, vcc_lo, v25, v5, vcc_lo
	global_store_b128 v[4:5], v[0:3], off
.LBB46_62:
	s_nop 0
	s_sendmsg sendmsg(MSG_DEALLOC_VGPRS)
	s_endpgm
	.section	.rodata,"a",@progbits
	.p2align	6, 0x0
	.amdhsa_kernel _ZN9rocsparseL31bsrmm_large_blockdim_kernel_extILj16ELj16ELj2Ell21rocsparse_complex_numIdES2_S2_S2_EEvb20rocsparse_direction_T3_S4_llNS_24const_host_device_scalarIT7_EEPKT2_PKS4_PKT4_S4_PKT5_llS7_PT6_ll16rocsparse_order_21rocsparse_index_base_b
		.amdhsa_group_segment_fixed_size 16384
		.amdhsa_private_segment_fixed_size 0
		.amdhsa_kernarg_size 164
		.amdhsa_user_sgpr_count 14
		.amdhsa_user_sgpr_dispatch_ptr 1
		.amdhsa_user_sgpr_queue_ptr 0
		.amdhsa_user_sgpr_kernarg_segment_ptr 1
		.amdhsa_user_sgpr_dispatch_id 0
		.amdhsa_user_sgpr_private_segment_size 0
		.amdhsa_wavefront_size32 1
		.amdhsa_uses_dynamic_stack 0
		.amdhsa_enable_private_segment 0
		.amdhsa_system_sgpr_workgroup_id_x 1
		.amdhsa_system_sgpr_workgroup_id_y 1
		.amdhsa_system_sgpr_workgroup_id_z 0
		.amdhsa_system_sgpr_workgroup_info 0
		.amdhsa_system_vgpr_workitem_id 2
		.amdhsa_next_free_vgpr 58
		.amdhsa_next_free_sgpr 44
		.amdhsa_reserve_vcc 1
		.amdhsa_float_round_mode_32 0
		.amdhsa_float_round_mode_16_64 0
		.amdhsa_float_denorm_mode_32 3
		.amdhsa_float_denorm_mode_16_64 3
		.amdhsa_dx10_clamp 1
		.amdhsa_ieee_mode 1
		.amdhsa_fp16_overflow 0
		.amdhsa_workgroup_processor_mode 1
		.amdhsa_memory_ordered 1
		.amdhsa_forward_progress 0
		.amdhsa_shared_vgpr_count 0
		.amdhsa_exception_fp_ieee_invalid_op 0
		.amdhsa_exception_fp_denorm_src 0
		.amdhsa_exception_fp_ieee_div_zero 0
		.amdhsa_exception_fp_ieee_overflow 0
		.amdhsa_exception_fp_ieee_underflow 0
		.amdhsa_exception_fp_ieee_inexact 0
		.amdhsa_exception_int_div_zero 0
	.end_amdhsa_kernel
	.section	.text._ZN9rocsparseL31bsrmm_large_blockdim_kernel_extILj16ELj16ELj2Ell21rocsparse_complex_numIdES2_S2_S2_EEvb20rocsparse_direction_T3_S4_llNS_24const_host_device_scalarIT7_EEPKT2_PKS4_PKT4_S4_PKT5_llS7_PT6_ll16rocsparse_order_21rocsparse_index_base_b,"axG",@progbits,_ZN9rocsparseL31bsrmm_large_blockdim_kernel_extILj16ELj16ELj2Ell21rocsparse_complex_numIdES2_S2_S2_EEvb20rocsparse_direction_T3_S4_llNS_24const_host_device_scalarIT7_EEPKT2_PKS4_PKT4_S4_PKT5_llS7_PT6_ll16rocsparse_order_21rocsparse_index_base_b,comdat
.Lfunc_end46:
	.size	_ZN9rocsparseL31bsrmm_large_blockdim_kernel_extILj16ELj16ELj2Ell21rocsparse_complex_numIdES2_S2_S2_EEvb20rocsparse_direction_T3_S4_llNS_24const_host_device_scalarIT7_EEPKT2_PKS4_PKT4_S4_PKT5_llS7_PT6_ll16rocsparse_order_21rocsparse_index_base_b, .Lfunc_end46-_ZN9rocsparseL31bsrmm_large_blockdim_kernel_extILj16ELj16ELj2Ell21rocsparse_complex_numIdES2_S2_S2_EEvb20rocsparse_direction_T3_S4_llNS_24const_host_device_scalarIT7_EEPKT2_PKS4_PKT4_S4_PKT5_llS7_PT6_ll16rocsparse_order_21rocsparse_index_base_b
                                        ; -- End function
	.section	.AMDGPU.csdata,"",@progbits
; Kernel info:
; codeLenInByte = 3560
; NumSgprs: 46
; NumVgprs: 58
; ScratchSize: 0
; MemoryBound: 0
; FloatMode: 240
; IeeeMode: 1
; LDSByteSize: 16384 bytes/workgroup (compile time only)
; SGPRBlocks: 5
; VGPRBlocks: 7
; NumSGPRsForWavesPerEU: 46
; NumVGPRsForWavesPerEU: 58
; Occupancy: 16
; WaveLimiterHint : 1
; COMPUTE_PGM_RSRC2:SCRATCH_EN: 0
; COMPUTE_PGM_RSRC2:USER_SGPR: 14
; COMPUTE_PGM_RSRC2:TRAP_HANDLER: 0
; COMPUTE_PGM_RSRC2:TGID_X_EN: 1
; COMPUTE_PGM_RSRC2:TGID_Y_EN: 1
; COMPUTE_PGM_RSRC2:TGID_Z_EN: 0
; COMPUTE_PGM_RSRC2:TIDIG_COMP_CNT: 2
	.section	.text._ZN9rocsparseL31bsrmm_large_blockdim_kernel_extILj32ELj32ELj2Ell21rocsparse_complex_numIdES2_S2_S2_EEvb20rocsparse_direction_T3_S4_llNS_24const_host_device_scalarIT7_EEPKT2_PKS4_PKT4_S4_PKT5_llS7_PT6_ll16rocsparse_order_21rocsparse_index_base_b,"axG",@progbits,_ZN9rocsparseL31bsrmm_large_blockdim_kernel_extILj32ELj32ELj2Ell21rocsparse_complex_numIdES2_S2_S2_EEvb20rocsparse_direction_T3_S4_llNS_24const_host_device_scalarIT7_EEPKT2_PKS4_PKT4_S4_PKT5_llS7_PT6_ll16rocsparse_order_21rocsparse_index_base_b,comdat
	.globl	_ZN9rocsparseL31bsrmm_large_blockdim_kernel_extILj32ELj32ELj2Ell21rocsparse_complex_numIdES2_S2_S2_EEvb20rocsparse_direction_T3_S4_llNS_24const_host_device_scalarIT7_EEPKT2_PKS4_PKT4_S4_PKT5_llS7_PT6_ll16rocsparse_order_21rocsparse_index_base_b ; -- Begin function _ZN9rocsparseL31bsrmm_large_blockdim_kernel_extILj32ELj32ELj2Ell21rocsparse_complex_numIdES2_S2_S2_EEvb20rocsparse_direction_T3_S4_llNS_24const_host_device_scalarIT7_EEPKT2_PKS4_PKT4_S4_PKT5_llS7_PT6_ll16rocsparse_order_21rocsparse_index_base_b
	.p2align	8
	.type	_ZN9rocsparseL31bsrmm_large_blockdim_kernel_extILj32ELj32ELj2Ell21rocsparse_complex_numIdES2_S2_S2_EEvb20rocsparse_direction_T3_S4_llNS_24const_host_device_scalarIT7_EEPKT2_PKS4_PKT4_S4_PKT5_llS7_PT6_ll16rocsparse_order_21rocsparse_index_base_b,@function
_ZN9rocsparseL31bsrmm_large_blockdim_kernel_extILj32ELj32ELj2Ell21rocsparse_complex_numIdES2_S2_S2_EEvb20rocsparse_direction_T3_S4_llNS_24const_host_device_scalarIT7_EEPKT2_PKS4_PKT4_S4_PKT5_llS7_PT6_ll16rocsparse_order_21rocsparse_index_base_b: ; @_ZN9rocsparseL31bsrmm_large_blockdim_kernel_extILj32ELj32ELj2Ell21rocsparse_complex_numIdES2_S2_S2_EEvb20rocsparse_direction_T3_S4_llNS_24const_host_device_scalarIT7_EEPKT2_PKS4_PKT4_S4_PKT5_llS7_PT6_ll16rocsparse_order_21rocsparse_index_base_b
; %bb.0:
	s_clause 0x1
	s_load_b128 s[16:19], s[2:3], 0x98
	s_load_b128 s[8:11], s[2:3], 0x28
	s_load_b64 s[6:7], s[0:1], 0x4
	s_mov_b64 s[0:1], src_shared_base
	v_and_b32_e32 v1, 0x3ff, v0
	s_load_b128 s[20:23], s[2:3], 0x70
	v_bfe_u32 v24, v0, 10, 10
	v_bfe_u32 v0, v0, 20, 10
	s_mov_b32 s4, s15
	s_waitcnt lgkmcnt(0)
	s_bitcmp1_b32 s18, 0
	s_cselect_b32 s0, -1, 0
	s_delay_alu instid0(SALU_CYCLE_1) | instskip(SKIP_4) | instid1(SALU_CYCLE_1)
	s_and_b32 vcc_lo, s0, exec_lo
	s_cselect_b32 s5, s1, s9
	s_lshr_b32 s6, s6, 16
	v_dual_mov_b32 v4, s20 :: v_dual_mov_b32 v5, s21
	s_mul_i32 s6, s6, s7
	v_mul_lo_u32 v2, s6, v1
	s_delay_alu instid0(VALU_DEP_1) | instskip(NEXT) | instid1(VALU_DEP_1)
	v_mad_u32_u24 v2, v24, s7, v2
	v_add_lshl_u32 v0, v2, v0, 3
	v_dual_mov_b32 v2, s8 :: v_dual_mov_b32 v7, s5
	v_mov_b32_e32 v3, s9
	s_xor_b32 s5, s0, -1
	s_delay_alu instid0(VALU_DEP_3)
	v_add_nc_u32_e32 v6, 0xe000, v0
	ds_store_2addr_stride64_b64 v0, v[4:5], v[2:3] offset0:96 offset1:112
	v_add_nc_u32_e32 v0, 0xc000, v0
	v_cndmask_b32_e64 v6, s8, v6, s0
	flat_load_b64 v[4:5], v[6:7]
	v_dual_mov_b32 v6, s10 :: v_dual_mov_b32 v7, s11
	s_cbranch_vccnz .LBB47_2
; %bb.1:
	v_dual_mov_b32 v2, s8 :: v_dual_mov_b32 v3, s9
	flat_load_b64 v[6:7], v[2:3] offset:8
.LBB47_2:
	s_and_b32 s6, s0, exec_lo
	s_cselect_b32 s1, s1, s21
	v_cndmask_b32_e64 v2, s20, v0, s0
	v_dual_mov_b32 v3, s1 :: v_dual_mov_b32 v10, s22
	v_mov_b32_e32 v11, s23
	s_and_not1_b32 vcc_lo, exec_lo, s5
	flat_load_b64 v[8:9], v[2:3]
	s_cbranch_vccnz .LBB47_4
; %bb.3:
	v_dual_mov_b32 v2, s20 :: v_dual_mov_b32 v3, s21
	flat_load_b64 v[10:11], v[2:3] offset:8
.LBB47_4:
	s_waitcnt vmcnt(1) lgkmcnt(1)
	v_cmp_eq_f64_e32 vcc_lo, 0, v[4:5]
	v_cmp_eq_f64_e64 s0, 0, v[6:7]
	s_delay_alu instid0(VALU_DEP_1)
	s_and_b32 s5, vcc_lo, s0
	s_mov_b32 s0, -1
	s_and_saveexec_b32 s1, s5
	s_cbranch_execz .LBB47_6
; %bb.5:
	s_waitcnt vmcnt(0) lgkmcnt(0)
	v_cmp_neq_f64_e32 vcc_lo, 1.0, v[8:9]
	v_cmp_neq_f64_e64 s0, 0, v[10:11]
	s_delay_alu instid0(VALU_DEP_1) | instskip(NEXT) | instid1(SALU_CYCLE_1)
	s_or_b32 s0, vcc_lo, s0
	s_or_not1_b32 s0, s0, exec_lo
.LBB47_6:
	s_or_b32 exec_lo, exec_lo, s1
	s_and_saveexec_b32 s1, s0
	s_cbranch_execz .LBB47_62
; %bb.7:
	s_clause 0x1
	s_load_b128 s[8:11], s[2:3], 0x8
	s_load_b64 s[0:1], s[2:3], 0x38
	s_ashr_i32 s15, s14, 31
	s_mov_b64 s[12:13], 0
	s_waitcnt lgkmcnt(0)
	v_cmp_ge_i64_e64 s5, s[14:15], s[8:9]
	v_cmp_lt_i64_e64 s33, s[14:15], s[8:9]
	s_mov_b64 s[8:9], 0
	s_delay_alu instid0(VALU_DEP_2)
	s_and_b32 vcc_lo, exec_lo, s5
	s_cbranch_vccnz .LBB47_9
; %bb.8:
	s_lshl_b64 s[6:7], s[14:15], 3
	s_delay_alu instid0(SALU_CYCLE_1)
	s_add_u32 s6, s0, s6
	s_addc_u32 s7, s1, s7
	s_load_b64 s[6:7], s[6:7], 0x0
	s_waitcnt lgkmcnt(0)
	s_sub_u32 s12, s6, s17
	s_subb_u32 s13, s7, 0
.LBB47_9:
	s_delay_alu instid0(VALU_DEP_1)
	s_and_not1_b32 vcc_lo, exec_lo, s33
	s_cbranch_vccnz .LBB47_11
; %bb.10:
	s_lshl_b64 s[6:7], s[14:15], 3
	s_delay_alu instid0(SALU_CYCLE_1)
	s_add_u32 s0, s0, s6
	s_addc_u32 s1, s1, s7
	s_load_b64 s[0:1], s[0:1], 0x8
	s_waitcnt lgkmcnt(0)
	s_sub_u32 s8, s0, s17
	s_subb_u32 s9, s1, 0
.LBB47_11:
	s_clause 0x1
	s_load_b64 s[18:19], s[2:3], 0x50
	s_load_b64 s[6:7], s[2:3], 0x80
	v_lshl_add_u32 v14, s4, 6, v24
	v_dual_mov_b32 v15, 0 :: v_dual_mov_b32 v20, 0
	v_cmp_ge_i64_e64 s0, s[12:13], s[8:9]
	s_delay_alu instid0(VALU_DEP_3) | instskip(NEXT) | instid1(VALU_DEP_3)
	v_dual_mov_b32 v21, 0 :: v_dual_add_nc_u32 v12, 32, v14
	v_mov_b32_e32 v13, v15
	v_mov_b32_e32 v2, v15
	v_cmp_gt_i64_e64 s1, s[10:11], v[14:15]
	s_delay_alu instid0(VALU_DEP_4)
	v_mov_b32_e32 v23, v21
	s_and_b32 vcc_lo, exec_lo, s0
	v_mov_b32_e32 v22, v20
	v_cmp_gt_i64_e64 s4, s[10:11], v[12:13]
	v_dual_mov_b32 v18, v20 :: v_dual_mov_b32 v19, v21
	v_dual_mov_b32 v16, v20 :: v_dual_mov_b32 v17, v21
	s_mov_b32 s29, 0
	s_waitcnt lgkmcnt(0)
	v_cmp_gt_i64_e64 s0, s[18:19], v[1:2]
	s_cbranch_vccnz .LBB47_39
; %bb.12:
	v_mad_u64_u32 v[16:17], null, v24, s18, 0
	s_clause 0x2
	s_load_b64 s[30:31], s[2:3], 0x0
	s_load_b128 s[20:23], s[2:3], 0x40
	s_load_b128 s[24:27], s[2:3], 0x58
	v_mad_u64_u32 v[18:19], null, v1, s18, 0
	s_mul_i32 s5, s18, s19
	s_mul_hi_u32 s28, s18, s18
	v_lshl_add_u32 v22, v1, 5, v24
	v_dual_mov_b32 v0, v17 :: v_dual_mov_b32 v25, v15
	s_add_i32 s28, s28, s5
	v_lshlrev_b32_e32 v37, 9, v24
	s_add_i32 s34, s28, s5
	s_delay_alu instid0(VALU_DEP_2)
	v_mad_u64_u32 v[20:21], null, v24, s19, v[0:1]
	v_cmp_gt_i64_e32 vcc_lo, s[18:19], v[24:25]
	v_dual_mov_b32 v0, v19 :: v_dual_lshlrev_b32 v21, 4, v1
	v_lshl_add_u32 v32, v22, 4, 0x8000
	v_lshlrev_b32_e32 v25, 5, v24
	v_lshlrev_b64 v[30:31], 4, v[12:13]
	v_mov_b32_e32 v17, v20
	v_mad_u64_u32 v[19:20], null, v1, s19, v[0:1]
	s_and_b32 s35, s0, vcc_lo
	s_waitcnt lgkmcnt(0)
	v_add_co_u32 v0, s28, s24, v21
	v_lshlrev_b64 v[16:17], 4, v[16:17]
	s_bitcmp1_b32 s30, 0
	v_add_co_ci_u32_e64 v3, null, s25, 0, s28
	s_cselect_b32 s5, -1, 0
	s_cmp_eq_u32 s31, 0
	s_delay_alu instid0(VALU_DEP_2) | instskip(SKIP_2) | instid1(VALU_DEP_3)
	v_add_co_u32 v16, vcc_lo, s22, v16
	v_add_co_ci_u32_e32 v17, vcc_lo, s23, v17, vcc_lo
	v_lshl_add_u32 v38, v1, 9, 0x8000
	v_add_co_u32 v26, vcc_lo, v16, v21
	s_delay_alu instid0(VALU_DEP_3) | instskip(SKIP_4) | instid1(VALU_DEP_4)
	v_add_co_ci_u32_e32 v27, vcc_lo, 0, v17, vcc_lo
	v_lshlrev_b64 v[16:17], 4, v[18:19]
	v_mad_u64_u32 v[18:19], null, v14, s26, 0
	v_mad_u64_u32 v[20:21], null, v12, s26, 0
	v_add_nc_u32_e32 v39, 0x4000, v37
	v_add_co_u32 v28, vcc_lo, s22, v16
	v_add_co_ci_u32_e32 v29, vcc_lo, s23, v17, vcc_lo
	s_delay_alu instid0(VALU_DEP_4) | instskip(SKIP_3) | instid1(VALU_DEP_3)
	v_dual_mov_b32 v16, v19 :: v_dual_mov_b32 v17, v21
	v_lshlrev_b32_e32 v19, 4, v24
	v_cmp_gt_i64_e64 s22, s[18:19], 0
	s_mul_i32 s15, s18, s18
	v_mad_u64_u32 v[21:22], null, v14, s27, v[16:17]
	s_delay_alu instid0(VALU_DEP_3) | instskip(SKIP_3) | instid1(VALU_DEP_3)
	v_add_co_u32 v16, vcc_lo, v28, v19
	v_mad_u64_u32 v[22:23], null, v12, s27, v[17:18]
	v_add_co_ci_u32_e32 v17, vcc_lo, 0, v29, vcc_lo
	s_cselect_b32 vcc_lo, -1, 0
	v_dual_mov_b32 v19, v21 :: v_dual_cndmask_b32 v36, v26, v16
	s_delay_alu instid0(VALU_DEP_2)
	v_dual_cndmask_b32 v35, v27, v17 :: v_dual_mov_b32 v16, 0
	v_mov_b32_e32 v17, 0
	v_mov_b32_e32 v21, v22
	v_add_lshl_u32 v33, v25, v1, 4
	s_and_b32 s36, s1, s22
	s_and_b32 s37, s4, s22
	s_add_u32 s30, s18, -1
	s_addc_u32 s31, s19, -1
	v_dual_mov_b32 v23, v17 :: v_dual_mov_b32 v22, v16
	s_and_b32 s28, s18, 3
	v_lshlrev_b64 v[24:25], 4, v[18:19]
	v_lshlrev_b64 v[26:27], 4, v[20:21]
	;; [unrolled: 1-line block ×3, first 2 shown]
	v_cmp_gt_u64_e64 s38, s[30:31], 2
	v_mov_b32_e32 v19, v17
	v_dual_mov_b32 v21, v17 :: v_dual_add_nc_u32 v34, 0x4000, v33
	s_and_b32 s23, s19, 0x7fffffff
	s_and_b32 s22, s18, -4
	v_mov_b32_e32 v18, v16
	v_mov_b32_e32 v20, v16
	s_cmp_lg_u64 s[28:29], 0
	s_cselect_b32 s39, -1, 0
	s_branch .LBB47_15
.LBB47_13:                              ;   in Loop: Header=BB47_15 Depth=1
	s_or_b32 exec_lo, exec_lo, s41
.LBB47_14:                              ;   in Loop: Header=BB47_15 Depth=1
	s_delay_alu instid0(SALU_CYCLE_1) | instskip(SKIP_2) | instid1(SALU_CYCLE_1)
	s_or_b32 exec_lo, exec_lo, s40
	s_add_u32 s12, s12, 1
	s_addc_u32 s13, s13, 0
	v_cmp_ge_i64_e64 s30, s[12:13], s[8:9]
	s_barrier
	buffer_gl0_inv
	s_and_b32 vcc_lo, exec_lo, s30
	s_cbranch_vccnz .LBB47_39
.LBB47_15:                              ; =>This Loop Header: Depth=1
                                        ;     Child Loop BB47_26 Depth 2
                                        ;     Child Loop BB47_30 Depth 2
	;; [unrolled: 1-line block ×4, first 2 shown]
	s_and_saveexec_b32 s30, s0
	s_cbranch_execz .LBB47_20
; %bb.16:                               ;   in Loop: Header=BB47_15 Depth=1
	s_lshl_b64 s[40:41], s[12:13], 3
	s_delay_alu instid0(SALU_CYCLE_1)
	s_add_u32 s40, s20, s40
	s_addc_u32 s41, s21, s41
	s_load_b64 s[40:41], s[40:41], 0x0
	s_waitcnt lgkmcnt(0)
	s_sub_u32 s31, s40, s17
	s_subb_u32 s40, s41, 0
	s_mul_i32 s41, s31, s19
	s_mul_hi_u32 s42, s31, s18
	s_mul_i32 s43, s40, s18
	s_add_i32 s41, s42, s41
	s_mul_i32 s40, s31, s18
	s_add_i32 s41, s41, s43
	v_add_co_u32 v42, s31, s40, v1
	s_delay_alu instid0(VALU_DEP_1) | instskip(SKIP_1) | instid1(VALU_DEP_2)
	v_add_co_ci_u32_e64 v43, null, s41, 0, s31
	s_lshl_b64 s[40:41], s[40:41], 4
	v_mul_lo_u32 v44, v42, s27
	v_mad_u64_u32 v[40:41], null, v42, s26, 0
	s_delay_alu instid0(VALU_DEP_3) | instskip(NEXT) | instid1(VALU_DEP_1)
	v_mul_lo_u32 v42, v43, s26
	v_add3_u32 v41, v41, v44, v42
	s_delay_alu instid0(VALU_DEP_1) | instskip(NEXT) | instid1(VALU_DEP_1)
	v_lshlrev_b64 v[40:41], 4, v[40:41]
	v_add_co_u32 v40, vcc_lo, s24, v40
	s_delay_alu instid0(VALU_DEP_2)
	v_add_co_ci_u32_e32 v41, vcc_lo, s25, v41, vcc_lo
	v_add_co_u32 v42, vcc_lo, v0, s40
	v_add_co_ci_u32_e32 v43, vcc_lo, s41, v3, vcc_lo
	s_and_saveexec_b32 s31, s1
	s_cbranch_execz .LBB47_18
; %bb.17:                               ;   in Loop: Header=BB47_15 Depth=1
	v_add_co_u32 v44, vcc_lo, v40, v28
	v_add_co_ci_u32_e32 v45, vcc_lo, v41, v29, vcc_lo
	v_add_co_u32 v46, vcc_lo, v42, v24
	v_add_co_ci_u32_e32 v47, vcc_lo, v43, v25, vcc_lo
	s_delay_alu instid0(VALU_DEP_2) | instskip(NEXT) | instid1(VALU_DEP_2)
	v_cndmask_b32_e64 v44, v44, v46, s5
	v_cndmask_b32_e64 v45, v45, v47, s5
	global_load_b128 v[44:47], v[44:45], off
	s_waitcnt vmcnt(0)
	ds_store_2addr_b64 v33, v[44:45], v[46:47] offset1:1
.LBB47_18:                              ;   in Loop: Header=BB47_15 Depth=1
	s_or_b32 exec_lo, exec_lo, s31
	s_delay_alu instid0(SALU_CYCLE_1)
	s_and_b32 exec_lo, exec_lo, s4
	s_cbranch_execz .LBB47_20
; %bb.19:                               ;   in Loop: Header=BB47_15 Depth=1
	v_add_co_u32 v42, vcc_lo, v42, v26
	v_add_co_ci_u32_e32 v43, vcc_lo, v43, v27, vcc_lo
	v_add_co_u32 v40, vcc_lo, v40, v30
	v_add_co_ci_u32_e32 v41, vcc_lo, v41, v31, vcc_lo
	s_delay_alu instid0(VALU_DEP_2) | instskip(NEXT) | instid1(VALU_DEP_2)
	v_cndmask_b32_e64 v40, v40, v42, s5
	v_cndmask_b32_e64 v41, v41, v43, s5
	global_load_b128 v[40:43], v[40:41], off
	s_waitcnt vmcnt(0)
	ds_store_2addr_b64 v34, v[40:41], v[42:43] offset1:1
.LBB47_20:                              ;   in Loop: Header=BB47_15 Depth=1
	s_or_b32 exec_lo, exec_lo, s30
	s_and_saveexec_b32 s30, s35
	s_cbranch_execz .LBB47_22
; %bb.21:                               ;   in Loop: Header=BB47_15 Depth=1
	s_mul_i32 s31, s15, s13
	s_mul_hi_u32 s40, s15, s12
	s_mul_i32 s41, s34, s12
	s_add_i32 s31, s40, s31
	s_mul_i32 s40, s15, s12
	s_add_i32 s41, s31, s41
	s_delay_alu instid0(SALU_CYCLE_1) | instskip(NEXT) | instid1(SALU_CYCLE_1)
	s_lshl_b64 s[40:41], s[40:41], 4
	v_add_co_u32 v40, vcc_lo, v36, s40
	v_add_co_ci_u32_e32 v41, vcc_lo, s41, v35, vcc_lo
	global_load_b128 v[40:43], v[40:41], off
	s_waitcnt vmcnt(0)
	ds_store_2addr_b64 v32, v[40:41], v[42:43] offset1:1
.LBB47_22:                              ;   in Loop: Header=BB47_15 Depth=1
	s_or_b32 exec_lo, exec_lo, s30
	s_waitcnt vmcnt(0) lgkmcnt(0)
	s_barrier
	buffer_gl0_inv
	s_and_saveexec_b32 s40, s0
	s_cbranch_execz .LBB47_14
; %bb.23:                               ;   in Loop: Header=BB47_15 Depth=1
	s_and_saveexec_b32 s41, s36
	s_cbranch_execz .LBB47_31
; %bb.24:                               ;   in Loop: Header=BB47_15 Depth=1
	s_and_not1_b32 vcc_lo, exec_lo, s38
	s_cbranch_vccnz .LBB47_28
; %bb.25:                               ;   in Loop: Header=BB47_15 Depth=1
	v_dual_mov_b32 v40, v38 :: v_dual_mov_b32 v41, v37
	s_mov_b64 s[30:31], 0
.LBB47_26:                              ;   Parent Loop BB47_15 Depth=1
                                        ; =>  This Inner Loop Header: Depth=2
	ds_load_b128 v[42:45], v41
	ds_load_b128 v[46:49], v40
	ds_load_b128 v[50:53], v40 offset:16
	ds_load_b128 v[54:57], v41 offset:16
	s_add_u32 s30, s30, 4
	s_addc_u32 s31, s31, 0
	s_delay_alu instid0(SALU_CYCLE_1) | instskip(SKIP_3) | instid1(VALU_DEP_2)
	s_cmp_lg_u64 s[22:23], s[30:31]
	s_waitcnt lgkmcnt(2)
	v_fma_f64 v[20:21], v[46:47], v[42:43], v[20:21]
	v_fma_f64 v[22:23], v[48:49], v[42:43], v[22:23]
	v_fma_f64 v[20:21], -v[48:49], v[44:45], v[20:21]
	s_delay_alu instid0(VALU_DEP_2) | instskip(SKIP_1) | instid1(VALU_DEP_2)
	v_fma_f64 v[22:23], v[46:47], v[44:45], v[22:23]
	s_waitcnt lgkmcnt(0)
	v_fma_f64 v[20:21], v[50:51], v[54:55], v[20:21]
	s_delay_alu instid0(VALU_DEP_2) | instskip(NEXT) | instid1(VALU_DEP_2)
	v_fma_f64 v[22:23], v[52:53], v[54:55], v[22:23]
	v_fma_f64 v[54:55], -v[52:53], v[56:57], v[20:21]
	s_delay_alu instid0(VALU_DEP_2)
	v_fma_f64 v[56:57], v[50:51], v[56:57], v[22:23]
	ds_load_b128 v[20:23], v41 offset:32
	ds_load_b128 v[42:45], v40 offset:32
	;; [unrolled: 1-line block ×4, first 2 shown]
	v_add_nc_u32_e32 v41, 64, v41
	v_add_nc_u32_e32 v40, 64, v40
	s_waitcnt lgkmcnt(2)
	v_fma_f64 v[54:55], v[42:43], v[20:21], v[54:55]
	v_fma_f64 v[20:21], v[44:45], v[20:21], v[56:57]
	s_delay_alu instid0(VALU_DEP_2) | instskip(NEXT) | instid1(VALU_DEP_2)
	v_fma_f64 v[44:45], -v[44:45], v[22:23], v[54:55]
	v_fma_f64 v[20:21], v[42:43], v[22:23], v[20:21]
	s_waitcnt lgkmcnt(0)
	s_delay_alu instid0(VALU_DEP_2) | instskip(NEXT) | instid1(VALU_DEP_2)
	v_fma_f64 v[22:23], v[46:47], v[50:51], v[44:45]
	v_fma_f64 v[42:43], v[48:49], v[50:51], v[20:21]
	s_delay_alu instid0(VALU_DEP_2) | instskip(NEXT) | instid1(VALU_DEP_2)
	v_fma_f64 v[20:21], -v[48:49], v[52:53], v[22:23]
	v_fma_f64 v[22:23], v[46:47], v[52:53], v[42:43]
	s_cbranch_scc1 .LBB47_26
; %bb.27:                               ;   in Loop: Header=BB47_15 Depth=1
	s_mov_b64 s[30:31], s[22:23]
	s_and_not1_b32 vcc_lo, exec_lo, s39
	s_cbranch_vccz .LBB47_29
	s_branch .LBB47_31
.LBB47_28:                              ;   in Loop: Header=BB47_15 Depth=1
	s_mov_b64 s[30:31], 0
	s_and_not1_b32 vcc_lo, exec_lo, s39
	s_cbranch_vccnz .LBB47_31
.LBB47_29:                              ;   in Loop: Header=BB47_15 Depth=1
	s_lshl_b32 s30, s30, 4
	s_delay_alu instid0(SALU_CYCLE_1)
	v_add_nc_u32_e32 v40, s30, v37
	v_add_nc_u32_e32 v41, s30, v38
	s_mov_b64 s[30:31], s[28:29]
	.p2align	6
.LBB47_30:                              ;   Parent Loop BB47_15 Depth=1
                                        ; =>  This Inner Loop Header: Depth=2
	ds_load_b128 v[42:45], v41
	ds_load_b128 v[46:49], v40
	v_add_nc_u32_e32 v40, 16, v40
	v_add_nc_u32_e32 v41, 16, v41
	s_add_u32 s30, s30, -1
	s_addc_u32 s31, s31, -1
	s_delay_alu instid0(SALU_CYCLE_1) | instskip(SKIP_3) | instid1(VALU_DEP_2)
	s_cmp_lg_u64 s[30:31], 0
	s_waitcnt lgkmcnt(0)
	v_fma_f64 v[20:21], v[42:43], v[46:47], v[20:21]
	v_fma_f64 v[22:23], v[44:45], v[46:47], v[22:23]
	v_fma_f64 v[20:21], -v[44:45], v[48:49], v[20:21]
	s_delay_alu instid0(VALU_DEP_2)
	v_fma_f64 v[22:23], v[42:43], v[48:49], v[22:23]
	s_cbranch_scc1 .LBB47_30
.LBB47_31:                              ;   in Loop: Header=BB47_15 Depth=1
	s_or_b32 exec_lo, exec_lo, s41
	s_and_saveexec_b32 s41, s37
	s_cbranch_execz .LBB47_13
; %bb.32:                               ;   in Loop: Header=BB47_15 Depth=1
	s_and_not1_b32 vcc_lo, exec_lo, s38
	s_cbranch_vccnz .LBB47_36
; %bb.33:                               ;   in Loop: Header=BB47_15 Depth=1
	v_dual_mov_b32 v40, v38 :: v_dual_mov_b32 v41, v39
	s_mov_b64 s[30:31], 0
.LBB47_34:                              ;   Parent Loop BB47_15 Depth=1
                                        ; =>  This Inner Loop Header: Depth=2
	ds_load_b128 v[42:45], v41
	ds_load_b128 v[46:49], v40
	ds_load_b128 v[50:53], v40 offset:16
	ds_load_b128 v[54:57], v41 offset:16
	s_add_u32 s30, s30, 4
	s_addc_u32 s31, s31, 0
	s_delay_alu instid0(SALU_CYCLE_1) | instskip(SKIP_3) | instid1(VALU_DEP_2)
	s_cmp_lg_u64 s[22:23], s[30:31]
	s_waitcnt lgkmcnt(2)
	v_fma_f64 v[18:19], v[46:47], v[42:43], v[18:19]
	v_fma_f64 v[16:17], v[48:49], v[42:43], v[16:17]
	v_fma_f64 v[18:19], -v[48:49], v[44:45], v[18:19]
	s_delay_alu instid0(VALU_DEP_2) | instskip(SKIP_1) | instid1(VALU_DEP_2)
	v_fma_f64 v[16:17], v[46:47], v[44:45], v[16:17]
	s_waitcnt lgkmcnt(0)
	v_fma_f64 v[18:19], v[50:51], v[54:55], v[18:19]
	s_delay_alu instid0(VALU_DEP_2) | instskip(NEXT) | instid1(VALU_DEP_2)
	v_fma_f64 v[16:17], v[52:53], v[54:55], v[16:17]
	v_fma_f64 v[54:55], -v[52:53], v[56:57], v[18:19]
	s_delay_alu instid0(VALU_DEP_2)
	v_fma_f64 v[56:57], v[50:51], v[56:57], v[16:17]
	ds_load_b128 v[16:19], v41 offset:32
	ds_load_b128 v[42:45], v40 offset:32
	;; [unrolled: 1-line block ×4, first 2 shown]
	v_add_nc_u32_e32 v41, 64, v41
	v_add_nc_u32_e32 v40, 64, v40
	s_waitcnt lgkmcnt(2)
	v_fma_f64 v[54:55], v[42:43], v[16:17], v[54:55]
	v_fma_f64 v[16:17], v[44:45], v[16:17], v[56:57]
	s_delay_alu instid0(VALU_DEP_2) | instskip(NEXT) | instid1(VALU_DEP_2)
	v_fma_f64 v[44:45], -v[44:45], v[18:19], v[54:55]
	v_fma_f64 v[16:17], v[42:43], v[18:19], v[16:17]
	s_waitcnt lgkmcnt(0)
	s_delay_alu instid0(VALU_DEP_2) | instskip(NEXT) | instid1(VALU_DEP_2)
	v_fma_f64 v[18:19], v[46:47], v[50:51], v[44:45]
	v_fma_f64 v[16:17], v[48:49], v[50:51], v[16:17]
	s_delay_alu instid0(VALU_DEP_2) | instskip(NEXT) | instid1(VALU_DEP_2)
	v_fma_f64 v[18:19], -v[48:49], v[52:53], v[18:19]
	v_fma_f64 v[16:17], v[46:47], v[52:53], v[16:17]
	s_cbranch_scc1 .LBB47_34
; %bb.35:                               ;   in Loop: Header=BB47_15 Depth=1
	s_mov_b64 s[30:31], s[22:23]
	s_and_not1_b32 vcc_lo, exec_lo, s39
	s_cbranch_vccz .LBB47_37
	s_branch .LBB47_13
.LBB47_36:                              ;   in Loop: Header=BB47_15 Depth=1
	s_mov_b64 s[30:31], 0
	s_and_not1_b32 vcc_lo, exec_lo, s39
	s_cbranch_vccnz .LBB47_13
.LBB47_37:                              ;   in Loop: Header=BB47_15 Depth=1
	s_lshl_b32 s30, s30, 4
	s_delay_alu instid0(SALU_CYCLE_1)
	v_add_nc_u32_e32 v40, s30, v39
	v_add_nc_u32_e32 v41, s30, v38
	s_mov_b64 s[30:31], s[28:29]
	.p2align	6
.LBB47_38:                              ;   Parent Loop BB47_15 Depth=1
                                        ; =>  This Inner Loop Header: Depth=2
	ds_load_b128 v[42:45], v41
	ds_load_b128 v[46:49], v40
	v_add_nc_u32_e32 v40, 16, v40
	v_add_nc_u32_e32 v41, 16, v41
	s_add_u32 s30, s30, -1
	s_addc_u32 s31, s31, -1
	s_delay_alu instid0(SALU_CYCLE_1) | instskip(SKIP_3) | instid1(VALU_DEP_2)
	s_cmp_lg_u64 s[30:31], 0
	s_waitcnt lgkmcnt(0)
	v_fma_f64 v[18:19], v[42:43], v[46:47], v[18:19]
	v_fma_f64 v[16:17], v[44:45], v[46:47], v[16:17]
	v_fma_f64 v[18:19], -v[44:45], v[48:49], v[18:19]
	s_delay_alu instid0(VALU_DEP_2)
	v_fma_f64 v[16:17], v[42:43], v[48:49], v[16:17]
	s_cbranch_scc1 .LBB47_38
	s_branch .LBB47_13
.LBB47_39:
	s_delay_alu instid0(VALU_DEP_1) | instskip(NEXT) | instid1(SALU_CYCLE_1)
	s_and_b32 s0, s33, s0
	s_and_b32 exec_lo, exec_lo, s0
	s_cbranch_execz .LBB47_62
; %bb.40:
	v_mad_u64_u32 v[24:25], null, s14, s18, v[1:2]
	s_load_b64 s[2:3], s[2:3], 0x88
	s_waitcnt vmcnt(0)
	v_cmp_neq_f64_e32 vcc_lo, 0, v[8:9]
	v_cmp_neq_f64_e64 s0, 0, v[10:11]
	s_mov_b32 s5, exec_lo
	s_delay_alu instid0(VALU_DEP_3) | instskip(NEXT) | instid1(VALU_DEP_1)
	v_mov_b32_e32 v0, v25
	v_mad_u64_u32 v[1:2], null, s14, s19, v[0:1]
	s_waitcnt lgkmcnt(0)
	v_mul_lo_u32 v0, v24, s3
	v_mad_u64_u32 v[2:3], null, v24, s2, 0
	s_delay_alu instid0(VALU_DEP_3) | instskip(NEXT) | instid1(VALU_DEP_1)
	v_mul_lo_u32 v25, v1, s2
	v_add3_u32 v3, v3, v0, v25
	v_mov_b32_e32 v25, v1
	s_delay_alu instid0(VALU_DEP_2) | instskip(NEXT) | instid1(VALU_DEP_2)
	v_lshlrev_b64 v[0:1], 4, v[2:3]
	v_lshlrev_b64 v[2:3], 4, v[24:25]
	s_or_b32 s4, vcc_lo, s0
	s_cmp_lg_u32 s16, 1
	s_delay_alu instid0(VALU_DEP_2) | instskip(NEXT) | instid1(VALU_DEP_3)
	v_add_co_u32 v26, vcc_lo, s6, v0
	v_add_co_ci_u32_e32 v27, vcc_lo, s7, v1, vcc_lo
	s_delay_alu instid0(VALU_DEP_3)
	v_add_co_u32 v24, vcc_lo, s6, v2
	v_add_co_ci_u32_e32 v25, vcc_lo, s7, v3, vcc_lo
	s_cselect_b32 s0, -1, 0
	v_cmpx_gt_i64_e64 s[10:11], v[14:15]
	s_cbranch_execz .LBB47_51
; %bb.41:
	s_and_saveexec_b32 s1, s4
	s_delay_alu instid0(SALU_CYCLE_1)
	s_xor_b32 s1, exec_lo, s1
	s_cbranch_execz .LBB47_46
; %bb.42:
	s_and_b32 vcc_lo, exec_lo, s0
	s_mov_b32 s6, -1
	s_cbranch_vccz .LBB47_44
; %bb.43:
	v_lshlrev_b64 v[0:1], 4, v[14:15]
	v_mul_f64 v[30:31], v[22:23], -v[6:7]
	v_mul_f64 v[32:33], v[4:5], v[22:23]
	s_mov_b32 s6, 0
	s_delay_alu instid0(VALU_DEP_3) | instskip(NEXT) | instid1(VALU_DEP_4)
	v_add_co_u32 v28, vcc_lo, v26, v0
	v_add_co_ci_u32_e32 v29, vcc_lo, v27, v1, vcc_lo
	global_load_b128 v[0:3], v[28:29], off
	v_fma_f64 v[30:31], v[4:5], v[20:21], v[30:31]
	v_fma_f64 v[32:33], v[6:7], v[20:21], v[32:33]
	s_waitcnt vmcnt(0)
	s_delay_alu instid0(VALU_DEP_2) | instskip(NEXT) | instid1(VALU_DEP_2)
	v_fma_f64 v[30:31], v[8:9], v[0:1], v[30:31]
	v_fma_f64 v[32:33], v[10:11], v[0:1], v[32:33]
	s_delay_alu instid0(VALU_DEP_2) | instskip(NEXT) | instid1(VALU_DEP_2)
	v_fma_f64 v[0:1], -v[10:11], v[2:3], v[30:31]
	v_fma_f64 v[2:3], v[8:9], v[2:3], v[32:33]
	global_store_b128 v[28:29], v[0:3], off
.LBB47_44:
	s_and_not1_b32 vcc_lo, exec_lo, s6
	s_cbranch_vccnz .LBB47_46
; %bb.45:
	v_mad_u64_u32 v[0:1], null, v14, s2, 0
	v_mul_f64 v[28:29], v[22:23], -v[6:7]
	v_mul_f64 v[22:23], v[4:5], v[22:23]
	s_delay_alu instid0(VALU_DEP_3) | instskip(NEXT) | instid1(VALU_DEP_1)
	v_mad_u64_u32 v[2:3], null, v14, s3, v[1:2]
	v_mov_b32_e32 v1, v2
	s_delay_alu instid0(VALU_DEP_1) | instskip(NEXT) | instid1(VALU_DEP_1)
	v_lshlrev_b64 v[0:1], 4, v[0:1]
	v_add_co_u32 v14, vcc_lo, v24, v0
	s_delay_alu instid0(VALU_DEP_2) | instskip(SKIP_4) | instid1(VALU_DEP_2)
	v_add_co_ci_u32_e32 v15, vcc_lo, v25, v1, vcc_lo
	global_load_b128 v[0:3], v[14:15], off
	v_fma_f64 v[28:29], v[4:5], v[20:21], v[28:29]
	v_fma_f64 v[20:21], v[6:7], v[20:21], v[22:23]
	s_waitcnt vmcnt(0)
	v_fma_f64 v[22:23], v[8:9], v[0:1], v[28:29]
	s_delay_alu instid0(VALU_DEP_2) | instskip(NEXT) | instid1(VALU_DEP_2)
	v_fma_f64 v[20:21], v[10:11], v[0:1], v[20:21]
	v_fma_f64 v[0:1], -v[10:11], v[2:3], v[22:23]
	s_delay_alu instid0(VALU_DEP_2)
	v_fma_f64 v[2:3], v[8:9], v[2:3], v[20:21]
                                        ; implicit-def: $vgpr22_vgpr23
                                        ; implicit-def: $vgpr20_vgpr21
	global_store_b128 v[14:15], v[0:3], off
                                        ; implicit-def: $vgpr14_vgpr15
.LBB47_46:
	s_and_not1_saveexec_b32 s1, s1
	s_cbranch_execz .LBB47_51
; %bb.47:
	v_mul_f64 v[0:1], v[22:23], -v[6:7]
	v_mul_f64 v[2:3], v[4:5], v[22:23]
	s_and_b32 vcc_lo, exec_lo, s0
	s_mov_b32 s1, -1
	s_delay_alu instid0(VALU_DEP_2) | instskip(NEXT) | instid1(VALU_DEP_2)
	v_fma_f64 v[0:1], v[4:5], v[20:21], v[0:1]
	v_fma_f64 v[2:3], v[6:7], v[20:21], v[2:3]
	s_cbranch_vccz .LBB47_49
; %bb.48:
	v_lshlrev_b64 v[20:21], 4, v[14:15]
	s_mov_b32 s1, 0
	s_delay_alu instid0(VALU_DEP_1) | instskip(NEXT) | instid1(VALU_DEP_2)
	v_add_co_u32 v20, vcc_lo, v26, v20
	v_add_co_ci_u32_e32 v21, vcc_lo, v27, v21, vcc_lo
	global_store_b128 v[20:21], v[0:3], off
.LBB47_49:
	s_and_not1_b32 vcc_lo, exec_lo, s1
	s_cbranch_vccnz .LBB47_51
; %bb.50:
	v_mad_u64_u32 v[20:21], null, v14, s2, 0
	s_delay_alu instid0(VALU_DEP_1) | instskip(NEXT) | instid1(VALU_DEP_1)
	v_mov_b32_e32 v15, v21
	v_mad_u64_u32 v[21:22], null, v14, s3, v[15:16]
	s_delay_alu instid0(VALU_DEP_1) | instskip(NEXT) | instid1(VALU_DEP_1)
	v_lshlrev_b64 v[14:15], 4, v[20:21]
	v_add_co_u32 v14, vcc_lo, v24, v14
	s_delay_alu instid0(VALU_DEP_2)
	v_add_co_ci_u32_e32 v15, vcc_lo, v25, v15, vcc_lo
	global_store_b128 v[14:15], v[0:3], off
.LBB47_51:
	s_or_b32 exec_lo, exec_lo, s5
	v_cmp_gt_i64_e32 vcc_lo, s[10:11], v[12:13]
	s_and_b32 exec_lo, exec_lo, vcc_lo
	s_cbranch_execz .LBB47_62
; %bb.52:
	s_and_saveexec_b32 s1, s4
	s_delay_alu instid0(SALU_CYCLE_1)
	s_xor_b32 s1, exec_lo, s1
	s_cbranch_execz .LBB47_57
; %bb.53:
	s_and_not1_b32 vcc_lo, exec_lo, s0
	s_mov_b32 s4, -1
	s_cbranch_vccnz .LBB47_55
; %bb.54:
	v_lshlrev_b64 v[0:1], 4, v[12:13]
	v_mul_f64 v[20:21], v[16:17], -v[6:7]
	v_mul_f64 v[22:23], v[4:5], v[16:17]
	s_mov_b32 s4, 0
	s_delay_alu instid0(VALU_DEP_3) | instskip(NEXT) | instid1(VALU_DEP_4)
	v_add_co_u32 v13, vcc_lo, v26, v0
	v_add_co_ci_u32_e32 v14, vcc_lo, v27, v1, vcc_lo
	global_load_b128 v[0:3], v[13:14], off
	v_fma_f64 v[20:21], v[4:5], v[18:19], v[20:21]
	v_fma_f64 v[22:23], v[6:7], v[18:19], v[22:23]
	s_waitcnt vmcnt(0)
	s_delay_alu instid0(VALU_DEP_2) | instskip(NEXT) | instid1(VALU_DEP_2)
	v_fma_f64 v[20:21], v[8:9], v[0:1], v[20:21]
	v_fma_f64 v[22:23], v[10:11], v[0:1], v[22:23]
	s_delay_alu instid0(VALU_DEP_2) | instskip(NEXT) | instid1(VALU_DEP_2)
	v_fma_f64 v[0:1], -v[10:11], v[2:3], v[20:21]
	v_fma_f64 v[2:3], v[8:9], v[2:3], v[22:23]
	global_store_b128 v[13:14], v[0:3], off
.LBB47_55:
	s_and_not1_b32 vcc_lo, exec_lo, s4
                                        ; implicit-def: $vgpr26
                                        ; implicit-def: $vgpr27
	s_cbranch_vccnz .LBB47_57
; %bb.56:
	v_mad_u64_u32 v[0:1], null, v12, s2, 0
	v_mul_f64 v[14:15], v[16:17], -v[6:7]
	v_mul_f64 v[16:17], v[4:5], v[16:17]
                                        ; implicit-def: $vgpr26
                                        ; implicit-def: $vgpr27
	s_delay_alu instid0(VALU_DEP_3) | instskip(NEXT) | instid1(VALU_DEP_1)
	v_mad_u64_u32 v[2:3], null, v12, s3, v[1:2]
	v_mov_b32_e32 v1, v2
	s_delay_alu instid0(VALU_DEP_1) | instskip(NEXT) | instid1(VALU_DEP_1)
	v_lshlrev_b64 v[0:1], 4, v[0:1]
	v_add_co_u32 v12, vcc_lo, v24, v0
	s_delay_alu instid0(VALU_DEP_2) | instskip(SKIP_4) | instid1(VALU_DEP_2)
	v_add_co_ci_u32_e32 v13, vcc_lo, v25, v1, vcc_lo
                                        ; implicit-def: $vgpr24
                                        ; implicit-def: $vgpr25
	global_load_b128 v[0:3], v[12:13], off
	v_fma_f64 v[4:5], v[4:5], v[18:19], v[14:15]
	v_fma_f64 v[6:7], v[6:7], v[18:19], v[16:17]
                                        ; implicit-def: $vgpr18_vgpr19
                                        ; implicit-def: $vgpr16_vgpr17
	s_waitcnt vmcnt(0)
	v_fma_f64 v[4:5], v[8:9], v[0:1], v[4:5]
	s_delay_alu instid0(VALU_DEP_2) | instskip(NEXT) | instid1(VALU_DEP_2)
	v_fma_f64 v[6:7], v[10:11], v[0:1], v[6:7]
	v_fma_f64 v[0:1], -v[10:11], v[2:3], v[4:5]
	s_delay_alu instid0(VALU_DEP_2)
	v_fma_f64 v[2:3], v[8:9], v[2:3], v[6:7]
                                        ; implicit-def: $vgpr4_vgpr5
                                        ; implicit-def: $vgpr6_vgpr7
	global_store_b128 v[12:13], v[0:3], off
                                        ; implicit-def: $vgpr12_vgpr13
.LBB47_57:
	s_and_not1_saveexec_b32 s1, s1
	s_cbranch_execz .LBB47_62
; %bb.58:
	v_mul_f64 v[0:1], v[16:17], -v[6:7]
	v_mul_f64 v[2:3], v[4:5], v[16:17]
	s_and_not1_b32 vcc_lo, exec_lo, s0
	s_mov_b32 s0, -1
	s_delay_alu instid0(VALU_DEP_2) | instskip(NEXT) | instid1(VALU_DEP_2)
	v_fma_f64 v[0:1], v[4:5], v[18:19], v[0:1]
	v_fma_f64 v[2:3], v[6:7], v[18:19], v[2:3]
	s_cbranch_vccnz .LBB47_60
; %bb.59:
	v_lshlrev_b64 v[4:5], 4, v[12:13]
	s_mov_b32 s0, 0
	s_delay_alu instid0(VALU_DEP_1) | instskip(NEXT) | instid1(VALU_DEP_2)
	v_add_co_u32 v4, vcc_lo, v26, v4
	v_add_co_ci_u32_e32 v5, vcc_lo, v27, v5, vcc_lo
	global_store_b128 v[4:5], v[0:3], off
.LBB47_60:
	s_and_not1_b32 vcc_lo, exec_lo, s0
	s_cbranch_vccnz .LBB47_62
; %bb.61:
	v_mad_u64_u32 v[4:5], null, v12, s2, 0
	s_delay_alu instid0(VALU_DEP_1) | instskip(NEXT) | instid1(VALU_DEP_1)
	v_mad_u64_u32 v[6:7], null, v12, s3, v[5:6]
	v_mov_b32_e32 v5, v6
	s_delay_alu instid0(VALU_DEP_1) | instskip(NEXT) | instid1(VALU_DEP_1)
	v_lshlrev_b64 v[4:5], 4, v[4:5]
	v_add_co_u32 v4, vcc_lo, v24, v4
	s_delay_alu instid0(VALU_DEP_2)
	v_add_co_ci_u32_e32 v5, vcc_lo, v25, v5, vcc_lo
	global_store_b128 v[4:5], v[0:3], off
.LBB47_62:
	s_nop 0
	s_sendmsg sendmsg(MSG_DEALLOC_VGPRS)
	s_endpgm
	.section	.rodata,"a",@progbits
	.p2align	6, 0x0
	.amdhsa_kernel _ZN9rocsparseL31bsrmm_large_blockdim_kernel_extILj32ELj32ELj2Ell21rocsparse_complex_numIdES2_S2_S2_EEvb20rocsparse_direction_T3_S4_llNS_24const_host_device_scalarIT7_EEPKT2_PKS4_PKT4_S4_PKT5_llS7_PT6_ll16rocsparse_order_21rocsparse_index_base_b
		.amdhsa_group_segment_fixed_size 65536
		.amdhsa_private_segment_fixed_size 0
		.amdhsa_kernarg_size 164
		.amdhsa_user_sgpr_count 14
		.amdhsa_user_sgpr_dispatch_ptr 1
		.amdhsa_user_sgpr_queue_ptr 0
		.amdhsa_user_sgpr_kernarg_segment_ptr 1
		.amdhsa_user_sgpr_dispatch_id 0
		.amdhsa_user_sgpr_private_segment_size 0
		.amdhsa_wavefront_size32 1
		.amdhsa_uses_dynamic_stack 0
		.amdhsa_enable_private_segment 0
		.amdhsa_system_sgpr_workgroup_id_x 1
		.amdhsa_system_sgpr_workgroup_id_y 1
		.amdhsa_system_sgpr_workgroup_id_z 0
		.amdhsa_system_sgpr_workgroup_info 0
		.amdhsa_system_vgpr_workitem_id 2
		.amdhsa_next_free_vgpr 58
		.amdhsa_next_free_sgpr 44
		.amdhsa_reserve_vcc 1
		.amdhsa_float_round_mode_32 0
		.amdhsa_float_round_mode_16_64 0
		.amdhsa_float_denorm_mode_32 3
		.amdhsa_float_denorm_mode_16_64 3
		.amdhsa_dx10_clamp 1
		.amdhsa_ieee_mode 1
		.amdhsa_fp16_overflow 0
		.amdhsa_workgroup_processor_mode 1
		.amdhsa_memory_ordered 1
		.amdhsa_forward_progress 0
		.amdhsa_shared_vgpr_count 0
		.amdhsa_exception_fp_ieee_invalid_op 0
		.amdhsa_exception_fp_denorm_src 0
		.amdhsa_exception_fp_ieee_div_zero 0
		.amdhsa_exception_fp_ieee_overflow 0
		.amdhsa_exception_fp_ieee_underflow 0
		.amdhsa_exception_fp_ieee_inexact 0
		.amdhsa_exception_int_div_zero 0
	.end_amdhsa_kernel
	.section	.text._ZN9rocsparseL31bsrmm_large_blockdim_kernel_extILj32ELj32ELj2Ell21rocsparse_complex_numIdES2_S2_S2_EEvb20rocsparse_direction_T3_S4_llNS_24const_host_device_scalarIT7_EEPKT2_PKS4_PKT4_S4_PKT5_llS7_PT6_ll16rocsparse_order_21rocsparse_index_base_b,"axG",@progbits,_ZN9rocsparseL31bsrmm_large_blockdim_kernel_extILj32ELj32ELj2Ell21rocsparse_complex_numIdES2_S2_S2_EEvb20rocsparse_direction_T3_S4_llNS_24const_host_device_scalarIT7_EEPKT2_PKS4_PKT4_S4_PKT5_llS7_PT6_ll16rocsparse_order_21rocsparse_index_base_b,comdat
.Lfunc_end47:
	.size	_ZN9rocsparseL31bsrmm_large_blockdim_kernel_extILj32ELj32ELj2Ell21rocsparse_complex_numIdES2_S2_S2_EEvb20rocsparse_direction_T3_S4_llNS_24const_host_device_scalarIT7_EEPKT2_PKS4_PKT4_S4_PKT5_llS7_PT6_ll16rocsparse_order_21rocsparse_index_base_b, .Lfunc_end47-_ZN9rocsparseL31bsrmm_large_blockdim_kernel_extILj32ELj32ELj2Ell21rocsparse_complex_numIdES2_S2_S2_EEvb20rocsparse_direction_T3_S4_llNS_24const_host_device_scalarIT7_EEPKT2_PKS4_PKT4_S4_PKT5_llS7_PT6_ll16rocsparse_order_21rocsparse_index_base_b
                                        ; -- End function
	.section	.AMDGPU.csdata,"",@progbits
; Kernel info:
; codeLenInByte = 3576
; NumSgprs: 46
; NumVgprs: 58
; ScratchSize: 0
; MemoryBound: 0
; FloatMode: 240
; IeeeMode: 1
; LDSByteSize: 65536 bytes/workgroup (compile time only)
; SGPRBlocks: 5
; VGPRBlocks: 7
; NumSGPRsForWavesPerEU: 46
; NumVGPRsForWavesPerEU: 58
; Occupancy: 16
; WaveLimiterHint : 1
; COMPUTE_PGM_RSRC2:SCRATCH_EN: 0
; COMPUTE_PGM_RSRC2:USER_SGPR: 14
; COMPUTE_PGM_RSRC2:TRAP_HANDLER: 0
; COMPUTE_PGM_RSRC2:TGID_X_EN: 1
; COMPUTE_PGM_RSRC2:TGID_Y_EN: 1
; COMPUTE_PGM_RSRC2:TGID_Z_EN: 0
; COMPUTE_PGM_RSRC2:TIDIG_COMP_CNT: 2
	.section	.text._ZN9rocsparseL31bsrmm_large_blockdim_kernel_extILj8ELj8ELj2EiiDF16_DF16_ffEEvb20rocsparse_direction_T3_S2_llNS_24const_host_device_scalarIT7_EEPKT2_PKS2_PKT4_S2_PKT5_llS5_PT6_ll16rocsparse_order_21rocsparse_index_base_b,"axG",@progbits,_ZN9rocsparseL31bsrmm_large_blockdim_kernel_extILj8ELj8ELj2EiiDF16_DF16_ffEEvb20rocsparse_direction_T3_S2_llNS_24const_host_device_scalarIT7_EEPKT2_PKS2_PKT4_S2_PKT5_llS5_PT6_ll16rocsparse_order_21rocsparse_index_base_b,comdat
	.globl	_ZN9rocsparseL31bsrmm_large_blockdim_kernel_extILj8ELj8ELj2EiiDF16_DF16_ffEEvb20rocsparse_direction_T3_S2_llNS_24const_host_device_scalarIT7_EEPKT2_PKS2_PKT4_S2_PKT5_llS5_PT6_ll16rocsparse_order_21rocsparse_index_base_b ; -- Begin function _ZN9rocsparseL31bsrmm_large_blockdim_kernel_extILj8ELj8ELj2EiiDF16_DF16_ffEEvb20rocsparse_direction_T3_S2_llNS_24const_host_device_scalarIT7_EEPKT2_PKS2_PKT4_S2_PKT5_llS5_PT6_ll16rocsparse_order_21rocsparse_index_base_b
	.p2align	8
	.type	_ZN9rocsparseL31bsrmm_large_blockdim_kernel_extILj8ELj8ELj2EiiDF16_DF16_ffEEvb20rocsparse_direction_T3_S2_llNS_24const_host_device_scalarIT7_EEPKT2_PKS2_PKT4_S2_PKT5_llS5_PT6_ll16rocsparse_order_21rocsparse_index_base_b,@function
_ZN9rocsparseL31bsrmm_large_blockdim_kernel_extILj8ELj8ELj2EiiDF16_DF16_ffEEvb20rocsparse_direction_T3_S2_llNS_24const_host_device_scalarIT7_EEPKT2_PKS2_PKT4_S2_PKT5_llS5_PT6_ll16rocsparse_order_21rocsparse_index_base_b: ; @_ZN9rocsparseL31bsrmm_large_blockdim_kernel_extILj8ELj8ELj2EiiDF16_DF16_ffEEvb20rocsparse_direction_T3_S2_llNS_24const_host_device_scalarIT7_EEPKT2_PKS2_PKT4_S2_PKT5_llS5_PT6_ll16rocsparse_order_21rocsparse_index_base_b
; %bb.0:
	s_clause 0x2
	s_load_b128 s[16:19], s[0:1], 0x80
	s_load_b64 s[6:7], s[0:1], 0x20
	s_load_b64 s[12:13], s[0:1], 0x60
	s_mov_b32 s2, s15
	s_waitcnt lgkmcnt(0)
	s_bitcmp1_b32 s18, 0
	s_cselect_b32 s3, -1, 0
	s_delay_alu instid0(SALU_CYCLE_1)
	s_and_b32 vcc_lo, exec_lo, s3
	s_xor_b32 s3, s3, -1
	s_cbranch_vccnz .LBB48_2
; %bb.1:
	s_load_b32 s6, s[6:7], 0x0
.LBB48_2:
	s_and_not1_b32 vcc_lo, exec_lo, s3
	s_cbranch_vccnz .LBB48_4
; %bb.3:
	s_load_b32 s12, s[12:13], 0x0
.LBB48_4:
	s_waitcnt lgkmcnt(0)
	v_cmp_eq_f32_e64 s3, s6, 0
	v_cmp_eq_f32_e64 s4, s12, 1.0
	s_mov_b32 s18, 0
	s_delay_alu instid0(VALU_DEP_1) | instskip(NEXT) | instid1(SALU_CYCLE_1)
	s_and_b32 s3, s3, s4
	s_and_b32 vcc_lo, exec_lo, s3
	s_cbranch_vccnz .LBB48_57
; %bb.5:
	s_clause 0x1
	s_load_b128 s[8:11], s[0:1], 0x0
	s_load_b64 s[4:5], s[0:1], 0x28
	s_waitcnt lgkmcnt(0)
	s_cmp_lt_i32 s14, s10
	s_cselect_b32 s7, -1, 0
	s_cmp_ge_i32 s14, s10
	s_cbranch_scc1 .LBB48_7
; %bb.6:
	s_ashr_i32 s15, s14, 31
	s_delay_alu instid0(SALU_CYCLE_1) | instskip(NEXT) | instid1(SALU_CYCLE_1)
	s_lshl_b64 s[18:19], s[14:15], 2
	s_add_u32 s18, s4, s18
	s_addc_u32 s19, s5, s19
	s_load_b32 s3, s[18:19], 0x0
	s_waitcnt lgkmcnt(0)
	s_sub_i32 s18, s3, s17
.LBB48_7:
	s_mov_b32 s20, 0
	s_and_not1_b32 vcc_lo, exec_lo, s7
	s_mov_b32 s13, 0
	s_cbranch_vccnz .LBB48_9
; %bb.8:
	s_ashr_i32 s15, s14, 31
	s_delay_alu instid0(SALU_CYCLE_1) | instskip(NEXT) | instid1(SALU_CYCLE_1)
	s_lshl_b64 s[22:23], s[14:15], 2
	s_add_u32 s4, s4, s22
	s_addc_u32 s5, s5, s23
	s_load_b32 s3, s[4:5], 0x4
	s_waitcnt lgkmcnt(0)
	s_sub_i32 s13, s3, s17
.LBB48_9:
	s_clause 0x1
	s_load_b32 s10, s[0:1], 0x40
	s_load_b64 s[28:29], s[0:1], 0x68
	v_bfe_u32 v8, v0, 10, 10
	s_mov_b32 s21, s20
	v_and_b32_e32 v6, 0x3ff, v0
	v_dual_mov_b32 v2, s20 :: v_dual_mov_b32 v3, s21
	s_delay_alu instid0(VALU_DEP_3) | instskip(SKIP_1) | instid1(VALU_DEP_1)
	v_lshl_add_u32 v4, s2, 4, v8
	s_cmp_ge_i32 s18, s13
	v_add_nc_u32_e32 v0, 8, v4
	v_cmp_gt_i32_e64 s3, s11, v4
	s_delay_alu instid0(VALU_DEP_2)
	v_cmp_gt_i32_e64 s4, s11, v0
	s_waitcnt lgkmcnt(0)
	v_cmp_gt_i32_e64 s2, s10, v6
	s_cbranch_scc1 .LBB48_37
; %bb.10:
	s_clause 0x1
	s_load_b128 s[20:23], s[0:1], 0x48
	s_load_b128 s[24:27], s[0:1], 0x30
	s_mov_b32 s34, 0
	v_ashrrev_i32_e32 v5, 31, v4
	v_ashrrev_i32_e32 v1, 31, v0
	s_mov_b32 s35, s34
	v_lshlrev_b32_e32 v7, 3, v8
	v_cmp_gt_i32_e32 vcc_lo, s10, v8
	v_mad_u64_u32 v[9:10], null, v6, s10, v[8:9]
	s_mul_i32 s33, s10, s10
	s_delay_alu instid0(VALU_DEP_3)
	v_mad_u64_u32 v[2:3], null, v8, s10, v[6:7]
	s_and_b32 s15, s2, vcc_lo
	s_bitcmp1_b32 s8, 0
	v_lshl_add_u32 v3, v6, 3, v8
	s_cselect_b32 s5, -1, 0
	s_cmp_eq_u32 s9, 0
	v_add_lshl_u32 v17, v7, v6, 2
	s_cselect_b32 vcc_lo, -1, 0
	s_waitcnt lgkmcnt(0)
	v_mul_lo_u32 v14, v4, s23
	v_mul_lo_u32 v15, v5, s22
	v_mad_u64_u32 v[10:11], null, v4, s22, 0
	v_mul_lo_u32 v18, v0, s23
	v_mul_lo_u32 v19, v1, s22
	v_mad_u64_u32 v[12:13], null, v0, s22, 0
	v_cndmask_b32_e32 v7, v2, v9, vcc_lo
	s_add_i32 s9, s10, -1
	v_add3_u32 v11, v11, v14, v15
	s_and_b32 s8, s10, 7
	s_cmp_gt_u32 s9, 6
	v_lshl_add_u32 v16, v3, 2, 0x200
	s_delay_alu instid0(VALU_DEP_4)
	v_add3_u32 v13, v13, v18, v19
	v_lshlrev_b32_e32 v18, 5, v8
	v_mov_b32_e32 v2, s34
	v_lshlrev_b64 v[8:9], 1, v[10:11]
	v_lshlrev_b64 v[10:11], 1, v[4:5]
	;; [unrolled: 1-line block ×4, first 2 shown]
	s_cselect_b32 s9, -1, 0
	s_and_b32 s30, s10, -8
	v_lshl_add_u32 v19, v6, 5, 0x200
	v_dual_mov_b32 v3, s35 :: v_dual_add_nc_u32 v20, 0x100, v18
	s_cmp_lg_u32 s8, 0
	s_cselect_b32 s31, -1, 0
	s_branch .LBB48_13
.LBB48_11:                              ;   in Loop: Header=BB48_13 Depth=1
	s_or_b32 exec_lo, exec_lo, s34
.LBB48_12:                              ;   in Loop: Header=BB48_13 Depth=1
	s_delay_alu instid0(SALU_CYCLE_1) | instskip(SKIP_1) | instid1(SALU_CYCLE_1)
	s_or_b32 exec_lo, exec_lo, s19
	s_add_i32 s18, s18, 1
	s_cmp_ge_i32 s18, s13
	s_barrier
	buffer_gl0_inv
	s_cbranch_scc1 .LBB48_37
.LBB48_13:                              ; =>This Loop Header: Depth=1
                                        ;     Child Loop BB48_24 Depth 2
                                        ;     Child Loop BB48_28 Depth 2
	;; [unrolled: 1-line block ×4, first 2 shown]
	s_and_saveexec_b32 s34, s2
	s_cbranch_execz .LBB48_18
; %bb.14:                               ;   in Loop: Header=BB48_13 Depth=1
	s_ashr_i32 s19, s18, 31
	s_delay_alu instid0(SALU_CYCLE_1) | instskip(NEXT) | instid1(SALU_CYCLE_1)
	s_lshl_b64 s[36:37], s[18:19], 2
	s_add_u32 s36, s24, s36
	s_addc_u32 s37, s25, s37
	s_load_b32 s19, s[36:37], 0x0
	s_waitcnt lgkmcnt(0)
	s_sub_i32 s19, s19, s17
	s_delay_alu instid0(SALU_CYCLE_1) | instskip(NEXT) | instid1(VALU_DEP_1)
	v_mad_u64_u32 v[21:22], null, s19, s10, v[6:7]
	v_ashrrev_i32_e32 v22, 31, v21
	v_mul_lo_u32 v1, v21, s23
	v_mad_u64_u32 v[23:24], null, v21, s22, 0
	s_delay_alu instid0(VALU_DEP_3) | instskip(SKIP_1) | instid1(VALU_DEP_2)
	v_mul_lo_u32 v5, v22, s22
	v_lshlrev_b64 v[21:22], 1, v[21:22]
	v_add3_u32 v24, v24, v1, v5
	s_delay_alu instid0(VALU_DEP_1) | instskip(NEXT) | instid1(VALU_DEP_1)
	v_lshlrev_b64 v[23:24], 1, v[23:24]
	v_add_co_u32 v1, vcc_lo, s20, v23
	s_delay_alu instid0(VALU_DEP_2)
	v_add_co_ci_u32_e32 v5, vcc_lo, s21, v24, vcc_lo
	v_add_co_u32 v21, vcc_lo, s20, v21
	v_add_co_ci_u32_e32 v22, vcc_lo, s21, v22, vcc_lo
	s_and_saveexec_b32 s19, s3
	s_cbranch_execz .LBB48_16
; %bb.15:                               ;   in Loop: Header=BB48_13 Depth=1
	s_delay_alu instid0(VALU_DEP_2) | instskip(NEXT) | instid1(VALU_DEP_2)
	v_add_co_u32 v23, vcc_lo, v21, v8
	v_add_co_ci_u32_e32 v24, vcc_lo, v22, v9, vcc_lo
	v_add_co_u32 v25, vcc_lo, v1, v10
	v_add_co_ci_u32_e32 v26, vcc_lo, v5, v11, vcc_lo
	s_delay_alu instid0(VALU_DEP_2) | instskip(NEXT) | instid1(VALU_DEP_2)
	v_cndmask_b32_e64 v23, v25, v23, s5
	v_cndmask_b32_e64 v24, v26, v24, s5
	global_load_u16 v23, v[23:24], off
	s_waitcnt vmcnt(0)
	v_cvt_f32_f16_e32 v23, v23
	ds_store_b32 v17, v23
.LBB48_16:                              ;   in Loop: Header=BB48_13 Depth=1
	s_or_b32 exec_lo, exec_lo, s19
	s_delay_alu instid0(SALU_CYCLE_1)
	s_and_b32 exec_lo, exec_lo, s4
	s_cbranch_execz .LBB48_18
; %bb.17:                               ;   in Loop: Header=BB48_13 Depth=1
	v_add_co_u32 v21, vcc_lo, v21, v12
	v_add_co_ci_u32_e32 v22, vcc_lo, v22, v13, vcc_lo
	v_add_co_u32 v1, vcc_lo, v1, v14
	v_add_co_ci_u32_e32 v5, vcc_lo, v5, v15, vcc_lo
	s_delay_alu instid0(VALU_DEP_2) | instskip(NEXT) | instid1(VALU_DEP_2)
	v_cndmask_b32_e64 v21, v1, v21, s5
	v_cndmask_b32_e64 v22, v5, v22, s5
	global_load_u16 v1, v[21:22], off
	s_waitcnt vmcnt(0)
	v_cvt_f32_f16_e32 v1, v1
	ds_store_b32 v17, v1 offset:256
.LBB48_18:                              ;   in Loop: Header=BB48_13 Depth=1
	s_or_b32 exec_lo, exec_lo, s34
	s_and_saveexec_b32 s19, s15
	s_cbranch_execz .LBB48_20
; %bb.19:                               ;   in Loop: Header=BB48_13 Depth=1
	v_mad_u64_u32 v[21:22], null, s33, s18, v[7:8]
	s_delay_alu instid0(VALU_DEP_1) | instskip(NEXT) | instid1(VALU_DEP_1)
	v_ashrrev_i32_e32 v22, 31, v21
	v_lshlrev_b64 v[21:22], 1, v[21:22]
	s_delay_alu instid0(VALU_DEP_1) | instskip(NEXT) | instid1(VALU_DEP_2)
	v_add_co_u32 v21, vcc_lo, s26, v21
	v_add_co_ci_u32_e32 v22, vcc_lo, s27, v22, vcc_lo
	global_load_u16 v1, v[21:22], off
	s_waitcnt vmcnt(0)
	v_cvt_f32_f16_e32 v1, v1
	ds_store_b32 v16, v1
.LBB48_20:                              ;   in Loop: Header=BB48_13 Depth=1
	s_or_b32 exec_lo, exec_lo, s19
	s_waitcnt lgkmcnt(0)
	s_barrier
	buffer_gl0_inv
	s_and_saveexec_b32 s19, s2
	s_cbranch_execz .LBB48_12
; %bb.21:                               ;   in Loop: Header=BB48_13 Depth=1
	s_and_saveexec_b32 s34, s3
	s_cbranch_execz .LBB48_29
; %bb.22:                               ;   in Loop: Header=BB48_13 Depth=1
	s_and_not1_b32 vcc_lo, exec_lo, s9
	s_cbranch_vccnz .LBB48_26
; %bb.23:                               ;   in Loop: Header=BB48_13 Depth=1
	v_mov_b32_e32 v1, v19
	v_mov_b32_e32 v5, v18
	s_mov_b32 s35, 0
	.p2align	6
.LBB48_24:                              ;   Parent Loop BB48_13 Depth=1
                                        ; =>  This Inner Loop Header: Depth=2
	ds_load_b128 v[21:24], v5
	ds_load_b128 v[25:28], v1
	ds_load_b128 v[29:32], v1 offset:16
	ds_load_b128 v[33:36], v5 offset:16
	s_add_i32 s35, s35, 8
	v_add_nc_u32_e32 v5, 32, v5
	s_cmp_lg_u32 s30, s35
	v_add_nc_u32_e32 v1, 32, v1
	s_waitcnt lgkmcnt(2)
	v_fma_f32 v2, v25, v21, v2
	s_delay_alu instid0(VALU_DEP_1) | instskip(NEXT) | instid1(VALU_DEP_1)
	v_fmac_f32_e32 v2, v26, v22
	v_fmac_f32_e32 v2, v27, v23
	s_delay_alu instid0(VALU_DEP_1) | instskip(SKIP_1) | instid1(VALU_DEP_1)
	v_fmac_f32_e32 v2, v28, v24
	s_waitcnt lgkmcnt(0)
	v_fmac_f32_e32 v2, v29, v33
	s_delay_alu instid0(VALU_DEP_1) | instskip(NEXT) | instid1(VALU_DEP_1)
	v_fmac_f32_e32 v2, v30, v34
	v_fmac_f32_e32 v2, v31, v35
	s_delay_alu instid0(VALU_DEP_1)
	v_fmac_f32_e32 v2, v32, v36
	s_cbranch_scc1 .LBB48_24
; %bb.25:                               ;   in Loop: Header=BB48_13 Depth=1
	s_mov_b32 s35, s30
	s_and_not1_b32 vcc_lo, exec_lo, s31
	s_cbranch_vccz .LBB48_27
	s_branch .LBB48_29
.LBB48_26:                              ;   in Loop: Header=BB48_13 Depth=1
	s_mov_b32 s35, 0
	s_and_not1_b32 vcc_lo, exec_lo, s31
	s_cbranch_vccnz .LBB48_29
.LBB48_27:                              ;   in Loop: Header=BB48_13 Depth=1
	s_lshl_b32 s35, s35, 2
	s_delay_alu instid0(SALU_CYCLE_1)
	v_add_nc_u32_e32 v1, s35, v18
	v_add_nc_u32_e32 v5, s35, v19
	s_mov_b32 s35, s8
.LBB48_28:                              ;   Parent Loop BB48_13 Depth=1
                                        ; =>  This Inner Loop Header: Depth=2
	ds_load_b32 v21, v5
	ds_load_b32 v22, v1
	v_add_nc_u32_e32 v1, 4, v1
	v_add_nc_u32_e32 v5, 4, v5
	s_add_i32 s35, s35, -1
	s_delay_alu instid0(SALU_CYCLE_1)
	s_cmp_lg_u32 s35, 0
	s_waitcnt lgkmcnt(0)
	v_fma_f32 v2, v21, v22, v2
	s_cbranch_scc1 .LBB48_28
.LBB48_29:                              ;   in Loop: Header=BB48_13 Depth=1
	s_or_b32 exec_lo, exec_lo, s34
	s_and_saveexec_b32 s34, s4
	s_cbranch_execz .LBB48_11
; %bb.30:                               ;   in Loop: Header=BB48_13 Depth=1
	s_and_not1_b32 vcc_lo, exec_lo, s9
	s_cbranch_vccnz .LBB48_34
; %bb.31:                               ;   in Loop: Header=BB48_13 Depth=1
	v_mov_b32_e32 v1, v19
	v_mov_b32_e32 v5, v20
	s_mov_b32 s35, 0
	.p2align	6
.LBB48_32:                              ;   Parent Loop BB48_13 Depth=1
                                        ; =>  This Inner Loop Header: Depth=2
	ds_load_b128 v[21:24], v5
	ds_load_b128 v[25:28], v1
	ds_load_b128 v[29:32], v1 offset:16
	ds_load_b128 v[33:36], v5 offset:16
	v_add_nc_u32_e32 v5, 32, v5
	v_add_nc_u32_e32 v1, 32, v1
	s_add_i32 s35, s35, 8
	s_delay_alu instid0(SALU_CYCLE_1) | instskip(SKIP_2) | instid1(VALU_DEP_1)
	s_cmp_lg_u32 s30, s35
	s_waitcnt lgkmcnt(2)
	v_fma_f32 v3, v25, v21, v3
	v_fmac_f32_e32 v3, v26, v22
	s_delay_alu instid0(VALU_DEP_1) | instskip(NEXT) | instid1(VALU_DEP_1)
	v_fmac_f32_e32 v3, v27, v23
	v_fmac_f32_e32 v3, v28, v24
	s_waitcnt lgkmcnt(0)
	s_delay_alu instid0(VALU_DEP_1) | instskip(NEXT) | instid1(VALU_DEP_1)
	v_fmac_f32_e32 v3, v29, v33
	v_fmac_f32_e32 v3, v30, v34
	s_delay_alu instid0(VALU_DEP_1) | instskip(NEXT) | instid1(VALU_DEP_1)
	v_fmac_f32_e32 v3, v31, v35
	v_fmac_f32_e32 v3, v32, v36
	s_cbranch_scc1 .LBB48_32
; %bb.33:                               ;   in Loop: Header=BB48_13 Depth=1
	s_mov_b32 s35, s30
	s_and_not1_b32 vcc_lo, exec_lo, s31
	s_cbranch_vccz .LBB48_35
	s_branch .LBB48_11
.LBB48_34:                              ;   in Loop: Header=BB48_13 Depth=1
	s_mov_b32 s35, 0
	s_and_not1_b32 vcc_lo, exec_lo, s31
	s_cbranch_vccnz .LBB48_11
.LBB48_35:                              ;   in Loop: Header=BB48_13 Depth=1
	s_lshl_b32 s35, s35, 2
	s_delay_alu instid0(SALU_CYCLE_1)
	v_add_nc_u32_e32 v1, s35, v20
	v_add_nc_u32_e32 v5, s35, v19
	s_mov_b32 s35, s8
.LBB48_36:                              ;   Parent Loop BB48_13 Depth=1
                                        ; =>  This Inner Loop Header: Depth=2
	ds_load_b32 v21, v5
	ds_load_b32 v22, v1
	v_add_nc_u32_e32 v1, 4, v1
	v_add_nc_u32_e32 v5, 4, v5
	s_add_i32 s35, s35, -1
	s_delay_alu instid0(SALU_CYCLE_1)
	s_cmp_lg_u32 s35, 0
	s_waitcnt lgkmcnt(0)
	v_fma_f32 v3, v21, v22, v3
	s_cbranch_scc1 .LBB48_36
	s_branch .LBB48_11
.LBB48_37:
	s_delay_alu instid0(VALU_DEP_1) | instskip(NEXT) | instid1(SALU_CYCLE_1)
	s_and_b32 s2, s7, s2
	s_and_saveexec_b32 s3, s2
	s_cbranch_execz .LBB48_57
; %bb.38:
	s_load_b64 s[2:3], s[0:1], 0x70
	v_mad_u64_u32 v[7:8], null, s14, s10, v[6:7]
	v_cmp_neq_f32_e64 s4, s12, 0
	s_cmp_lg_u32 s16, 1
	s_mov_b32 s0, exec_lo
	s_cselect_b32 s1, -1, 0
	s_delay_alu instid0(VALU_DEP_2) | instskip(SKIP_1) | instid1(VALU_DEP_1)
	v_ashrrev_i32_e32 v8, 31, v7
	s_waitcnt lgkmcnt(0)
	v_mul_lo_u32 v1, v8, s2
	v_mul_lo_u32 v9, v7, s3
	v_mad_u64_u32 v[5:6], null, v7, s2, 0
	v_lshlrev_b64 v[7:8], 2, v[7:8]
	s_delay_alu instid0(VALU_DEP_2) | instskip(NEXT) | instid1(VALU_DEP_1)
	v_add3_u32 v6, v6, v9, v1
	v_lshlrev_b64 v[9:10], 2, v[5:6]
	s_delay_alu instid0(VALU_DEP_3) | instskip(NEXT) | instid1(VALU_DEP_4)
	v_add_co_u32 v6, vcc_lo, s28, v7
	v_add_co_ci_u32_e32 v7, vcc_lo, s29, v8, vcc_lo
	s_delay_alu instid0(VALU_DEP_3) | instskip(NEXT) | instid1(VALU_DEP_4)
	v_add_co_u32 v8, vcc_lo, s28, v9
	v_add_co_ci_u32_e32 v9, vcc_lo, s29, v10, vcc_lo
	v_cmpx_gt_i32_e64 s11, v4
	s_cbranch_execz .LBB48_50
; %bb.39:
	v_ashrrev_i32_e32 v5, 31, v4
	s_and_b32 vcc_lo, exec_lo, s4
	s_cbranch_vccz .LBB48_45
; %bb.40:
	s_and_b32 vcc_lo, exec_lo, s1
	s_mov_b32 s5, -1
	s_cbranch_vccz .LBB48_42
; %bb.41:
	v_lshlrev_b64 v[10:11], 2, v[4:5]
	v_mul_f32_e32 v12, s6, v2
	s_mov_b32 s5, 0
	s_delay_alu instid0(VALU_DEP_2) | instskip(NEXT) | instid1(VALU_DEP_3)
	v_add_co_u32 v10, vcc_lo, v8, v10
	v_add_co_ci_u32_e32 v11, vcc_lo, v9, v11, vcc_lo
	global_load_b32 v1, v[10:11], off
	s_waitcnt vmcnt(0)
	v_fmac_f32_e32 v12, s12, v1
	global_store_b32 v[10:11], v12, off
.LBB48_42:
	s_and_not1_b32 vcc_lo, exec_lo, s5
	s_cbranch_vccnz .LBB48_44
; %bb.43:
	v_mul_lo_u32 v1, v5, s2
	v_mul_lo_u32 v12, v4, s3
	v_mad_u64_u32 v[10:11], null, v4, s2, 0
	s_delay_alu instid0(VALU_DEP_1) | instskip(SKIP_1) | instid1(VALU_DEP_2)
	v_add3_u32 v11, v11, v12, v1
	v_mul_f32_e32 v12, s6, v2
	v_lshlrev_b64 v[10:11], 2, v[10:11]
	s_delay_alu instid0(VALU_DEP_1) | instskip(NEXT) | instid1(VALU_DEP_2)
	v_add_co_u32 v10, vcc_lo, v6, v10
	v_add_co_ci_u32_e32 v11, vcc_lo, v7, v11, vcc_lo
	global_load_b32 v1, v[10:11], off
	s_waitcnt vmcnt(0)
	v_fmac_f32_e32 v12, s12, v1
	global_store_b32 v[10:11], v12, off
.LBB48_44:
	s_cbranch_execz .LBB48_46
	s_branch .LBB48_50
.LBB48_45:
.LBB48_46:
	v_mul_f32_e32 v1, s6, v2
	s_and_b32 vcc_lo, exec_lo, s1
	s_mov_b32 s5, -1
	s_cbranch_vccz .LBB48_48
; %bb.47:
	v_lshlrev_b64 v[10:11], 2, v[4:5]
	s_mov_b32 s5, 0
	s_delay_alu instid0(VALU_DEP_1) | instskip(NEXT) | instid1(VALU_DEP_2)
	v_add_co_u32 v10, vcc_lo, v8, v10
	v_add_co_ci_u32_e32 v11, vcc_lo, v9, v11, vcc_lo
	global_store_b32 v[10:11], v1, off
.LBB48_48:
	s_and_not1_b32 vcc_lo, exec_lo, s5
	s_cbranch_vccnz .LBB48_50
; %bb.49:
	v_mul_lo_u32 v2, v5, s2
	v_mul_lo_u32 v5, v4, s3
	v_mad_u64_u32 v[10:11], null, v4, s2, 0
	s_delay_alu instid0(VALU_DEP_1) | instskip(NEXT) | instid1(VALU_DEP_1)
	v_add3_u32 v11, v11, v5, v2
	v_lshlrev_b64 v[4:5], 2, v[10:11]
	s_delay_alu instid0(VALU_DEP_1) | instskip(NEXT) | instid1(VALU_DEP_2)
	v_add_co_u32 v4, vcc_lo, v6, v4
	v_add_co_ci_u32_e32 v5, vcc_lo, v7, v5, vcc_lo
	global_store_b32 v[4:5], v1, off
.LBB48_50:
	s_or_b32 exec_lo, exec_lo, s0
	v_cmp_gt_i32_e32 vcc_lo, s11, v0
	s_and_b32 exec_lo, exec_lo, vcc_lo
	s_cbranch_execz .LBB48_57
; %bb.51:
	v_cndmask_b32_e64 v2, 0, 1, s1
	v_ashrrev_i32_e32 v1, 31, v0
	s_and_not1_b32 vcc_lo, exec_lo, s4
	s_delay_alu instid0(VALU_DEP_2)
	v_cmp_ne_u32_e64 s0, 1, v2
	s_cbranch_vccnz .LBB48_58
; %bb.52:
	s_delay_alu instid0(VALU_DEP_1)
	s_and_b32 vcc_lo, exec_lo, s0
	s_mov_b32 s0, -1
	s_cbranch_vccnz .LBB48_54
; %bb.53:
	v_lshlrev_b64 v[4:5], 2, v[0:1]
	v_mul_f32_e32 v10, s6, v3
	s_mov_b32 s0, 0
	s_delay_alu instid0(VALU_DEP_2) | instskip(NEXT) | instid1(VALU_DEP_3)
	v_add_co_u32 v4, vcc_lo, v8, v4
	v_add_co_ci_u32_e32 v5, vcc_lo, v9, v5, vcc_lo
	global_load_b32 v2, v[4:5], off
	s_waitcnt vmcnt(0)
	v_fmac_f32_e32 v10, s12, v2
	global_store_b32 v[4:5], v10, off
.LBB48_54:
	s_and_not1_b32 vcc_lo, exec_lo, s0
	s_cbranch_vccnz .LBB48_56
; %bb.55:
	v_mul_lo_u32 v2, v1, s2
	v_mul_lo_u32 v10, v0, s3
	v_mad_u64_u32 v[4:5], null, v0, s2, 0
	s_delay_alu instid0(VALU_DEP_1) | instskip(SKIP_1) | instid1(VALU_DEP_2)
	v_add3_u32 v5, v5, v10, v2
	v_mul_f32_e32 v10, s6, v3
	v_lshlrev_b64 v[4:5], 2, v[4:5]
	s_delay_alu instid0(VALU_DEP_1) | instskip(NEXT) | instid1(VALU_DEP_2)
	v_add_co_u32 v4, vcc_lo, v6, v4
	v_add_co_ci_u32_e32 v5, vcc_lo, v7, v5, vcc_lo
	global_load_b32 v2, v[4:5], off
	s_waitcnt vmcnt(0)
	v_fmac_f32_e32 v10, s12, v2
	global_store_b32 v[4:5], v10, off
.LBB48_56:
	s_cbranch_execz .LBB48_59
.LBB48_57:
	s_nop 0
	s_sendmsg sendmsg(MSG_DEALLOC_VGPRS)
	s_endpgm
.LBB48_58:
.LBB48_59:
	v_mul_f32_e32 v2, s6, v3
	s_and_not1_b32 vcc_lo, exec_lo, s1
	s_mov_b32 s0, -1
	s_cbranch_vccnz .LBB48_61
; %bb.60:
	v_lshlrev_b64 v[3:4], 2, v[0:1]
	s_mov_b32 s0, 0
	s_delay_alu instid0(VALU_DEP_1) | instskip(NEXT) | instid1(VALU_DEP_2)
	v_add_co_u32 v3, vcc_lo, v8, v3
	v_add_co_ci_u32_e32 v4, vcc_lo, v9, v4, vcc_lo
	global_store_b32 v[3:4], v2, off
.LBB48_61:
	s_and_not1_b32 vcc_lo, exec_lo, s0
	s_cbranch_vccnz .LBB48_57
; %bb.62:
	v_mul_lo_u32 v1, v1, s2
	v_mul_lo_u32 v5, v0, s3
	v_mad_u64_u32 v[3:4], null, v0, s2, 0
	s_delay_alu instid0(VALU_DEP_1) | instskip(NEXT) | instid1(VALU_DEP_1)
	v_add3_u32 v4, v4, v5, v1
	v_lshlrev_b64 v[0:1], 2, v[3:4]
	s_delay_alu instid0(VALU_DEP_1) | instskip(NEXT) | instid1(VALU_DEP_2)
	v_add_co_u32 v0, vcc_lo, v6, v0
	v_add_co_ci_u32_e32 v1, vcc_lo, v7, v1, vcc_lo
	global_store_b32 v[0:1], v2, off
	s_nop 0
	s_sendmsg sendmsg(MSG_DEALLOC_VGPRS)
	s_endpgm
	.section	.rodata,"a",@progbits
	.p2align	6, 0x0
	.amdhsa_kernel _ZN9rocsparseL31bsrmm_large_blockdim_kernel_extILj8ELj8ELj2EiiDF16_DF16_ffEEvb20rocsparse_direction_T3_S2_llNS_24const_host_device_scalarIT7_EEPKT2_PKS2_PKT4_S2_PKT5_llS5_PT6_ll16rocsparse_order_21rocsparse_index_base_b
		.amdhsa_group_segment_fixed_size 768
		.amdhsa_private_segment_fixed_size 0
		.amdhsa_kernarg_size 140
		.amdhsa_user_sgpr_count 14
		.amdhsa_user_sgpr_dispatch_ptr 0
		.amdhsa_user_sgpr_queue_ptr 0
		.amdhsa_user_sgpr_kernarg_segment_ptr 1
		.amdhsa_user_sgpr_dispatch_id 0
		.amdhsa_user_sgpr_private_segment_size 0
		.amdhsa_wavefront_size32 1
		.amdhsa_uses_dynamic_stack 0
		.amdhsa_enable_private_segment 0
		.amdhsa_system_sgpr_workgroup_id_x 1
		.amdhsa_system_sgpr_workgroup_id_y 1
		.amdhsa_system_sgpr_workgroup_id_z 0
		.amdhsa_system_sgpr_workgroup_info 0
		.amdhsa_system_vgpr_workitem_id 1
		.amdhsa_next_free_vgpr 37
		.amdhsa_next_free_sgpr 38
		.amdhsa_reserve_vcc 1
		.amdhsa_float_round_mode_32 0
		.amdhsa_float_round_mode_16_64 0
		.amdhsa_float_denorm_mode_32 3
		.amdhsa_float_denorm_mode_16_64 3
		.amdhsa_dx10_clamp 1
		.amdhsa_ieee_mode 1
		.amdhsa_fp16_overflow 0
		.amdhsa_workgroup_processor_mode 1
		.amdhsa_memory_ordered 1
		.amdhsa_forward_progress 0
		.amdhsa_shared_vgpr_count 0
		.amdhsa_exception_fp_ieee_invalid_op 0
		.amdhsa_exception_fp_denorm_src 0
		.amdhsa_exception_fp_ieee_div_zero 0
		.amdhsa_exception_fp_ieee_overflow 0
		.amdhsa_exception_fp_ieee_underflow 0
		.amdhsa_exception_fp_ieee_inexact 0
		.amdhsa_exception_int_div_zero 0
	.end_amdhsa_kernel
	.section	.text._ZN9rocsparseL31bsrmm_large_blockdim_kernel_extILj8ELj8ELj2EiiDF16_DF16_ffEEvb20rocsparse_direction_T3_S2_llNS_24const_host_device_scalarIT7_EEPKT2_PKS2_PKT4_S2_PKT5_llS5_PT6_ll16rocsparse_order_21rocsparse_index_base_b,"axG",@progbits,_ZN9rocsparseL31bsrmm_large_blockdim_kernel_extILj8ELj8ELj2EiiDF16_DF16_ffEEvb20rocsparse_direction_T3_S2_llNS_24const_host_device_scalarIT7_EEPKT2_PKS2_PKT4_S2_PKT5_llS5_PT6_ll16rocsparse_order_21rocsparse_index_base_b,comdat
.Lfunc_end48:
	.size	_ZN9rocsparseL31bsrmm_large_blockdim_kernel_extILj8ELj8ELj2EiiDF16_DF16_ffEEvb20rocsparse_direction_T3_S2_llNS_24const_host_device_scalarIT7_EEPKT2_PKS2_PKT4_S2_PKT5_llS5_PT6_ll16rocsparse_order_21rocsparse_index_base_b, .Lfunc_end48-_ZN9rocsparseL31bsrmm_large_blockdim_kernel_extILj8ELj8ELj2EiiDF16_DF16_ffEEvb20rocsparse_direction_T3_S2_llNS_24const_host_device_scalarIT7_EEPKT2_PKS2_PKT4_S2_PKT5_llS5_PT6_ll16rocsparse_order_21rocsparse_index_base_b
                                        ; -- End function
	.section	.AMDGPU.csdata,"",@progbits
; Kernel info:
; codeLenInByte = 2424
; NumSgprs: 40
; NumVgprs: 37
; ScratchSize: 0
; MemoryBound: 0
; FloatMode: 240
; IeeeMode: 1
; LDSByteSize: 768 bytes/workgroup (compile time only)
; SGPRBlocks: 4
; VGPRBlocks: 4
; NumSGPRsForWavesPerEU: 40
; NumVGPRsForWavesPerEU: 37
; Occupancy: 16
; WaveLimiterHint : 1
; COMPUTE_PGM_RSRC2:SCRATCH_EN: 0
; COMPUTE_PGM_RSRC2:USER_SGPR: 14
; COMPUTE_PGM_RSRC2:TRAP_HANDLER: 0
; COMPUTE_PGM_RSRC2:TGID_X_EN: 1
; COMPUTE_PGM_RSRC2:TGID_Y_EN: 1
; COMPUTE_PGM_RSRC2:TGID_Z_EN: 0
; COMPUTE_PGM_RSRC2:TIDIG_COMP_CNT: 1
	.section	.text._ZN9rocsparseL31bsrmm_large_blockdim_kernel_extILj4ELj16ELj2EiiDF16_DF16_ffEEvb20rocsparse_direction_T3_S2_llNS_24const_host_device_scalarIT7_EEPKT2_PKS2_PKT4_S2_PKT5_llS5_PT6_ll16rocsparse_order_21rocsparse_index_base_b,"axG",@progbits,_ZN9rocsparseL31bsrmm_large_blockdim_kernel_extILj4ELj16ELj2EiiDF16_DF16_ffEEvb20rocsparse_direction_T3_S2_llNS_24const_host_device_scalarIT7_EEPKT2_PKS2_PKT4_S2_PKT5_llS5_PT6_ll16rocsparse_order_21rocsparse_index_base_b,comdat
	.globl	_ZN9rocsparseL31bsrmm_large_blockdim_kernel_extILj4ELj16ELj2EiiDF16_DF16_ffEEvb20rocsparse_direction_T3_S2_llNS_24const_host_device_scalarIT7_EEPKT2_PKS2_PKT4_S2_PKT5_llS5_PT6_ll16rocsparse_order_21rocsparse_index_base_b ; -- Begin function _ZN9rocsparseL31bsrmm_large_blockdim_kernel_extILj4ELj16ELj2EiiDF16_DF16_ffEEvb20rocsparse_direction_T3_S2_llNS_24const_host_device_scalarIT7_EEPKT2_PKS2_PKT4_S2_PKT5_llS5_PT6_ll16rocsparse_order_21rocsparse_index_base_b
	.p2align	8
	.type	_ZN9rocsparseL31bsrmm_large_blockdim_kernel_extILj4ELj16ELj2EiiDF16_DF16_ffEEvb20rocsparse_direction_T3_S2_llNS_24const_host_device_scalarIT7_EEPKT2_PKS2_PKT4_S2_PKT5_llS5_PT6_ll16rocsparse_order_21rocsparse_index_base_b,@function
_ZN9rocsparseL31bsrmm_large_blockdim_kernel_extILj4ELj16ELj2EiiDF16_DF16_ffEEvb20rocsparse_direction_T3_S2_llNS_24const_host_device_scalarIT7_EEPKT2_PKS2_PKT4_S2_PKT5_llS5_PT6_ll16rocsparse_order_21rocsparse_index_base_b: ; @_ZN9rocsparseL31bsrmm_large_blockdim_kernel_extILj4ELj16ELj2EiiDF16_DF16_ffEEvb20rocsparse_direction_T3_S2_llNS_24const_host_device_scalarIT7_EEPKT2_PKS2_PKT4_S2_PKT5_llS5_PT6_ll16rocsparse_order_21rocsparse_index_base_b
; %bb.0:
	s_clause 0x2
	s_load_b128 s[16:19], s[0:1], 0x80
	s_load_b64 s[6:7], s[0:1], 0x20
	s_load_b64 s[12:13], s[0:1], 0x60
	s_mov_b32 s2, s15
	s_waitcnt lgkmcnt(0)
	s_bitcmp1_b32 s18, 0
	s_cselect_b32 s3, -1, 0
	s_delay_alu instid0(SALU_CYCLE_1)
	s_and_b32 vcc_lo, exec_lo, s3
	s_xor_b32 s3, s3, -1
	s_cbranch_vccnz .LBB49_2
; %bb.1:
	s_load_b32 s6, s[6:7], 0x0
.LBB49_2:
	s_and_not1_b32 vcc_lo, exec_lo, s3
	s_cbranch_vccnz .LBB49_4
; %bb.3:
	s_load_b32 s12, s[12:13], 0x0
.LBB49_4:
	s_waitcnt lgkmcnt(0)
	v_cmp_eq_f32_e64 s3, s6, 0
	v_cmp_eq_f32_e64 s4, s12, 1.0
	s_mov_b32 s18, 0
	s_delay_alu instid0(VALU_DEP_1) | instskip(NEXT) | instid1(SALU_CYCLE_1)
	s_and_b32 s3, s3, s4
	s_and_b32 vcc_lo, exec_lo, s3
	s_cbranch_vccnz .LBB49_57
; %bb.5:
	s_clause 0x1
	s_load_b128 s[8:11], s[0:1], 0x0
	s_load_b64 s[4:5], s[0:1], 0x28
	s_waitcnt lgkmcnt(0)
	s_cmp_lt_i32 s14, s10
	s_cselect_b32 s7, -1, 0
	s_cmp_ge_i32 s14, s10
	s_cbranch_scc1 .LBB49_7
; %bb.6:
	s_ashr_i32 s15, s14, 31
	s_delay_alu instid0(SALU_CYCLE_1) | instskip(NEXT) | instid1(SALU_CYCLE_1)
	s_lshl_b64 s[18:19], s[14:15], 2
	s_add_u32 s18, s4, s18
	s_addc_u32 s19, s5, s19
	s_load_b32 s3, s[18:19], 0x0
	s_waitcnt lgkmcnt(0)
	s_sub_i32 s18, s3, s17
.LBB49_7:
	s_mov_b32 s20, 0
	s_and_not1_b32 vcc_lo, exec_lo, s7
	s_mov_b32 s13, 0
	s_cbranch_vccnz .LBB49_9
; %bb.8:
	s_ashr_i32 s15, s14, 31
	s_delay_alu instid0(SALU_CYCLE_1) | instskip(NEXT) | instid1(SALU_CYCLE_1)
	s_lshl_b64 s[22:23], s[14:15], 2
	s_add_u32 s4, s4, s22
	s_addc_u32 s5, s5, s23
	s_load_b32 s3, s[4:5], 0x4
	s_waitcnt lgkmcnt(0)
	s_sub_i32 s13, s3, s17
.LBB49_9:
	s_clause 0x1
	s_load_b32 s10, s[0:1], 0x40
	s_load_b64 s[28:29], s[0:1], 0x68
	v_bfe_u32 v8, v0, 10, 10
	s_mov_b32 s21, s20
	v_and_b32_e32 v6, 0x3ff, v0
	v_dual_mov_b32 v2, s20 :: v_dual_mov_b32 v3, s21
	s_delay_alu instid0(VALU_DEP_3) | instskip(SKIP_1) | instid1(VALU_DEP_1)
	v_lshl_add_u32 v4, s2, 5, v8
	s_cmp_ge_i32 s18, s13
	v_add_nc_u32_e32 v0, 16, v4
	v_cmp_gt_i32_e64 s3, s11, v4
	s_delay_alu instid0(VALU_DEP_2)
	v_cmp_gt_i32_e64 s4, s11, v0
	s_waitcnt lgkmcnt(0)
	v_cmp_gt_i32_e64 s2, s10, v6
	s_cbranch_scc1 .LBB49_37
; %bb.10:
	s_clause 0x1
	s_load_b128 s[20:23], s[0:1], 0x48
	s_load_b128 s[24:27], s[0:1], 0x30
	s_mov_b32 s34, 0
	v_ashrrev_i32_e32 v5, 31, v4
	v_ashrrev_i32_e32 v1, 31, v0
	s_mov_b32 s35, s34
	v_lshlrev_b32_e32 v7, 2, v8
	v_cmp_gt_i32_e32 vcc_lo, s10, v8
	v_mad_u64_u32 v[9:10], null, v6, s10, v[8:9]
	s_mul_i32 s33, s10, s10
	s_delay_alu instid0(VALU_DEP_3)
	v_mad_u64_u32 v[2:3], null, v8, s10, v[6:7]
	s_and_b32 s15, s2, vcc_lo
	s_bitcmp1_b32 s8, 0
	v_lshl_add_u32 v3, v6, 2, v8
	s_cselect_b32 s5, -1, 0
	s_cmp_eq_u32 s9, 0
	v_add_lshl_u32 v17, v7, v6, 2
	s_cselect_b32 vcc_lo, -1, 0
	s_waitcnt lgkmcnt(0)
	v_mul_lo_u32 v14, v4, s23
	v_mul_lo_u32 v15, v5, s22
	v_mad_u64_u32 v[10:11], null, v4, s22, 0
	v_mul_lo_u32 v18, v0, s23
	v_mul_lo_u32 v19, v1, s22
	v_mad_u64_u32 v[12:13], null, v0, s22, 0
	v_cndmask_b32_e32 v7, v2, v9, vcc_lo
	s_add_i32 s9, s10, -1
	v_add3_u32 v11, v11, v14, v15
	s_and_b32 s8, s10, 7
	s_cmp_gt_u32 s9, 6
	v_lshl_add_u32 v16, v3, 2, 0x200
	s_delay_alu instid0(VALU_DEP_4)
	v_add3_u32 v13, v13, v18, v19
	v_lshlrev_b32_e32 v18, 4, v8
	v_mov_b32_e32 v2, s34
	v_lshlrev_b64 v[8:9], 1, v[10:11]
	v_lshlrev_b64 v[10:11], 1, v[4:5]
	;; [unrolled: 1-line block ×4, first 2 shown]
	s_cselect_b32 s9, -1, 0
	s_and_b32 s30, s10, -8
	v_lshl_add_u32 v19, v6, 4, 0x200
	v_dual_mov_b32 v3, s35 :: v_dual_add_nc_u32 v20, 0x100, v18
	s_cmp_lg_u32 s8, 0
	s_cselect_b32 s31, -1, 0
	s_branch .LBB49_13
.LBB49_11:                              ;   in Loop: Header=BB49_13 Depth=1
	s_or_b32 exec_lo, exec_lo, s34
.LBB49_12:                              ;   in Loop: Header=BB49_13 Depth=1
	s_delay_alu instid0(SALU_CYCLE_1) | instskip(SKIP_1) | instid1(SALU_CYCLE_1)
	s_or_b32 exec_lo, exec_lo, s19
	s_add_i32 s18, s18, 1
	s_cmp_ge_i32 s18, s13
	s_barrier
	buffer_gl0_inv
	s_cbranch_scc1 .LBB49_37
.LBB49_13:                              ; =>This Loop Header: Depth=1
                                        ;     Child Loop BB49_24 Depth 2
                                        ;     Child Loop BB49_28 Depth 2
	;; [unrolled: 1-line block ×4, first 2 shown]
	s_and_saveexec_b32 s34, s2
	s_cbranch_execz .LBB49_18
; %bb.14:                               ;   in Loop: Header=BB49_13 Depth=1
	s_ashr_i32 s19, s18, 31
	s_delay_alu instid0(SALU_CYCLE_1) | instskip(NEXT) | instid1(SALU_CYCLE_1)
	s_lshl_b64 s[36:37], s[18:19], 2
	s_add_u32 s36, s24, s36
	s_addc_u32 s37, s25, s37
	s_load_b32 s19, s[36:37], 0x0
	s_waitcnt lgkmcnt(0)
	s_sub_i32 s19, s19, s17
	s_delay_alu instid0(SALU_CYCLE_1) | instskip(NEXT) | instid1(VALU_DEP_1)
	v_mad_u64_u32 v[21:22], null, s19, s10, v[6:7]
	v_ashrrev_i32_e32 v22, 31, v21
	v_mul_lo_u32 v1, v21, s23
	v_mad_u64_u32 v[23:24], null, v21, s22, 0
	s_delay_alu instid0(VALU_DEP_3) | instskip(SKIP_1) | instid1(VALU_DEP_2)
	v_mul_lo_u32 v5, v22, s22
	v_lshlrev_b64 v[21:22], 1, v[21:22]
	v_add3_u32 v24, v24, v1, v5
	s_delay_alu instid0(VALU_DEP_1) | instskip(NEXT) | instid1(VALU_DEP_1)
	v_lshlrev_b64 v[23:24], 1, v[23:24]
	v_add_co_u32 v1, vcc_lo, s20, v23
	s_delay_alu instid0(VALU_DEP_2)
	v_add_co_ci_u32_e32 v5, vcc_lo, s21, v24, vcc_lo
	v_add_co_u32 v21, vcc_lo, s20, v21
	v_add_co_ci_u32_e32 v22, vcc_lo, s21, v22, vcc_lo
	s_and_saveexec_b32 s19, s3
	s_cbranch_execz .LBB49_16
; %bb.15:                               ;   in Loop: Header=BB49_13 Depth=1
	s_delay_alu instid0(VALU_DEP_2) | instskip(NEXT) | instid1(VALU_DEP_2)
	v_add_co_u32 v23, vcc_lo, v21, v8
	v_add_co_ci_u32_e32 v24, vcc_lo, v22, v9, vcc_lo
	v_add_co_u32 v25, vcc_lo, v1, v10
	v_add_co_ci_u32_e32 v26, vcc_lo, v5, v11, vcc_lo
	s_delay_alu instid0(VALU_DEP_2) | instskip(NEXT) | instid1(VALU_DEP_2)
	v_cndmask_b32_e64 v23, v25, v23, s5
	v_cndmask_b32_e64 v24, v26, v24, s5
	global_load_u16 v23, v[23:24], off
	s_waitcnt vmcnt(0)
	v_cvt_f32_f16_e32 v23, v23
	ds_store_b32 v17, v23
.LBB49_16:                              ;   in Loop: Header=BB49_13 Depth=1
	s_or_b32 exec_lo, exec_lo, s19
	s_delay_alu instid0(SALU_CYCLE_1)
	s_and_b32 exec_lo, exec_lo, s4
	s_cbranch_execz .LBB49_18
; %bb.17:                               ;   in Loop: Header=BB49_13 Depth=1
	v_add_co_u32 v21, vcc_lo, v21, v12
	v_add_co_ci_u32_e32 v22, vcc_lo, v22, v13, vcc_lo
	v_add_co_u32 v1, vcc_lo, v1, v14
	v_add_co_ci_u32_e32 v5, vcc_lo, v5, v15, vcc_lo
	s_delay_alu instid0(VALU_DEP_2) | instskip(NEXT) | instid1(VALU_DEP_2)
	v_cndmask_b32_e64 v21, v1, v21, s5
	v_cndmask_b32_e64 v22, v5, v22, s5
	global_load_u16 v1, v[21:22], off
	s_waitcnt vmcnt(0)
	v_cvt_f32_f16_e32 v1, v1
	ds_store_b32 v17, v1 offset:256
.LBB49_18:                              ;   in Loop: Header=BB49_13 Depth=1
	s_or_b32 exec_lo, exec_lo, s34
	s_and_saveexec_b32 s19, s15
	s_cbranch_execz .LBB49_20
; %bb.19:                               ;   in Loop: Header=BB49_13 Depth=1
	v_mad_u64_u32 v[21:22], null, s33, s18, v[7:8]
	s_delay_alu instid0(VALU_DEP_1) | instskip(NEXT) | instid1(VALU_DEP_1)
	v_ashrrev_i32_e32 v22, 31, v21
	v_lshlrev_b64 v[21:22], 1, v[21:22]
	s_delay_alu instid0(VALU_DEP_1) | instskip(NEXT) | instid1(VALU_DEP_2)
	v_add_co_u32 v21, vcc_lo, s26, v21
	v_add_co_ci_u32_e32 v22, vcc_lo, s27, v22, vcc_lo
	global_load_u16 v1, v[21:22], off
	s_waitcnt vmcnt(0)
	v_cvt_f32_f16_e32 v1, v1
	ds_store_b32 v16, v1
.LBB49_20:                              ;   in Loop: Header=BB49_13 Depth=1
	s_or_b32 exec_lo, exec_lo, s19
	s_waitcnt lgkmcnt(0)
	s_barrier
	buffer_gl0_inv
	s_and_saveexec_b32 s19, s2
	s_cbranch_execz .LBB49_12
; %bb.21:                               ;   in Loop: Header=BB49_13 Depth=1
	s_and_saveexec_b32 s34, s3
	s_cbranch_execz .LBB49_29
; %bb.22:                               ;   in Loop: Header=BB49_13 Depth=1
	s_and_not1_b32 vcc_lo, exec_lo, s9
	s_cbranch_vccnz .LBB49_26
; %bb.23:                               ;   in Loop: Header=BB49_13 Depth=1
	v_mov_b32_e32 v1, v19
	v_mov_b32_e32 v5, v18
	s_mov_b32 s35, 0
	.p2align	6
.LBB49_24:                              ;   Parent Loop BB49_13 Depth=1
                                        ; =>  This Inner Loop Header: Depth=2
	ds_load_b128 v[21:24], v5
	ds_load_b128 v[25:28], v1
	ds_load_b128 v[29:32], v1 offset:16
	ds_load_b128 v[33:36], v5 offset:16
	s_add_i32 s35, s35, 8
	v_add_nc_u32_e32 v5, 32, v5
	s_cmp_lg_u32 s30, s35
	v_add_nc_u32_e32 v1, 32, v1
	s_waitcnt lgkmcnt(2)
	v_fma_f32 v2, v25, v21, v2
	s_delay_alu instid0(VALU_DEP_1) | instskip(NEXT) | instid1(VALU_DEP_1)
	v_fmac_f32_e32 v2, v26, v22
	v_fmac_f32_e32 v2, v27, v23
	s_delay_alu instid0(VALU_DEP_1) | instskip(SKIP_1) | instid1(VALU_DEP_1)
	v_fmac_f32_e32 v2, v28, v24
	s_waitcnt lgkmcnt(0)
	v_fmac_f32_e32 v2, v29, v33
	s_delay_alu instid0(VALU_DEP_1) | instskip(NEXT) | instid1(VALU_DEP_1)
	v_fmac_f32_e32 v2, v30, v34
	v_fmac_f32_e32 v2, v31, v35
	s_delay_alu instid0(VALU_DEP_1)
	v_fmac_f32_e32 v2, v32, v36
	s_cbranch_scc1 .LBB49_24
; %bb.25:                               ;   in Loop: Header=BB49_13 Depth=1
	s_mov_b32 s35, s30
	s_and_not1_b32 vcc_lo, exec_lo, s31
	s_cbranch_vccz .LBB49_27
	s_branch .LBB49_29
.LBB49_26:                              ;   in Loop: Header=BB49_13 Depth=1
	s_mov_b32 s35, 0
	s_and_not1_b32 vcc_lo, exec_lo, s31
	s_cbranch_vccnz .LBB49_29
.LBB49_27:                              ;   in Loop: Header=BB49_13 Depth=1
	s_lshl_b32 s35, s35, 2
	s_delay_alu instid0(SALU_CYCLE_1)
	v_add_nc_u32_e32 v1, s35, v18
	v_add_nc_u32_e32 v5, s35, v19
	s_mov_b32 s35, s8
.LBB49_28:                              ;   Parent Loop BB49_13 Depth=1
                                        ; =>  This Inner Loop Header: Depth=2
	ds_load_b32 v21, v5
	ds_load_b32 v22, v1
	v_add_nc_u32_e32 v1, 4, v1
	v_add_nc_u32_e32 v5, 4, v5
	s_add_i32 s35, s35, -1
	s_delay_alu instid0(SALU_CYCLE_1)
	s_cmp_lg_u32 s35, 0
	s_waitcnt lgkmcnt(0)
	v_fma_f32 v2, v21, v22, v2
	s_cbranch_scc1 .LBB49_28
.LBB49_29:                              ;   in Loop: Header=BB49_13 Depth=1
	s_or_b32 exec_lo, exec_lo, s34
	s_and_saveexec_b32 s34, s4
	s_cbranch_execz .LBB49_11
; %bb.30:                               ;   in Loop: Header=BB49_13 Depth=1
	s_and_not1_b32 vcc_lo, exec_lo, s9
	s_cbranch_vccnz .LBB49_34
; %bb.31:                               ;   in Loop: Header=BB49_13 Depth=1
	v_mov_b32_e32 v1, v19
	v_mov_b32_e32 v5, v20
	s_mov_b32 s35, 0
	.p2align	6
.LBB49_32:                              ;   Parent Loop BB49_13 Depth=1
                                        ; =>  This Inner Loop Header: Depth=2
	ds_load_b128 v[21:24], v5
	ds_load_b128 v[25:28], v1
	ds_load_b128 v[29:32], v1 offset:16
	ds_load_b128 v[33:36], v5 offset:16
	v_add_nc_u32_e32 v5, 32, v5
	v_add_nc_u32_e32 v1, 32, v1
	s_add_i32 s35, s35, 8
	s_delay_alu instid0(SALU_CYCLE_1) | instskip(SKIP_2) | instid1(VALU_DEP_1)
	s_cmp_lg_u32 s30, s35
	s_waitcnt lgkmcnt(2)
	v_fma_f32 v3, v25, v21, v3
	v_fmac_f32_e32 v3, v26, v22
	s_delay_alu instid0(VALU_DEP_1) | instskip(NEXT) | instid1(VALU_DEP_1)
	v_fmac_f32_e32 v3, v27, v23
	v_fmac_f32_e32 v3, v28, v24
	s_waitcnt lgkmcnt(0)
	s_delay_alu instid0(VALU_DEP_1) | instskip(NEXT) | instid1(VALU_DEP_1)
	v_fmac_f32_e32 v3, v29, v33
	v_fmac_f32_e32 v3, v30, v34
	s_delay_alu instid0(VALU_DEP_1) | instskip(NEXT) | instid1(VALU_DEP_1)
	v_fmac_f32_e32 v3, v31, v35
	v_fmac_f32_e32 v3, v32, v36
	s_cbranch_scc1 .LBB49_32
; %bb.33:                               ;   in Loop: Header=BB49_13 Depth=1
	s_mov_b32 s35, s30
	s_and_not1_b32 vcc_lo, exec_lo, s31
	s_cbranch_vccz .LBB49_35
	s_branch .LBB49_11
.LBB49_34:                              ;   in Loop: Header=BB49_13 Depth=1
	s_mov_b32 s35, 0
	s_and_not1_b32 vcc_lo, exec_lo, s31
	s_cbranch_vccnz .LBB49_11
.LBB49_35:                              ;   in Loop: Header=BB49_13 Depth=1
	s_lshl_b32 s35, s35, 2
	s_delay_alu instid0(SALU_CYCLE_1)
	v_add_nc_u32_e32 v1, s35, v20
	v_add_nc_u32_e32 v5, s35, v19
	s_mov_b32 s35, s8
.LBB49_36:                              ;   Parent Loop BB49_13 Depth=1
                                        ; =>  This Inner Loop Header: Depth=2
	ds_load_b32 v21, v5
	ds_load_b32 v22, v1
	v_add_nc_u32_e32 v1, 4, v1
	v_add_nc_u32_e32 v5, 4, v5
	s_add_i32 s35, s35, -1
	s_delay_alu instid0(SALU_CYCLE_1)
	s_cmp_lg_u32 s35, 0
	s_waitcnt lgkmcnt(0)
	v_fma_f32 v3, v21, v22, v3
	s_cbranch_scc1 .LBB49_36
	s_branch .LBB49_11
.LBB49_37:
	s_delay_alu instid0(VALU_DEP_1) | instskip(NEXT) | instid1(SALU_CYCLE_1)
	s_and_b32 s2, s7, s2
	s_and_saveexec_b32 s3, s2
	s_cbranch_execz .LBB49_57
; %bb.38:
	s_load_b64 s[2:3], s[0:1], 0x70
	v_mad_u64_u32 v[7:8], null, s14, s10, v[6:7]
	v_cmp_neq_f32_e64 s4, s12, 0
	s_cmp_lg_u32 s16, 1
	s_mov_b32 s0, exec_lo
	s_cselect_b32 s1, -1, 0
	s_delay_alu instid0(VALU_DEP_2) | instskip(SKIP_1) | instid1(VALU_DEP_1)
	v_ashrrev_i32_e32 v8, 31, v7
	s_waitcnt lgkmcnt(0)
	v_mul_lo_u32 v1, v8, s2
	v_mul_lo_u32 v9, v7, s3
	v_mad_u64_u32 v[5:6], null, v7, s2, 0
	v_lshlrev_b64 v[7:8], 2, v[7:8]
	s_delay_alu instid0(VALU_DEP_2) | instskip(NEXT) | instid1(VALU_DEP_1)
	v_add3_u32 v6, v6, v9, v1
	v_lshlrev_b64 v[9:10], 2, v[5:6]
	s_delay_alu instid0(VALU_DEP_3) | instskip(NEXT) | instid1(VALU_DEP_4)
	v_add_co_u32 v6, vcc_lo, s28, v7
	v_add_co_ci_u32_e32 v7, vcc_lo, s29, v8, vcc_lo
	s_delay_alu instid0(VALU_DEP_3) | instskip(NEXT) | instid1(VALU_DEP_4)
	v_add_co_u32 v8, vcc_lo, s28, v9
	v_add_co_ci_u32_e32 v9, vcc_lo, s29, v10, vcc_lo
	v_cmpx_gt_i32_e64 s11, v4
	s_cbranch_execz .LBB49_50
; %bb.39:
	v_ashrrev_i32_e32 v5, 31, v4
	s_and_b32 vcc_lo, exec_lo, s4
	s_cbranch_vccz .LBB49_45
; %bb.40:
	s_and_b32 vcc_lo, exec_lo, s1
	s_mov_b32 s5, -1
	s_cbranch_vccz .LBB49_42
; %bb.41:
	v_lshlrev_b64 v[10:11], 2, v[4:5]
	v_mul_f32_e32 v12, s6, v2
	s_mov_b32 s5, 0
	s_delay_alu instid0(VALU_DEP_2) | instskip(NEXT) | instid1(VALU_DEP_3)
	v_add_co_u32 v10, vcc_lo, v8, v10
	v_add_co_ci_u32_e32 v11, vcc_lo, v9, v11, vcc_lo
	global_load_b32 v1, v[10:11], off
	s_waitcnt vmcnt(0)
	v_fmac_f32_e32 v12, s12, v1
	global_store_b32 v[10:11], v12, off
.LBB49_42:
	s_and_not1_b32 vcc_lo, exec_lo, s5
	s_cbranch_vccnz .LBB49_44
; %bb.43:
	v_mul_lo_u32 v1, v5, s2
	v_mul_lo_u32 v12, v4, s3
	v_mad_u64_u32 v[10:11], null, v4, s2, 0
	s_delay_alu instid0(VALU_DEP_1) | instskip(SKIP_1) | instid1(VALU_DEP_2)
	v_add3_u32 v11, v11, v12, v1
	v_mul_f32_e32 v12, s6, v2
	v_lshlrev_b64 v[10:11], 2, v[10:11]
	s_delay_alu instid0(VALU_DEP_1) | instskip(NEXT) | instid1(VALU_DEP_2)
	v_add_co_u32 v10, vcc_lo, v6, v10
	v_add_co_ci_u32_e32 v11, vcc_lo, v7, v11, vcc_lo
	global_load_b32 v1, v[10:11], off
	s_waitcnt vmcnt(0)
	v_fmac_f32_e32 v12, s12, v1
	global_store_b32 v[10:11], v12, off
.LBB49_44:
	s_cbranch_execz .LBB49_46
	s_branch .LBB49_50
.LBB49_45:
.LBB49_46:
	v_mul_f32_e32 v1, s6, v2
	s_and_b32 vcc_lo, exec_lo, s1
	s_mov_b32 s5, -1
	s_cbranch_vccz .LBB49_48
; %bb.47:
	v_lshlrev_b64 v[10:11], 2, v[4:5]
	s_mov_b32 s5, 0
	s_delay_alu instid0(VALU_DEP_1) | instskip(NEXT) | instid1(VALU_DEP_2)
	v_add_co_u32 v10, vcc_lo, v8, v10
	v_add_co_ci_u32_e32 v11, vcc_lo, v9, v11, vcc_lo
	global_store_b32 v[10:11], v1, off
.LBB49_48:
	s_and_not1_b32 vcc_lo, exec_lo, s5
	s_cbranch_vccnz .LBB49_50
; %bb.49:
	v_mul_lo_u32 v2, v5, s2
	v_mul_lo_u32 v5, v4, s3
	v_mad_u64_u32 v[10:11], null, v4, s2, 0
	s_delay_alu instid0(VALU_DEP_1) | instskip(NEXT) | instid1(VALU_DEP_1)
	v_add3_u32 v11, v11, v5, v2
	v_lshlrev_b64 v[4:5], 2, v[10:11]
	s_delay_alu instid0(VALU_DEP_1) | instskip(NEXT) | instid1(VALU_DEP_2)
	v_add_co_u32 v4, vcc_lo, v6, v4
	v_add_co_ci_u32_e32 v5, vcc_lo, v7, v5, vcc_lo
	global_store_b32 v[4:5], v1, off
.LBB49_50:
	s_or_b32 exec_lo, exec_lo, s0
	v_cmp_gt_i32_e32 vcc_lo, s11, v0
	s_and_b32 exec_lo, exec_lo, vcc_lo
	s_cbranch_execz .LBB49_57
; %bb.51:
	v_cndmask_b32_e64 v2, 0, 1, s1
	v_ashrrev_i32_e32 v1, 31, v0
	s_and_not1_b32 vcc_lo, exec_lo, s4
	s_delay_alu instid0(VALU_DEP_2)
	v_cmp_ne_u32_e64 s0, 1, v2
	s_cbranch_vccnz .LBB49_58
; %bb.52:
	s_delay_alu instid0(VALU_DEP_1)
	s_and_b32 vcc_lo, exec_lo, s0
	s_mov_b32 s0, -1
	s_cbranch_vccnz .LBB49_54
; %bb.53:
	v_lshlrev_b64 v[4:5], 2, v[0:1]
	v_mul_f32_e32 v10, s6, v3
	s_mov_b32 s0, 0
	s_delay_alu instid0(VALU_DEP_2) | instskip(NEXT) | instid1(VALU_DEP_3)
	v_add_co_u32 v4, vcc_lo, v8, v4
	v_add_co_ci_u32_e32 v5, vcc_lo, v9, v5, vcc_lo
	global_load_b32 v2, v[4:5], off
	s_waitcnt vmcnt(0)
	v_fmac_f32_e32 v10, s12, v2
	global_store_b32 v[4:5], v10, off
.LBB49_54:
	s_and_not1_b32 vcc_lo, exec_lo, s0
	s_cbranch_vccnz .LBB49_56
; %bb.55:
	v_mul_lo_u32 v2, v1, s2
	v_mul_lo_u32 v10, v0, s3
	v_mad_u64_u32 v[4:5], null, v0, s2, 0
	s_delay_alu instid0(VALU_DEP_1) | instskip(SKIP_1) | instid1(VALU_DEP_2)
	v_add3_u32 v5, v5, v10, v2
	v_mul_f32_e32 v10, s6, v3
	v_lshlrev_b64 v[4:5], 2, v[4:5]
	s_delay_alu instid0(VALU_DEP_1) | instskip(NEXT) | instid1(VALU_DEP_2)
	v_add_co_u32 v4, vcc_lo, v6, v4
	v_add_co_ci_u32_e32 v5, vcc_lo, v7, v5, vcc_lo
	global_load_b32 v2, v[4:5], off
	s_waitcnt vmcnt(0)
	v_fmac_f32_e32 v10, s12, v2
	global_store_b32 v[4:5], v10, off
.LBB49_56:
	s_cbranch_execz .LBB49_59
.LBB49_57:
	s_nop 0
	s_sendmsg sendmsg(MSG_DEALLOC_VGPRS)
	s_endpgm
.LBB49_58:
.LBB49_59:
	v_mul_f32_e32 v2, s6, v3
	s_and_not1_b32 vcc_lo, exec_lo, s1
	s_mov_b32 s0, -1
	s_cbranch_vccnz .LBB49_61
; %bb.60:
	v_lshlrev_b64 v[3:4], 2, v[0:1]
	s_mov_b32 s0, 0
	s_delay_alu instid0(VALU_DEP_1) | instskip(NEXT) | instid1(VALU_DEP_2)
	v_add_co_u32 v3, vcc_lo, v8, v3
	v_add_co_ci_u32_e32 v4, vcc_lo, v9, v4, vcc_lo
	global_store_b32 v[3:4], v2, off
.LBB49_61:
	s_and_not1_b32 vcc_lo, exec_lo, s0
	s_cbranch_vccnz .LBB49_57
; %bb.62:
	v_mul_lo_u32 v1, v1, s2
	v_mul_lo_u32 v5, v0, s3
	v_mad_u64_u32 v[3:4], null, v0, s2, 0
	s_delay_alu instid0(VALU_DEP_1) | instskip(NEXT) | instid1(VALU_DEP_1)
	v_add3_u32 v4, v4, v5, v1
	v_lshlrev_b64 v[0:1], 2, v[3:4]
	s_delay_alu instid0(VALU_DEP_1) | instskip(NEXT) | instid1(VALU_DEP_2)
	v_add_co_u32 v0, vcc_lo, v6, v0
	v_add_co_ci_u32_e32 v1, vcc_lo, v7, v1, vcc_lo
	global_store_b32 v[0:1], v2, off
	s_nop 0
	s_sendmsg sendmsg(MSG_DEALLOC_VGPRS)
	s_endpgm
	.section	.rodata,"a",@progbits
	.p2align	6, 0x0
	.amdhsa_kernel _ZN9rocsparseL31bsrmm_large_blockdim_kernel_extILj4ELj16ELj2EiiDF16_DF16_ffEEvb20rocsparse_direction_T3_S2_llNS_24const_host_device_scalarIT7_EEPKT2_PKS2_PKT4_S2_PKT5_llS5_PT6_ll16rocsparse_order_21rocsparse_index_base_b
		.amdhsa_group_segment_fixed_size 576
		.amdhsa_private_segment_fixed_size 0
		.amdhsa_kernarg_size 140
		.amdhsa_user_sgpr_count 14
		.amdhsa_user_sgpr_dispatch_ptr 0
		.amdhsa_user_sgpr_queue_ptr 0
		.amdhsa_user_sgpr_kernarg_segment_ptr 1
		.amdhsa_user_sgpr_dispatch_id 0
		.amdhsa_user_sgpr_private_segment_size 0
		.amdhsa_wavefront_size32 1
		.amdhsa_uses_dynamic_stack 0
		.amdhsa_enable_private_segment 0
		.amdhsa_system_sgpr_workgroup_id_x 1
		.amdhsa_system_sgpr_workgroup_id_y 1
		.amdhsa_system_sgpr_workgroup_id_z 0
		.amdhsa_system_sgpr_workgroup_info 0
		.amdhsa_system_vgpr_workitem_id 1
		.amdhsa_next_free_vgpr 37
		.amdhsa_next_free_sgpr 38
		.amdhsa_reserve_vcc 1
		.amdhsa_float_round_mode_32 0
		.amdhsa_float_round_mode_16_64 0
		.amdhsa_float_denorm_mode_32 3
		.amdhsa_float_denorm_mode_16_64 3
		.amdhsa_dx10_clamp 1
		.amdhsa_ieee_mode 1
		.amdhsa_fp16_overflow 0
		.amdhsa_workgroup_processor_mode 1
		.amdhsa_memory_ordered 1
		.amdhsa_forward_progress 0
		.amdhsa_shared_vgpr_count 0
		.amdhsa_exception_fp_ieee_invalid_op 0
		.amdhsa_exception_fp_denorm_src 0
		.amdhsa_exception_fp_ieee_div_zero 0
		.amdhsa_exception_fp_ieee_overflow 0
		.amdhsa_exception_fp_ieee_underflow 0
		.amdhsa_exception_fp_ieee_inexact 0
		.amdhsa_exception_int_div_zero 0
	.end_amdhsa_kernel
	.section	.text._ZN9rocsparseL31bsrmm_large_blockdim_kernel_extILj4ELj16ELj2EiiDF16_DF16_ffEEvb20rocsparse_direction_T3_S2_llNS_24const_host_device_scalarIT7_EEPKT2_PKS2_PKT4_S2_PKT5_llS5_PT6_ll16rocsparse_order_21rocsparse_index_base_b,"axG",@progbits,_ZN9rocsparseL31bsrmm_large_blockdim_kernel_extILj4ELj16ELj2EiiDF16_DF16_ffEEvb20rocsparse_direction_T3_S2_llNS_24const_host_device_scalarIT7_EEPKT2_PKS2_PKT4_S2_PKT5_llS5_PT6_ll16rocsparse_order_21rocsparse_index_base_b,comdat
.Lfunc_end49:
	.size	_ZN9rocsparseL31bsrmm_large_blockdim_kernel_extILj4ELj16ELj2EiiDF16_DF16_ffEEvb20rocsparse_direction_T3_S2_llNS_24const_host_device_scalarIT7_EEPKT2_PKS2_PKT4_S2_PKT5_llS5_PT6_ll16rocsparse_order_21rocsparse_index_base_b, .Lfunc_end49-_ZN9rocsparseL31bsrmm_large_blockdim_kernel_extILj4ELj16ELj2EiiDF16_DF16_ffEEvb20rocsparse_direction_T3_S2_llNS_24const_host_device_scalarIT7_EEPKT2_PKS2_PKT4_S2_PKT5_llS5_PT6_ll16rocsparse_order_21rocsparse_index_base_b
                                        ; -- End function
	.section	.AMDGPU.csdata,"",@progbits
; Kernel info:
; codeLenInByte = 2424
; NumSgprs: 40
; NumVgprs: 37
; ScratchSize: 0
; MemoryBound: 0
; FloatMode: 240
; IeeeMode: 1
; LDSByteSize: 576 bytes/workgroup (compile time only)
; SGPRBlocks: 4
; VGPRBlocks: 4
; NumSGPRsForWavesPerEU: 40
; NumVGPRsForWavesPerEU: 37
; Occupancy: 16
; WaveLimiterHint : 1
; COMPUTE_PGM_RSRC2:SCRATCH_EN: 0
; COMPUTE_PGM_RSRC2:USER_SGPR: 14
; COMPUTE_PGM_RSRC2:TRAP_HANDLER: 0
; COMPUTE_PGM_RSRC2:TGID_X_EN: 1
; COMPUTE_PGM_RSRC2:TGID_Y_EN: 1
; COMPUTE_PGM_RSRC2:TGID_Z_EN: 0
; COMPUTE_PGM_RSRC2:TIDIG_COMP_CNT: 1
	.section	.text._ZN9rocsparseL31bsrmm_large_blockdim_kernel_extILj16ELj16ELj2EiiDF16_DF16_ffEEvb20rocsparse_direction_T3_S2_llNS_24const_host_device_scalarIT7_EEPKT2_PKS2_PKT4_S2_PKT5_llS5_PT6_ll16rocsparse_order_21rocsparse_index_base_b,"axG",@progbits,_ZN9rocsparseL31bsrmm_large_blockdim_kernel_extILj16ELj16ELj2EiiDF16_DF16_ffEEvb20rocsparse_direction_T3_S2_llNS_24const_host_device_scalarIT7_EEPKT2_PKS2_PKT4_S2_PKT5_llS5_PT6_ll16rocsparse_order_21rocsparse_index_base_b,comdat
	.globl	_ZN9rocsparseL31bsrmm_large_blockdim_kernel_extILj16ELj16ELj2EiiDF16_DF16_ffEEvb20rocsparse_direction_T3_S2_llNS_24const_host_device_scalarIT7_EEPKT2_PKS2_PKT4_S2_PKT5_llS5_PT6_ll16rocsparse_order_21rocsparse_index_base_b ; -- Begin function _ZN9rocsparseL31bsrmm_large_blockdim_kernel_extILj16ELj16ELj2EiiDF16_DF16_ffEEvb20rocsparse_direction_T3_S2_llNS_24const_host_device_scalarIT7_EEPKT2_PKS2_PKT4_S2_PKT5_llS5_PT6_ll16rocsparse_order_21rocsparse_index_base_b
	.p2align	8
	.type	_ZN9rocsparseL31bsrmm_large_blockdim_kernel_extILj16ELj16ELj2EiiDF16_DF16_ffEEvb20rocsparse_direction_T3_S2_llNS_24const_host_device_scalarIT7_EEPKT2_PKS2_PKT4_S2_PKT5_llS5_PT6_ll16rocsparse_order_21rocsparse_index_base_b,@function
_ZN9rocsparseL31bsrmm_large_blockdim_kernel_extILj16ELj16ELj2EiiDF16_DF16_ffEEvb20rocsparse_direction_T3_S2_llNS_24const_host_device_scalarIT7_EEPKT2_PKS2_PKT4_S2_PKT5_llS5_PT6_ll16rocsparse_order_21rocsparse_index_base_b: ; @_ZN9rocsparseL31bsrmm_large_blockdim_kernel_extILj16ELj16ELj2EiiDF16_DF16_ffEEvb20rocsparse_direction_T3_S2_llNS_24const_host_device_scalarIT7_EEPKT2_PKS2_PKT4_S2_PKT5_llS5_PT6_ll16rocsparse_order_21rocsparse_index_base_b
; %bb.0:
	s_clause 0x2
	s_load_b128 s[16:19], s[0:1], 0x80
	s_load_b64 s[6:7], s[0:1], 0x20
	s_load_b64 s[12:13], s[0:1], 0x60
	s_mov_b32 s2, s15
	s_waitcnt lgkmcnt(0)
	s_bitcmp1_b32 s18, 0
	s_cselect_b32 s3, -1, 0
	s_delay_alu instid0(SALU_CYCLE_1)
	s_and_b32 vcc_lo, exec_lo, s3
	s_xor_b32 s3, s3, -1
	s_cbranch_vccnz .LBB50_2
; %bb.1:
	s_load_b32 s6, s[6:7], 0x0
.LBB50_2:
	s_and_not1_b32 vcc_lo, exec_lo, s3
	s_cbranch_vccnz .LBB50_4
; %bb.3:
	s_load_b32 s12, s[12:13], 0x0
.LBB50_4:
	s_waitcnt lgkmcnt(0)
	v_cmp_eq_f32_e64 s3, s6, 0
	v_cmp_eq_f32_e64 s4, s12, 1.0
	s_mov_b32 s18, 0
	s_delay_alu instid0(VALU_DEP_1) | instskip(NEXT) | instid1(SALU_CYCLE_1)
	s_and_b32 s3, s3, s4
	s_and_b32 vcc_lo, exec_lo, s3
	s_cbranch_vccnz .LBB50_57
; %bb.5:
	s_clause 0x1
	s_load_b128 s[8:11], s[0:1], 0x0
	s_load_b64 s[4:5], s[0:1], 0x28
	s_waitcnt lgkmcnt(0)
	s_cmp_lt_i32 s14, s10
	s_cselect_b32 s7, -1, 0
	s_cmp_ge_i32 s14, s10
	s_cbranch_scc1 .LBB50_7
; %bb.6:
	s_ashr_i32 s15, s14, 31
	s_delay_alu instid0(SALU_CYCLE_1) | instskip(NEXT) | instid1(SALU_CYCLE_1)
	s_lshl_b64 s[18:19], s[14:15], 2
	s_add_u32 s18, s4, s18
	s_addc_u32 s19, s5, s19
	s_load_b32 s3, s[18:19], 0x0
	s_waitcnt lgkmcnt(0)
	s_sub_i32 s18, s3, s17
.LBB50_7:
	s_mov_b32 s20, 0
	s_and_not1_b32 vcc_lo, exec_lo, s7
	s_mov_b32 s13, 0
	s_cbranch_vccnz .LBB50_9
; %bb.8:
	s_ashr_i32 s15, s14, 31
	s_delay_alu instid0(SALU_CYCLE_1) | instskip(NEXT) | instid1(SALU_CYCLE_1)
	s_lshl_b64 s[22:23], s[14:15], 2
	s_add_u32 s4, s4, s22
	s_addc_u32 s5, s5, s23
	s_load_b32 s3, s[4:5], 0x4
	s_waitcnt lgkmcnt(0)
	s_sub_i32 s13, s3, s17
.LBB50_9:
	s_clause 0x1
	s_load_b32 s10, s[0:1], 0x40
	s_load_b64 s[28:29], s[0:1], 0x68
	v_bfe_u32 v8, v0, 10, 10
	s_mov_b32 s21, s20
	v_and_b32_e32 v6, 0x3ff, v0
	v_dual_mov_b32 v2, s20 :: v_dual_mov_b32 v3, s21
	s_delay_alu instid0(VALU_DEP_3) | instskip(SKIP_1) | instid1(VALU_DEP_1)
	v_lshl_add_u32 v4, s2, 5, v8
	s_cmp_ge_i32 s18, s13
	v_add_nc_u32_e32 v0, 16, v4
	v_cmp_gt_i32_e64 s3, s11, v4
	s_delay_alu instid0(VALU_DEP_2)
	v_cmp_gt_i32_e64 s4, s11, v0
	s_waitcnt lgkmcnt(0)
	v_cmp_gt_i32_e64 s2, s10, v6
	s_cbranch_scc1 .LBB50_37
; %bb.10:
	s_clause 0x1
	s_load_b128 s[20:23], s[0:1], 0x48
	s_load_b128 s[24:27], s[0:1], 0x30
	s_mov_b32 s34, 0
	v_ashrrev_i32_e32 v5, 31, v4
	v_ashrrev_i32_e32 v1, 31, v0
	s_mov_b32 s35, s34
	v_lshlrev_b32_e32 v7, 4, v8
	v_cmp_gt_i32_e32 vcc_lo, s10, v8
	v_mad_u64_u32 v[9:10], null, v6, s10, v[8:9]
	s_mul_i32 s33, s10, s10
	s_delay_alu instid0(VALU_DEP_3)
	v_mad_u64_u32 v[2:3], null, v8, s10, v[6:7]
	s_and_b32 s15, s2, vcc_lo
	s_bitcmp1_b32 s8, 0
	v_lshl_add_u32 v3, v6, 4, v8
	s_cselect_b32 s5, -1, 0
	s_cmp_eq_u32 s9, 0
	v_add_lshl_u32 v17, v7, v6, 2
	s_cselect_b32 vcc_lo, -1, 0
	s_waitcnt lgkmcnt(0)
	v_mul_lo_u32 v14, v4, s23
	v_mul_lo_u32 v15, v5, s22
	v_mad_u64_u32 v[10:11], null, v4, s22, 0
	v_mul_lo_u32 v18, v0, s23
	v_mul_lo_u32 v19, v1, s22
	v_mad_u64_u32 v[12:13], null, v0, s22, 0
	v_cndmask_b32_e32 v7, v2, v9, vcc_lo
	s_add_i32 s9, s10, -1
	v_add3_u32 v11, v11, v14, v15
	s_and_b32 s8, s10, 7
	s_cmp_gt_u32 s9, 6
	v_lshl_add_u32 v16, v3, 2, 0x800
	s_delay_alu instid0(VALU_DEP_4)
	v_add3_u32 v13, v13, v18, v19
	v_lshlrev_b32_e32 v18, 6, v8
	v_mov_b32_e32 v2, s34
	v_lshlrev_b64 v[8:9], 1, v[10:11]
	v_lshlrev_b64 v[10:11], 1, v[4:5]
	;; [unrolled: 1-line block ×4, first 2 shown]
	s_cselect_b32 s9, -1, 0
	s_and_b32 s30, s10, -8
	v_lshl_add_u32 v19, v6, 6, 0x800
	v_dual_mov_b32 v3, s35 :: v_dual_add_nc_u32 v20, 0x400, v18
	s_cmp_lg_u32 s8, 0
	s_cselect_b32 s31, -1, 0
	s_branch .LBB50_13
.LBB50_11:                              ;   in Loop: Header=BB50_13 Depth=1
	s_or_b32 exec_lo, exec_lo, s34
.LBB50_12:                              ;   in Loop: Header=BB50_13 Depth=1
	s_delay_alu instid0(SALU_CYCLE_1) | instskip(SKIP_1) | instid1(SALU_CYCLE_1)
	s_or_b32 exec_lo, exec_lo, s19
	s_add_i32 s18, s18, 1
	s_cmp_ge_i32 s18, s13
	s_barrier
	buffer_gl0_inv
	s_cbranch_scc1 .LBB50_37
.LBB50_13:                              ; =>This Loop Header: Depth=1
                                        ;     Child Loop BB50_24 Depth 2
                                        ;     Child Loop BB50_28 Depth 2
	;; [unrolled: 1-line block ×4, first 2 shown]
	s_and_saveexec_b32 s34, s2
	s_cbranch_execz .LBB50_18
; %bb.14:                               ;   in Loop: Header=BB50_13 Depth=1
	s_ashr_i32 s19, s18, 31
	s_delay_alu instid0(SALU_CYCLE_1) | instskip(NEXT) | instid1(SALU_CYCLE_1)
	s_lshl_b64 s[36:37], s[18:19], 2
	s_add_u32 s36, s24, s36
	s_addc_u32 s37, s25, s37
	s_load_b32 s19, s[36:37], 0x0
	s_waitcnt lgkmcnt(0)
	s_sub_i32 s19, s19, s17
	s_delay_alu instid0(SALU_CYCLE_1) | instskip(NEXT) | instid1(VALU_DEP_1)
	v_mad_u64_u32 v[21:22], null, s19, s10, v[6:7]
	v_ashrrev_i32_e32 v22, 31, v21
	v_mul_lo_u32 v1, v21, s23
	v_mad_u64_u32 v[23:24], null, v21, s22, 0
	s_delay_alu instid0(VALU_DEP_3) | instskip(SKIP_1) | instid1(VALU_DEP_2)
	v_mul_lo_u32 v5, v22, s22
	v_lshlrev_b64 v[21:22], 1, v[21:22]
	v_add3_u32 v24, v24, v1, v5
	s_delay_alu instid0(VALU_DEP_1) | instskip(NEXT) | instid1(VALU_DEP_1)
	v_lshlrev_b64 v[23:24], 1, v[23:24]
	v_add_co_u32 v1, vcc_lo, s20, v23
	s_delay_alu instid0(VALU_DEP_2)
	v_add_co_ci_u32_e32 v5, vcc_lo, s21, v24, vcc_lo
	v_add_co_u32 v21, vcc_lo, s20, v21
	v_add_co_ci_u32_e32 v22, vcc_lo, s21, v22, vcc_lo
	s_and_saveexec_b32 s19, s3
	s_cbranch_execz .LBB50_16
; %bb.15:                               ;   in Loop: Header=BB50_13 Depth=1
	s_delay_alu instid0(VALU_DEP_2) | instskip(NEXT) | instid1(VALU_DEP_2)
	v_add_co_u32 v23, vcc_lo, v21, v8
	v_add_co_ci_u32_e32 v24, vcc_lo, v22, v9, vcc_lo
	v_add_co_u32 v25, vcc_lo, v1, v10
	v_add_co_ci_u32_e32 v26, vcc_lo, v5, v11, vcc_lo
	s_delay_alu instid0(VALU_DEP_2) | instskip(NEXT) | instid1(VALU_DEP_2)
	v_cndmask_b32_e64 v23, v25, v23, s5
	v_cndmask_b32_e64 v24, v26, v24, s5
	global_load_u16 v23, v[23:24], off
	s_waitcnt vmcnt(0)
	v_cvt_f32_f16_e32 v23, v23
	ds_store_b32 v17, v23
.LBB50_16:                              ;   in Loop: Header=BB50_13 Depth=1
	s_or_b32 exec_lo, exec_lo, s19
	s_delay_alu instid0(SALU_CYCLE_1)
	s_and_b32 exec_lo, exec_lo, s4
	s_cbranch_execz .LBB50_18
; %bb.17:                               ;   in Loop: Header=BB50_13 Depth=1
	v_add_co_u32 v21, vcc_lo, v21, v12
	v_add_co_ci_u32_e32 v22, vcc_lo, v22, v13, vcc_lo
	v_add_co_u32 v1, vcc_lo, v1, v14
	v_add_co_ci_u32_e32 v5, vcc_lo, v5, v15, vcc_lo
	s_delay_alu instid0(VALU_DEP_2) | instskip(NEXT) | instid1(VALU_DEP_2)
	v_cndmask_b32_e64 v21, v1, v21, s5
	v_cndmask_b32_e64 v22, v5, v22, s5
	global_load_u16 v1, v[21:22], off
	s_waitcnt vmcnt(0)
	v_cvt_f32_f16_e32 v1, v1
	ds_store_b32 v17, v1 offset:1024
.LBB50_18:                              ;   in Loop: Header=BB50_13 Depth=1
	s_or_b32 exec_lo, exec_lo, s34
	s_and_saveexec_b32 s19, s15
	s_cbranch_execz .LBB50_20
; %bb.19:                               ;   in Loop: Header=BB50_13 Depth=1
	v_mad_u64_u32 v[21:22], null, s33, s18, v[7:8]
	s_delay_alu instid0(VALU_DEP_1) | instskip(NEXT) | instid1(VALU_DEP_1)
	v_ashrrev_i32_e32 v22, 31, v21
	v_lshlrev_b64 v[21:22], 1, v[21:22]
	s_delay_alu instid0(VALU_DEP_1) | instskip(NEXT) | instid1(VALU_DEP_2)
	v_add_co_u32 v21, vcc_lo, s26, v21
	v_add_co_ci_u32_e32 v22, vcc_lo, s27, v22, vcc_lo
	global_load_u16 v1, v[21:22], off
	s_waitcnt vmcnt(0)
	v_cvt_f32_f16_e32 v1, v1
	ds_store_b32 v16, v1
.LBB50_20:                              ;   in Loop: Header=BB50_13 Depth=1
	s_or_b32 exec_lo, exec_lo, s19
	s_waitcnt lgkmcnt(0)
	s_barrier
	buffer_gl0_inv
	s_and_saveexec_b32 s19, s2
	s_cbranch_execz .LBB50_12
; %bb.21:                               ;   in Loop: Header=BB50_13 Depth=1
	s_and_saveexec_b32 s34, s3
	s_cbranch_execz .LBB50_29
; %bb.22:                               ;   in Loop: Header=BB50_13 Depth=1
	s_and_not1_b32 vcc_lo, exec_lo, s9
	s_cbranch_vccnz .LBB50_26
; %bb.23:                               ;   in Loop: Header=BB50_13 Depth=1
	v_mov_b32_e32 v1, v19
	v_mov_b32_e32 v5, v18
	s_mov_b32 s35, 0
	.p2align	6
.LBB50_24:                              ;   Parent Loop BB50_13 Depth=1
                                        ; =>  This Inner Loop Header: Depth=2
	ds_load_b128 v[21:24], v5
	ds_load_b128 v[25:28], v1
	ds_load_b128 v[29:32], v1 offset:16
	ds_load_b128 v[33:36], v5 offset:16
	s_add_i32 s35, s35, 8
	v_add_nc_u32_e32 v5, 32, v5
	s_cmp_lg_u32 s30, s35
	v_add_nc_u32_e32 v1, 32, v1
	s_waitcnt lgkmcnt(2)
	v_fma_f32 v2, v25, v21, v2
	s_delay_alu instid0(VALU_DEP_1) | instskip(NEXT) | instid1(VALU_DEP_1)
	v_fmac_f32_e32 v2, v26, v22
	v_fmac_f32_e32 v2, v27, v23
	s_delay_alu instid0(VALU_DEP_1) | instskip(SKIP_1) | instid1(VALU_DEP_1)
	v_fmac_f32_e32 v2, v28, v24
	s_waitcnt lgkmcnt(0)
	v_fmac_f32_e32 v2, v29, v33
	s_delay_alu instid0(VALU_DEP_1) | instskip(NEXT) | instid1(VALU_DEP_1)
	v_fmac_f32_e32 v2, v30, v34
	v_fmac_f32_e32 v2, v31, v35
	s_delay_alu instid0(VALU_DEP_1)
	v_fmac_f32_e32 v2, v32, v36
	s_cbranch_scc1 .LBB50_24
; %bb.25:                               ;   in Loop: Header=BB50_13 Depth=1
	s_mov_b32 s35, s30
	s_and_not1_b32 vcc_lo, exec_lo, s31
	s_cbranch_vccz .LBB50_27
	s_branch .LBB50_29
.LBB50_26:                              ;   in Loop: Header=BB50_13 Depth=1
	s_mov_b32 s35, 0
	s_and_not1_b32 vcc_lo, exec_lo, s31
	s_cbranch_vccnz .LBB50_29
.LBB50_27:                              ;   in Loop: Header=BB50_13 Depth=1
	s_lshl_b32 s35, s35, 2
	s_delay_alu instid0(SALU_CYCLE_1)
	v_add_nc_u32_e32 v1, s35, v18
	v_add_nc_u32_e32 v5, s35, v19
	s_mov_b32 s35, s8
.LBB50_28:                              ;   Parent Loop BB50_13 Depth=1
                                        ; =>  This Inner Loop Header: Depth=2
	ds_load_b32 v21, v5
	ds_load_b32 v22, v1
	v_add_nc_u32_e32 v1, 4, v1
	v_add_nc_u32_e32 v5, 4, v5
	s_add_i32 s35, s35, -1
	s_delay_alu instid0(SALU_CYCLE_1)
	s_cmp_lg_u32 s35, 0
	s_waitcnt lgkmcnt(0)
	v_fma_f32 v2, v21, v22, v2
	s_cbranch_scc1 .LBB50_28
.LBB50_29:                              ;   in Loop: Header=BB50_13 Depth=1
	s_or_b32 exec_lo, exec_lo, s34
	s_and_saveexec_b32 s34, s4
	s_cbranch_execz .LBB50_11
; %bb.30:                               ;   in Loop: Header=BB50_13 Depth=1
	s_and_not1_b32 vcc_lo, exec_lo, s9
	s_cbranch_vccnz .LBB50_34
; %bb.31:                               ;   in Loop: Header=BB50_13 Depth=1
	v_mov_b32_e32 v1, v19
	v_mov_b32_e32 v5, v20
	s_mov_b32 s35, 0
	.p2align	6
.LBB50_32:                              ;   Parent Loop BB50_13 Depth=1
                                        ; =>  This Inner Loop Header: Depth=2
	ds_load_b128 v[21:24], v5
	ds_load_b128 v[25:28], v1
	ds_load_b128 v[29:32], v1 offset:16
	ds_load_b128 v[33:36], v5 offset:16
	v_add_nc_u32_e32 v5, 32, v5
	v_add_nc_u32_e32 v1, 32, v1
	s_add_i32 s35, s35, 8
	s_delay_alu instid0(SALU_CYCLE_1) | instskip(SKIP_2) | instid1(VALU_DEP_1)
	s_cmp_lg_u32 s30, s35
	s_waitcnt lgkmcnt(2)
	v_fma_f32 v3, v25, v21, v3
	v_fmac_f32_e32 v3, v26, v22
	s_delay_alu instid0(VALU_DEP_1) | instskip(NEXT) | instid1(VALU_DEP_1)
	v_fmac_f32_e32 v3, v27, v23
	v_fmac_f32_e32 v3, v28, v24
	s_waitcnt lgkmcnt(0)
	s_delay_alu instid0(VALU_DEP_1) | instskip(NEXT) | instid1(VALU_DEP_1)
	v_fmac_f32_e32 v3, v29, v33
	v_fmac_f32_e32 v3, v30, v34
	s_delay_alu instid0(VALU_DEP_1) | instskip(NEXT) | instid1(VALU_DEP_1)
	v_fmac_f32_e32 v3, v31, v35
	v_fmac_f32_e32 v3, v32, v36
	s_cbranch_scc1 .LBB50_32
; %bb.33:                               ;   in Loop: Header=BB50_13 Depth=1
	s_mov_b32 s35, s30
	s_and_not1_b32 vcc_lo, exec_lo, s31
	s_cbranch_vccz .LBB50_35
	s_branch .LBB50_11
.LBB50_34:                              ;   in Loop: Header=BB50_13 Depth=1
	s_mov_b32 s35, 0
	s_and_not1_b32 vcc_lo, exec_lo, s31
	s_cbranch_vccnz .LBB50_11
.LBB50_35:                              ;   in Loop: Header=BB50_13 Depth=1
	s_lshl_b32 s35, s35, 2
	s_delay_alu instid0(SALU_CYCLE_1)
	v_add_nc_u32_e32 v1, s35, v20
	v_add_nc_u32_e32 v5, s35, v19
	s_mov_b32 s35, s8
.LBB50_36:                              ;   Parent Loop BB50_13 Depth=1
                                        ; =>  This Inner Loop Header: Depth=2
	ds_load_b32 v21, v5
	ds_load_b32 v22, v1
	v_add_nc_u32_e32 v1, 4, v1
	v_add_nc_u32_e32 v5, 4, v5
	s_add_i32 s35, s35, -1
	s_delay_alu instid0(SALU_CYCLE_1)
	s_cmp_lg_u32 s35, 0
	s_waitcnt lgkmcnt(0)
	v_fma_f32 v3, v21, v22, v3
	s_cbranch_scc1 .LBB50_36
	s_branch .LBB50_11
.LBB50_37:
	s_delay_alu instid0(VALU_DEP_1) | instskip(NEXT) | instid1(SALU_CYCLE_1)
	s_and_b32 s2, s7, s2
	s_and_saveexec_b32 s3, s2
	s_cbranch_execz .LBB50_57
; %bb.38:
	s_load_b64 s[2:3], s[0:1], 0x70
	v_mad_u64_u32 v[7:8], null, s14, s10, v[6:7]
	v_cmp_neq_f32_e64 s4, s12, 0
	s_cmp_lg_u32 s16, 1
	s_mov_b32 s0, exec_lo
	s_cselect_b32 s1, -1, 0
	s_delay_alu instid0(VALU_DEP_2) | instskip(SKIP_1) | instid1(VALU_DEP_1)
	v_ashrrev_i32_e32 v8, 31, v7
	s_waitcnt lgkmcnt(0)
	v_mul_lo_u32 v1, v8, s2
	v_mul_lo_u32 v9, v7, s3
	v_mad_u64_u32 v[5:6], null, v7, s2, 0
	v_lshlrev_b64 v[7:8], 2, v[7:8]
	s_delay_alu instid0(VALU_DEP_2) | instskip(NEXT) | instid1(VALU_DEP_1)
	v_add3_u32 v6, v6, v9, v1
	v_lshlrev_b64 v[9:10], 2, v[5:6]
	s_delay_alu instid0(VALU_DEP_3) | instskip(NEXT) | instid1(VALU_DEP_4)
	v_add_co_u32 v6, vcc_lo, s28, v7
	v_add_co_ci_u32_e32 v7, vcc_lo, s29, v8, vcc_lo
	s_delay_alu instid0(VALU_DEP_3) | instskip(NEXT) | instid1(VALU_DEP_4)
	v_add_co_u32 v8, vcc_lo, s28, v9
	v_add_co_ci_u32_e32 v9, vcc_lo, s29, v10, vcc_lo
	v_cmpx_gt_i32_e64 s11, v4
	s_cbranch_execz .LBB50_50
; %bb.39:
	v_ashrrev_i32_e32 v5, 31, v4
	s_and_b32 vcc_lo, exec_lo, s4
	s_cbranch_vccz .LBB50_45
; %bb.40:
	s_and_b32 vcc_lo, exec_lo, s1
	s_mov_b32 s5, -1
	s_cbranch_vccz .LBB50_42
; %bb.41:
	v_lshlrev_b64 v[10:11], 2, v[4:5]
	v_mul_f32_e32 v12, s6, v2
	s_mov_b32 s5, 0
	s_delay_alu instid0(VALU_DEP_2) | instskip(NEXT) | instid1(VALU_DEP_3)
	v_add_co_u32 v10, vcc_lo, v8, v10
	v_add_co_ci_u32_e32 v11, vcc_lo, v9, v11, vcc_lo
	global_load_b32 v1, v[10:11], off
	s_waitcnt vmcnt(0)
	v_fmac_f32_e32 v12, s12, v1
	global_store_b32 v[10:11], v12, off
.LBB50_42:
	s_and_not1_b32 vcc_lo, exec_lo, s5
	s_cbranch_vccnz .LBB50_44
; %bb.43:
	v_mul_lo_u32 v1, v5, s2
	v_mul_lo_u32 v12, v4, s3
	v_mad_u64_u32 v[10:11], null, v4, s2, 0
	s_delay_alu instid0(VALU_DEP_1) | instskip(SKIP_1) | instid1(VALU_DEP_2)
	v_add3_u32 v11, v11, v12, v1
	v_mul_f32_e32 v12, s6, v2
	v_lshlrev_b64 v[10:11], 2, v[10:11]
	s_delay_alu instid0(VALU_DEP_1) | instskip(NEXT) | instid1(VALU_DEP_2)
	v_add_co_u32 v10, vcc_lo, v6, v10
	v_add_co_ci_u32_e32 v11, vcc_lo, v7, v11, vcc_lo
	global_load_b32 v1, v[10:11], off
	s_waitcnt vmcnt(0)
	v_fmac_f32_e32 v12, s12, v1
	global_store_b32 v[10:11], v12, off
.LBB50_44:
	s_cbranch_execz .LBB50_46
	s_branch .LBB50_50
.LBB50_45:
.LBB50_46:
	v_mul_f32_e32 v1, s6, v2
	s_and_b32 vcc_lo, exec_lo, s1
	s_mov_b32 s5, -1
	s_cbranch_vccz .LBB50_48
; %bb.47:
	v_lshlrev_b64 v[10:11], 2, v[4:5]
	s_mov_b32 s5, 0
	s_delay_alu instid0(VALU_DEP_1) | instskip(NEXT) | instid1(VALU_DEP_2)
	v_add_co_u32 v10, vcc_lo, v8, v10
	v_add_co_ci_u32_e32 v11, vcc_lo, v9, v11, vcc_lo
	global_store_b32 v[10:11], v1, off
.LBB50_48:
	s_and_not1_b32 vcc_lo, exec_lo, s5
	s_cbranch_vccnz .LBB50_50
; %bb.49:
	v_mul_lo_u32 v2, v5, s2
	v_mul_lo_u32 v5, v4, s3
	v_mad_u64_u32 v[10:11], null, v4, s2, 0
	s_delay_alu instid0(VALU_DEP_1) | instskip(NEXT) | instid1(VALU_DEP_1)
	v_add3_u32 v11, v11, v5, v2
	v_lshlrev_b64 v[4:5], 2, v[10:11]
	s_delay_alu instid0(VALU_DEP_1) | instskip(NEXT) | instid1(VALU_DEP_2)
	v_add_co_u32 v4, vcc_lo, v6, v4
	v_add_co_ci_u32_e32 v5, vcc_lo, v7, v5, vcc_lo
	global_store_b32 v[4:5], v1, off
.LBB50_50:
	s_or_b32 exec_lo, exec_lo, s0
	v_cmp_gt_i32_e32 vcc_lo, s11, v0
	s_and_b32 exec_lo, exec_lo, vcc_lo
	s_cbranch_execz .LBB50_57
; %bb.51:
	v_cndmask_b32_e64 v2, 0, 1, s1
	v_ashrrev_i32_e32 v1, 31, v0
	s_and_not1_b32 vcc_lo, exec_lo, s4
	s_delay_alu instid0(VALU_DEP_2)
	v_cmp_ne_u32_e64 s0, 1, v2
	s_cbranch_vccnz .LBB50_58
; %bb.52:
	s_delay_alu instid0(VALU_DEP_1)
	s_and_b32 vcc_lo, exec_lo, s0
	s_mov_b32 s0, -1
	s_cbranch_vccnz .LBB50_54
; %bb.53:
	v_lshlrev_b64 v[4:5], 2, v[0:1]
	v_mul_f32_e32 v10, s6, v3
	s_mov_b32 s0, 0
	s_delay_alu instid0(VALU_DEP_2) | instskip(NEXT) | instid1(VALU_DEP_3)
	v_add_co_u32 v4, vcc_lo, v8, v4
	v_add_co_ci_u32_e32 v5, vcc_lo, v9, v5, vcc_lo
	global_load_b32 v2, v[4:5], off
	s_waitcnt vmcnt(0)
	v_fmac_f32_e32 v10, s12, v2
	global_store_b32 v[4:5], v10, off
.LBB50_54:
	s_and_not1_b32 vcc_lo, exec_lo, s0
	s_cbranch_vccnz .LBB50_56
; %bb.55:
	v_mul_lo_u32 v2, v1, s2
	v_mul_lo_u32 v10, v0, s3
	v_mad_u64_u32 v[4:5], null, v0, s2, 0
	s_delay_alu instid0(VALU_DEP_1) | instskip(SKIP_1) | instid1(VALU_DEP_2)
	v_add3_u32 v5, v5, v10, v2
	v_mul_f32_e32 v10, s6, v3
	v_lshlrev_b64 v[4:5], 2, v[4:5]
	s_delay_alu instid0(VALU_DEP_1) | instskip(NEXT) | instid1(VALU_DEP_2)
	v_add_co_u32 v4, vcc_lo, v6, v4
	v_add_co_ci_u32_e32 v5, vcc_lo, v7, v5, vcc_lo
	global_load_b32 v2, v[4:5], off
	s_waitcnt vmcnt(0)
	v_fmac_f32_e32 v10, s12, v2
	global_store_b32 v[4:5], v10, off
.LBB50_56:
	s_cbranch_execz .LBB50_59
.LBB50_57:
	s_nop 0
	s_sendmsg sendmsg(MSG_DEALLOC_VGPRS)
	s_endpgm
.LBB50_58:
.LBB50_59:
	v_mul_f32_e32 v2, s6, v3
	s_and_not1_b32 vcc_lo, exec_lo, s1
	s_mov_b32 s0, -1
	s_cbranch_vccnz .LBB50_61
; %bb.60:
	v_lshlrev_b64 v[3:4], 2, v[0:1]
	s_mov_b32 s0, 0
	s_delay_alu instid0(VALU_DEP_1) | instskip(NEXT) | instid1(VALU_DEP_2)
	v_add_co_u32 v3, vcc_lo, v8, v3
	v_add_co_ci_u32_e32 v4, vcc_lo, v9, v4, vcc_lo
	global_store_b32 v[3:4], v2, off
.LBB50_61:
	s_and_not1_b32 vcc_lo, exec_lo, s0
	s_cbranch_vccnz .LBB50_57
; %bb.62:
	v_mul_lo_u32 v1, v1, s2
	v_mul_lo_u32 v5, v0, s3
	v_mad_u64_u32 v[3:4], null, v0, s2, 0
	s_delay_alu instid0(VALU_DEP_1) | instskip(NEXT) | instid1(VALU_DEP_1)
	v_add3_u32 v4, v4, v5, v1
	v_lshlrev_b64 v[0:1], 2, v[3:4]
	s_delay_alu instid0(VALU_DEP_1) | instskip(NEXT) | instid1(VALU_DEP_2)
	v_add_co_u32 v0, vcc_lo, v6, v0
	v_add_co_ci_u32_e32 v1, vcc_lo, v7, v1, vcc_lo
	global_store_b32 v[0:1], v2, off
	s_nop 0
	s_sendmsg sendmsg(MSG_DEALLOC_VGPRS)
	s_endpgm
	.section	.rodata,"a",@progbits
	.p2align	6, 0x0
	.amdhsa_kernel _ZN9rocsparseL31bsrmm_large_blockdim_kernel_extILj16ELj16ELj2EiiDF16_DF16_ffEEvb20rocsparse_direction_T3_S2_llNS_24const_host_device_scalarIT7_EEPKT2_PKS2_PKT4_S2_PKT5_llS5_PT6_ll16rocsparse_order_21rocsparse_index_base_b
		.amdhsa_group_segment_fixed_size 3072
		.amdhsa_private_segment_fixed_size 0
		.amdhsa_kernarg_size 140
		.amdhsa_user_sgpr_count 14
		.amdhsa_user_sgpr_dispatch_ptr 0
		.amdhsa_user_sgpr_queue_ptr 0
		.amdhsa_user_sgpr_kernarg_segment_ptr 1
		.amdhsa_user_sgpr_dispatch_id 0
		.amdhsa_user_sgpr_private_segment_size 0
		.amdhsa_wavefront_size32 1
		.amdhsa_uses_dynamic_stack 0
		.amdhsa_enable_private_segment 0
		.amdhsa_system_sgpr_workgroup_id_x 1
		.amdhsa_system_sgpr_workgroup_id_y 1
		.amdhsa_system_sgpr_workgroup_id_z 0
		.amdhsa_system_sgpr_workgroup_info 0
		.amdhsa_system_vgpr_workitem_id 1
		.amdhsa_next_free_vgpr 37
		.amdhsa_next_free_sgpr 38
		.amdhsa_reserve_vcc 1
		.amdhsa_float_round_mode_32 0
		.amdhsa_float_round_mode_16_64 0
		.amdhsa_float_denorm_mode_32 3
		.amdhsa_float_denorm_mode_16_64 3
		.amdhsa_dx10_clamp 1
		.amdhsa_ieee_mode 1
		.amdhsa_fp16_overflow 0
		.amdhsa_workgroup_processor_mode 1
		.amdhsa_memory_ordered 1
		.amdhsa_forward_progress 0
		.amdhsa_shared_vgpr_count 0
		.amdhsa_exception_fp_ieee_invalid_op 0
		.amdhsa_exception_fp_denorm_src 0
		.amdhsa_exception_fp_ieee_div_zero 0
		.amdhsa_exception_fp_ieee_overflow 0
		.amdhsa_exception_fp_ieee_underflow 0
		.amdhsa_exception_fp_ieee_inexact 0
		.amdhsa_exception_int_div_zero 0
	.end_amdhsa_kernel
	.section	.text._ZN9rocsparseL31bsrmm_large_blockdim_kernel_extILj16ELj16ELj2EiiDF16_DF16_ffEEvb20rocsparse_direction_T3_S2_llNS_24const_host_device_scalarIT7_EEPKT2_PKS2_PKT4_S2_PKT5_llS5_PT6_ll16rocsparse_order_21rocsparse_index_base_b,"axG",@progbits,_ZN9rocsparseL31bsrmm_large_blockdim_kernel_extILj16ELj16ELj2EiiDF16_DF16_ffEEvb20rocsparse_direction_T3_S2_llNS_24const_host_device_scalarIT7_EEPKT2_PKS2_PKT4_S2_PKT5_llS5_PT6_ll16rocsparse_order_21rocsparse_index_base_b,comdat
.Lfunc_end50:
	.size	_ZN9rocsparseL31bsrmm_large_blockdim_kernel_extILj16ELj16ELj2EiiDF16_DF16_ffEEvb20rocsparse_direction_T3_S2_llNS_24const_host_device_scalarIT7_EEPKT2_PKS2_PKT4_S2_PKT5_llS5_PT6_ll16rocsparse_order_21rocsparse_index_base_b, .Lfunc_end50-_ZN9rocsparseL31bsrmm_large_blockdim_kernel_extILj16ELj16ELj2EiiDF16_DF16_ffEEvb20rocsparse_direction_T3_S2_llNS_24const_host_device_scalarIT7_EEPKT2_PKS2_PKT4_S2_PKT5_llS5_PT6_ll16rocsparse_order_21rocsparse_index_base_b
                                        ; -- End function
	.section	.AMDGPU.csdata,"",@progbits
; Kernel info:
; codeLenInByte = 2424
; NumSgprs: 40
; NumVgprs: 37
; ScratchSize: 0
; MemoryBound: 0
; FloatMode: 240
; IeeeMode: 1
; LDSByteSize: 3072 bytes/workgroup (compile time only)
; SGPRBlocks: 4
; VGPRBlocks: 4
; NumSGPRsForWavesPerEU: 40
; NumVGPRsForWavesPerEU: 37
; Occupancy: 16
; WaveLimiterHint : 1
; COMPUTE_PGM_RSRC2:SCRATCH_EN: 0
; COMPUTE_PGM_RSRC2:USER_SGPR: 14
; COMPUTE_PGM_RSRC2:TRAP_HANDLER: 0
; COMPUTE_PGM_RSRC2:TGID_X_EN: 1
; COMPUTE_PGM_RSRC2:TGID_Y_EN: 1
; COMPUTE_PGM_RSRC2:TGID_Z_EN: 0
; COMPUTE_PGM_RSRC2:TIDIG_COMP_CNT: 1
	.section	.text._ZN9rocsparseL31bsrmm_large_blockdim_kernel_extILj32ELj32ELj2EiiDF16_DF16_ffEEvb20rocsparse_direction_T3_S2_llNS_24const_host_device_scalarIT7_EEPKT2_PKS2_PKT4_S2_PKT5_llS5_PT6_ll16rocsparse_order_21rocsparse_index_base_b,"axG",@progbits,_ZN9rocsparseL31bsrmm_large_blockdim_kernel_extILj32ELj32ELj2EiiDF16_DF16_ffEEvb20rocsparse_direction_T3_S2_llNS_24const_host_device_scalarIT7_EEPKT2_PKS2_PKT4_S2_PKT5_llS5_PT6_ll16rocsparse_order_21rocsparse_index_base_b,comdat
	.globl	_ZN9rocsparseL31bsrmm_large_blockdim_kernel_extILj32ELj32ELj2EiiDF16_DF16_ffEEvb20rocsparse_direction_T3_S2_llNS_24const_host_device_scalarIT7_EEPKT2_PKS2_PKT4_S2_PKT5_llS5_PT6_ll16rocsparse_order_21rocsparse_index_base_b ; -- Begin function _ZN9rocsparseL31bsrmm_large_blockdim_kernel_extILj32ELj32ELj2EiiDF16_DF16_ffEEvb20rocsparse_direction_T3_S2_llNS_24const_host_device_scalarIT7_EEPKT2_PKS2_PKT4_S2_PKT5_llS5_PT6_ll16rocsparse_order_21rocsparse_index_base_b
	.p2align	8
	.type	_ZN9rocsparseL31bsrmm_large_blockdim_kernel_extILj32ELj32ELj2EiiDF16_DF16_ffEEvb20rocsparse_direction_T3_S2_llNS_24const_host_device_scalarIT7_EEPKT2_PKS2_PKT4_S2_PKT5_llS5_PT6_ll16rocsparse_order_21rocsparse_index_base_b,@function
_ZN9rocsparseL31bsrmm_large_blockdim_kernel_extILj32ELj32ELj2EiiDF16_DF16_ffEEvb20rocsparse_direction_T3_S2_llNS_24const_host_device_scalarIT7_EEPKT2_PKS2_PKT4_S2_PKT5_llS5_PT6_ll16rocsparse_order_21rocsparse_index_base_b: ; @_ZN9rocsparseL31bsrmm_large_blockdim_kernel_extILj32ELj32ELj2EiiDF16_DF16_ffEEvb20rocsparse_direction_T3_S2_llNS_24const_host_device_scalarIT7_EEPKT2_PKS2_PKT4_S2_PKT5_llS5_PT6_ll16rocsparse_order_21rocsparse_index_base_b
; %bb.0:
	s_clause 0x2
	s_load_b128 s[16:19], s[0:1], 0x80
	s_load_b64 s[6:7], s[0:1], 0x20
	s_load_b64 s[12:13], s[0:1], 0x60
	s_mov_b32 s2, s15
	s_waitcnt lgkmcnt(0)
	s_bitcmp1_b32 s18, 0
	s_cselect_b32 s3, -1, 0
	s_delay_alu instid0(SALU_CYCLE_1)
	s_and_b32 vcc_lo, exec_lo, s3
	s_xor_b32 s3, s3, -1
	s_cbranch_vccnz .LBB51_2
; %bb.1:
	s_load_b32 s6, s[6:7], 0x0
.LBB51_2:
	s_and_not1_b32 vcc_lo, exec_lo, s3
	s_cbranch_vccnz .LBB51_4
; %bb.3:
	s_load_b32 s12, s[12:13], 0x0
.LBB51_4:
	s_waitcnt lgkmcnt(0)
	v_cmp_eq_f32_e64 s3, s6, 0
	v_cmp_eq_f32_e64 s4, s12, 1.0
	s_mov_b32 s18, 0
	s_delay_alu instid0(VALU_DEP_1) | instskip(NEXT) | instid1(SALU_CYCLE_1)
	s_and_b32 s3, s3, s4
	s_and_b32 vcc_lo, exec_lo, s3
	s_cbranch_vccnz .LBB51_57
; %bb.5:
	s_clause 0x1
	s_load_b128 s[8:11], s[0:1], 0x0
	s_load_b64 s[4:5], s[0:1], 0x28
	s_waitcnt lgkmcnt(0)
	s_cmp_lt_i32 s14, s10
	s_cselect_b32 s7, -1, 0
	s_cmp_ge_i32 s14, s10
	s_cbranch_scc1 .LBB51_7
; %bb.6:
	s_ashr_i32 s15, s14, 31
	s_delay_alu instid0(SALU_CYCLE_1) | instskip(NEXT) | instid1(SALU_CYCLE_1)
	s_lshl_b64 s[18:19], s[14:15], 2
	s_add_u32 s18, s4, s18
	s_addc_u32 s19, s5, s19
	s_load_b32 s3, s[18:19], 0x0
	s_waitcnt lgkmcnt(0)
	s_sub_i32 s18, s3, s17
.LBB51_7:
	s_mov_b32 s20, 0
	s_and_not1_b32 vcc_lo, exec_lo, s7
	s_mov_b32 s13, 0
	s_cbranch_vccnz .LBB51_9
; %bb.8:
	s_ashr_i32 s15, s14, 31
	s_delay_alu instid0(SALU_CYCLE_1) | instskip(NEXT) | instid1(SALU_CYCLE_1)
	s_lshl_b64 s[22:23], s[14:15], 2
	s_add_u32 s4, s4, s22
	s_addc_u32 s5, s5, s23
	s_load_b32 s3, s[4:5], 0x4
	s_waitcnt lgkmcnt(0)
	s_sub_i32 s13, s3, s17
.LBB51_9:
	s_clause 0x1
	s_load_b32 s10, s[0:1], 0x40
	s_load_b64 s[28:29], s[0:1], 0x68
	v_bfe_u32 v8, v0, 10, 10
	s_mov_b32 s21, s20
	v_and_b32_e32 v6, 0x3ff, v0
	v_dual_mov_b32 v2, s20 :: v_dual_mov_b32 v3, s21
	s_delay_alu instid0(VALU_DEP_3) | instskip(SKIP_1) | instid1(VALU_DEP_1)
	v_lshl_add_u32 v4, s2, 6, v8
	s_cmp_ge_i32 s18, s13
	v_add_nc_u32_e32 v0, 32, v4
	v_cmp_gt_i32_e64 s3, s11, v4
	s_delay_alu instid0(VALU_DEP_2)
	v_cmp_gt_i32_e64 s4, s11, v0
	s_waitcnt lgkmcnt(0)
	v_cmp_gt_i32_e64 s2, s10, v6
	s_cbranch_scc1 .LBB51_37
; %bb.10:
	s_clause 0x1
	s_load_b128 s[20:23], s[0:1], 0x48
	s_load_b128 s[24:27], s[0:1], 0x30
	s_mov_b32 s34, 0
	v_ashrrev_i32_e32 v5, 31, v4
	v_ashrrev_i32_e32 v1, 31, v0
	s_mov_b32 s35, s34
	v_lshlrev_b32_e32 v7, 5, v8
	v_cmp_gt_i32_e32 vcc_lo, s10, v8
	v_mad_u64_u32 v[9:10], null, v6, s10, v[8:9]
	s_mul_i32 s33, s10, s10
	s_delay_alu instid0(VALU_DEP_3)
	v_mad_u64_u32 v[2:3], null, v8, s10, v[6:7]
	s_and_b32 s15, s2, vcc_lo
	s_bitcmp1_b32 s8, 0
	v_lshl_add_u32 v3, v6, 5, v8
	s_cselect_b32 s5, -1, 0
	s_cmp_eq_u32 s9, 0
	v_add_lshl_u32 v17, v7, v6, 2
	s_cselect_b32 vcc_lo, -1, 0
	s_waitcnt lgkmcnt(0)
	v_mul_lo_u32 v14, v4, s23
	v_mul_lo_u32 v15, v5, s22
	v_mad_u64_u32 v[10:11], null, v4, s22, 0
	v_mul_lo_u32 v18, v0, s23
	v_mul_lo_u32 v19, v1, s22
	v_mad_u64_u32 v[12:13], null, v0, s22, 0
	v_cndmask_b32_e32 v7, v2, v9, vcc_lo
	s_add_i32 s9, s10, -1
	v_add3_u32 v11, v11, v14, v15
	s_and_b32 s8, s10, 7
	s_cmp_gt_u32 s9, 6
	v_lshl_add_u32 v16, v3, 2, 0x2000
	s_delay_alu instid0(VALU_DEP_4)
	v_add3_u32 v13, v13, v18, v19
	v_lshlrev_b32_e32 v18, 7, v8
	v_mov_b32_e32 v2, s34
	v_lshlrev_b64 v[8:9], 1, v[10:11]
	v_lshlrev_b64 v[10:11], 1, v[4:5]
	;; [unrolled: 1-line block ×4, first 2 shown]
	s_cselect_b32 s9, -1, 0
	s_and_b32 s30, s10, -8
	v_lshl_add_u32 v19, v6, 7, 0x2000
	v_dual_mov_b32 v3, s35 :: v_dual_add_nc_u32 v20, 0x1000, v18
	s_cmp_lg_u32 s8, 0
	s_cselect_b32 s31, -1, 0
	s_branch .LBB51_13
.LBB51_11:                              ;   in Loop: Header=BB51_13 Depth=1
	s_or_b32 exec_lo, exec_lo, s34
.LBB51_12:                              ;   in Loop: Header=BB51_13 Depth=1
	s_delay_alu instid0(SALU_CYCLE_1) | instskip(SKIP_1) | instid1(SALU_CYCLE_1)
	s_or_b32 exec_lo, exec_lo, s19
	s_add_i32 s18, s18, 1
	s_cmp_ge_i32 s18, s13
	s_barrier
	buffer_gl0_inv
	s_cbranch_scc1 .LBB51_37
.LBB51_13:                              ; =>This Loop Header: Depth=1
                                        ;     Child Loop BB51_24 Depth 2
                                        ;     Child Loop BB51_28 Depth 2
	;; [unrolled: 1-line block ×4, first 2 shown]
	s_and_saveexec_b32 s34, s2
	s_cbranch_execz .LBB51_18
; %bb.14:                               ;   in Loop: Header=BB51_13 Depth=1
	s_ashr_i32 s19, s18, 31
	s_delay_alu instid0(SALU_CYCLE_1) | instskip(NEXT) | instid1(SALU_CYCLE_1)
	s_lshl_b64 s[36:37], s[18:19], 2
	s_add_u32 s36, s24, s36
	s_addc_u32 s37, s25, s37
	s_load_b32 s19, s[36:37], 0x0
	s_waitcnt lgkmcnt(0)
	s_sub_i32 s19, s19, s17
	s_delay_alu instid0(SALU_CYCLE_1) | instskip(NEXT) | instid1(VALU_DEP_1)
	v_mad_u64_u32 v[21:22], null, s19, s10, v[6:7]
	v_ashrrev_i32_e32 v22, 31, v21
	v_mul_lo_u32 v1, v21, s23
	v_mad_u64_u32 v[23:24], null, v21, s22, 0
	s_delay_alu instid0(VALU_DEP_3) | instskip(SKIP_1) | instid1(VALU_DEP_2)
	v_mul_lo_u32 v5, v22, s22
	v_lshlrev_b64 v[21:22], 1, v[21:22]
	v_add3_u32 v24, v24, v1, v5
	s_delay_alu instid0(VALU_DEP_1) | instskip(NEXT) | instid1(VALU_DEP_1)
	v_lshlrev_b64 v[23:24], 1, v[23:24]
	v_add_co_u32 v1, vcc_lo, s20, v23
	s_delay_alu instid0(VALU_DEP_2)
	v_add_co_ci_u32_e32 v5, vcc_lo, s21, v24, vcc_lo
	v_add_co_u32 v21, vcc_lo, s20, v21
	v_add_co_ci_u32_e32 v22, vcc_lo, s21, v22, vcc_lo
	s_and_saveexec_b32 s19, s3
	s_cbranch_execz .LBB51_16
; %bb.15:                               ;   in Loop: Header=BB51_13 Depth=1
	s_delay_alu instid0(VALU_DEP_2) | instskip(NEXT) | instid1(VALU_DEP_2)
	v_add_co_u32 v23, vcc_lo, v21, v8
	v_add_co_ci_u32_e32 v24, vcc_lo, v22, v9, vcc_lo
	v_add_co_u32 v25, vcc_lo, v1, v10
	v_add_co_ci_u32_e32 v26, vcc_lo, v5, v11, vcc_lo
	s_delay_alu instid0(VALU_DEP_2) | instskip(NEXT) | instid1(VALU_DEP_2)
	v_cndmask_b32_e64 v23, v25, v23, s5
	v_cndmask_b32_e64 v24, v26, v24, s5
	global_load_u16 v23, v[23:24], off
	s_waitcnt vmcnt(0)
	v_cvt_f32_f16_e32 v23, v23
	ds_store_b32 v17, v23
.LBB51_16:                              ;   in Loop: Header=BB51_13 Depth=1
	s_or_b32 exec_lo, exec_lo, s19
	s_delay_alu instid0(SALU_CYCLE_1)
	s_and_b32 exec_lo, exec_lo, s4
	s_cbranch_execz .LBB51_18
; %bb.17:                               ;   in Loop: Header=BB51_13 Depth=1
	v_add_co_u32 v21, vcc_lo, v21, v12
	v_add_co_ci_u32_e32 v22, vcc_lo, v22, v13, vcc_lo
	v_add_co_u32 v1, vcc_lo, v1, v14
	v_add_co_ci_u32_e32 v5, vcc_lo, v5, v15, vcc_lo
	s_delay_alu instid0(VALU_DEP_2) | instskip(NEXT) | instid1(VALU_DEP_2)
	v_cndmask_b32_e64 v21, v1, v21, s5
	v_cndmask_b32_e64 v22, v5, v22, s5
	global_load_u16 v1, v[21:22], off
	s_waitcnt vmcnt(0)
	v_cvt_f32_f16_e32 v1, v1
	ds_store_b32 v17, v1 offset:4096
.LBB51_18:                              ;   in Loop: Header=BB51_13 Depth=1
	s_or_b32 exec_lo, exec_lo, s34
	s_and_saveexec_b32 s19, s15
	s_cbranch_execz .LBB51_20
; %bb.19:                               ;   in Loop: Header=BB51_13 Depth=1
	v_mad_u64_u32 v[21:22], null, s33, s18, v[7:8]
	s_delay_alu instid0(VALU_DEP_1) | instskip(NEXT) | instid1(VALU_DEP_1)
	v_ashrrev_i32_e32 v22, 31, v21
	v_lshlrev_b64 v[21:22], 1, v[21:22]
	s_delay_alu instid0(VALU_DEP_1) | instskip(NEXT) | instid1(VALU_DEP_2)
	v_add_co_u32 v21, vcc_lo, s26, v21
	v_add_co_ci_u32_e32 v22, vcc_lo, s27, v22, vcc_lo
	global_load_u16 v1, v[21:22], off
	s_waitcnt vmcnt(0)
	v_cvt_f32_f16_e32 v1, v1
	ds_store_b32 v16, v1
.LBB51_20:                              ;   in Loop: Header=BB51_13 Depth=1
	s_or_b32 exec_lo, exec_lo, s19
	s_waitcnt lgkmcnt(0)
	s_barrier
	buffer_gl0_inv
	s_and_saveexec_b32 s19, s2
	s_cbranch_execz .LBB51_12
; %bb.21:                               ;   in Loop: Header=BB51_13 Depth=1
	s_and_saveexec_b32 s34, s3
	s_cbranch_execz .LBB51_29
; %bb.22:                               ;   in Loop: Header=BB51_13 Depth=1
	s_and_not1_b32 vcc_lo, exec_lo, s9
	s_cbranch_vccnz .LBB51_26
; %bb.23:                               ;   in Loop: Header=BB51_13 Depth=1
	v_mov_b32_e32 v1, v19
	v_mov_b32_e32 v5, v18
	s_mov_b32 s35, 0
	.p2align	6
.LBB51_24:                              ;   Parent Loop BB51_13 Depth=1
                                        ; =>  This Inner Loop Header: Depth=2
	ds_load_b128 v[21:24], v5
	ds_load_b128 v[25:28], v1
	ds_load_b128 v[29:32], v1 offset:16
	ds_load_b128 v[33:36], v5 offset:16
	s_add_i32 s35, s35, 8
	v_add_nc_u32_e32 v5, 32, v5
	s_cmp_lg_u32 s30, s35
	v_add_nc_u32_e32 v1, 32, v1
	s_waitcnt lgkmcnt(2)
	v_fma_f32 v2, v25, v21, v2
	s_delay_alu instid0(VALU_DEP_1) | instskip(NEXT) | instid1(VALU_DEP_1)
	v_fmac_f32_e32 v2, v26, v22
	v_fmac_f32_e32 v2, v27, v23
	s_delay_alu instid0(VALU_DEP_1) | instskip(SKIP_1) | instid1(VALU_DEP_1)
	v_fmac_f32_e32 v2, v28, v24
	s_waitcnt lgkmcnt(0)
	v_fmac_f32_e32 v2, v29, v33
	s_delay_alu instid0(VALU_DEP_1) | instskip(NEXT) | instid1(VALU_DEP_1)
	v_fmac_f32_e32 v2, v30, v34
	v_fmac_f32_e32 v2, v31, v35
	s_delay_alu instid0(VALU_DEP_1)
	v_fmac_f32_e32 v2, v32, v36
	s_cbranch_scc1 .LBB51_24
; %bb.25:                               ;   in Loop: Header=BB51_13 Depth=1
	s_mov_b32 s35, s30
	s_and_not1_b32 vcc_lo, exec_lo, s31
	s_cbranch_vccz .LBB51_27
	s_branch .LBB51_29
.LBB51_26:                              ;   in Loop: Header=BB51_13 Depth=1
	s_mov_b32 s35, 0
	s_and_not1_b32 vcc_lo, exec_lo, s31
	s_cbranch_vccnz .LBB51_29
.LBB51_27:                              ;   in Loop: Header=BB51_13 Depth=1
	s_lshl_b32 s35, s35, 2
	s_delay_alu instid0(SALU_CYCLE_1)
	v_add_nc_u32_e32 v1, s35, v18
	v_add_nc_u32_e32 v5, s35, v19
	s_mov_b32 s35, s8
.LBB51_28:                              ;   Parent Loop BB51_13 Depth=1
                                        ; =>  This Inner Loop Header: Depth=2
	ds_load_b32 v21, v5
	ds_load_b32 v22, v1
	v_add_nc_u32_e32 v1, 4, v1
	v_add_nc_u32_e32 v5, 4, v5
	s_add_i32 s35, s35, -1
	s_delay_alu instid0(SALU_CYCLE_1)
	s_cmp_lg_u32 s35, 0
	s_waitcnt lgkmcnt(0)
	v_fma_f32 v2, v21, v22, v2
	s_cbranch_scc1 .LBB51_28
.LBB51_29:                              ;   in Loop: Header=BB51_13 Depth=1
	s_or_b32 exec_lo, exec_lo, s34
	s_and_saveexec_b32 s34, s4
	s_cbranch_execz .LBB51_11
; %bb.30:                               ;   in Loop: Header=BB51_13 Depth=1
	s_and_not1_b32 vcc_lo, exec_lo, s9
	s_cbranch_vccnz .LBB51_34
; %bb.31:                               ;   in Loop: Header=BB51_13 Depth=1
	v_mov_b32_e32 v1, v19
	v_mov_b32_e32 v5, v20
	s_mov_b32 s35, 0
	.p2align	6
.LBB51_32:                              ;   Parent Loop BB51_13 Depth=1
                                        ; =>  This Inner Loop Header: Depth=2
	ds_load_b128 v[21:24], v5
	ds_load_b128 v[25:28], v1
	ds_load_b128 v[29:32], v1 offset:16
	ds_load_b128 v[33:36], v5 offset:16
	v_add_nc_u32_e32 v5, 32, v5
	v_add_nc_u32_e32 v1, 32, v1
	s_add_i32 s35, s35, 8
	s_delay_alu instid0(SALU_CYCLE_1) | instskip(SKIP_2) | instid1(VALU_DEP_1)
	s_cmp_lg_u32 s30, s35
	s_waitcnt lgkmcnt(2)
	v_fma_f32 v3, v25, v21, v3
	v_fmac_f32_e32 v3, v26, v22
	s_delay_alu instid0(VALU_DEP_1) | instskip(NEXT) | instid1(VALU_DEP_1)
	v_fmac_f32_e32 v3, v27, v23
	v_fmac_f32_e32 v3, v28, v24
	s_waitcnt lgkmcnt(0)
	s_delay_alu instid0(VALU_DEP_1) | instskip(NEXT) | instid1(VALU_DEP_1)
	v_fmac_f32_e32 v3, v29, v33
	v_fmac_f32_e32 v3, v30, v34
	s_delay_alu instid0(VALU_DEP_1) | instskip(NEXT) | instid1(VALU_DEP_1)
	v_fmac_f32_e32 v3, v31, v35
	v_fmac_f32_e32 v3, v32, v36
	s_cbranch_scc1 .LBB51_32
; %bb.33:                               ;   in Loop: Header=BB51_13 Depth=1
	s_mov_b32 s35, s30
	s_and_not1_b32 vcc_lo, exec_lo, s31
	s_cbranch_vccz .LBB51_35
	s_branch .LBB51_11
.LBB51_34:                              ;   in Loop: Header=BB51_13 Depth=1
	s_mov_b32 s35, 0
	s_and_not1_b32 vcc_lo, exec_lo, s31
	s_cbranch_vccnz .LBB51_11
.LBB51_35:                              ;   in Loop: Header=BB51_13 Depth=1
	s_lshl_b32 s35, s35, 2
	s_delay_alu instid0(SALU_CYCLE_1)
	v_add_nc_u32_e32 v1, s35, v20
	v_add_nc_u32_e32 v5, s35, v19
	s_mov_b32 s35, s8
.LBB51_36:                              ;   Parent Loop BB51_13 Depth=1
                                        ; =>  This Inner Loop Header: Depth=2
	ds_load_b32 v21, v5
	ds_load_b32 v22, v1
	v_add_nc_u32_e32 v1, 4, v1
	v_add_nc_u32_e32 v5, 4, v5
	s_add_i32 s35, s35, -1
	s_delay_alu instid0(SALU_CYCLE_1)
	s_cmp_lg_u32 s35, 0
	s_waitcnt lgkmcnt(0)
	v_fma_f32 v3, v21, v22, v3
	s_cbranch_scc1 .LBB51_36
	s_branch .LBB51_11
.LBB51_37:
	s_delay_alu instid0(VALU_DEP_1) | instskip(NEXT) | instid1(SALU_CYCLE_1)
	s_and_b32 s2, s7, s2
	s_and_saveexec_b32 s3, s2
	s_cbranch_execz .LBB51_57
; %bb.38:
	s_load_b64 s[2:3], s[0:1], 0x70
	v_mad_u64_u32 v[7:8], null, s14, s10, v[6:7]
	v_cmp_neq_f32_e64 s4, s12, 0
	s_cmp_lg_u32 s16, 1
	s_mov_b32 s0, exec_lo
	s_cselect_b32 s1, -1, 0
	s_delay_alu instid0(VALU_DEP_2) | instskip(SKIP_1) | instid1(VALU_DEP_1)
	v_ashrrev_i32_e32 v8, 31, v7
	s_waitcnt lgkmcnt(0)
	v_mul_lo_u32 v1, v8, s2
	v_mul_lo_u32 v9, v7, s3
	v_mad_u64_u32 v[5:6], null, v7, s2, 0
	v_lshlrev_b64 v[7:8], 2, v[7:8]
	s_delay_alu instid0(VALU_DEP_2) | instskip(NEXT) | instid1(VALU_DEP_1)
	v_add3_u32 v6, v6, v9, v1
	v_lshlrev_b64 v[9:10], 2, v[5:6]
	s_delay_alu instid0(VALU_DEP_3) | instskip(NEXT) | instid1(VALU_DEP_4)
	v_add_co_u32 v6, vcc_lo, s28, v7
	v_add_co_ci_u32_e32 v7, vcc_lo, s29, v8, vcc_lo
	s_delay_alu instid0(VALU_DEP_3) | instskip(NEXT) | instid1(VALU_DEP_4)
	v_add_co_u32 v8, vcc_lo, s28, v9
	v_add_co_ci_u32_e32 v9, vcc_lo, s29, v10, vcc_lo
	v_cmpx_gt_i32_e64 s11, v4
	s_cbranch_execz .LBB51_50
; %bb.39:
	v_ashrrev_i32_e32 v5, 31, v4
	s_and_b32 vcc_lo, exec_lo, s4
	s_cbranch_vccz .LBB51_45
; %bb.40:
	s_and_b32 vcc_lo, exec_lo, s1
	s_mov_b32 s5, -1
	s_cbranch_vccz .LBB51_42
; %bb.41:
	v_lshlrev_b64 v[10:11], 2, v[4:5]
	v_mul_f32_e32 v12, s6, v2
	s_mov_b32 s5, 0
	s_delay_alu instid0(VALU_DEP_2) | instskip(NEXT) | instid1(VALU_DEP_3)
	v_add_co_u32 v10, vcc_lo, v8, v10
	v_add_co_ci_u32_e32 v11, vcc_lo, v9, v11, vcc_lo
	global_load_b32 v1, v[10:11], off
	s_waitcnt vmcnt(0)
	v_fmac_f32_e32 v12, s12, v1
	global_store_b32 v[10:11], v12, off
.LBB51_42:
	s_and_not1_b32 vcc_lo, exec_lo, s5
	s_cbranch_vccnz .LBB51_44
; %bb.43:
	v_mul_lo_u32 v1, v5, s2
	v_mul_lo_u32 v12, v4, s3
	v_mad_u64_u32 v[10:11], null, v4, s2, 0
	s_delay_alu instid0(VALU_DEP_1) | instskip(SKIP_1) | instid1(VALU_DEP_2)
	v_add3_u32 v11, v11, v12, v1
	v_mul_f32_e32 v12, s6, v2
	v_lshlrev_b64 v[10:11], 2, v[10:11]
	s_delay_alu instid0(VALU_DEP_1) | instskip(NEXT) | instid1(VALU_DEP_2)
	v_add_co_u32 v10, vcc_lo, v6, v10
	v_add_co_ci_u32_e32 v11, vcc_lo, v7, v11, vcc_lo
	global_load_b32 v1, v[10:11], off
	s_waitcnt vmcnt(0)
	v_fmac_f32_e32 v12, s12, v1
	global_store_b32 v[10:11], v12, off
.LBB51_44:
	s_cbranch_execz .LBB51_46
	s_branch .LBB51_50
.LBB51_45:
.LBB51_46:
	v_mul_f32_e32 v1, s6, v2
	s_and_b32 vcc_lo, exec_lo, s1
	s_mov_b32 s5, -1
	s_cbranch_vccz .LBB51_48
; %bb.47:
	v_lshlrev_b64 v[10:11], 2, v[4:5]
	s_mov_b32 s5, 0
	s_delay_alu instid0(VALU_DEP_1) | instskip(NEXT) | instid1(VALU_DEP_2)
	v_add_co_u32 v10, vcc_lo, v8, v10
	v_add_co_ci_u32_e32 v11, vcc_lo, v9, v11, vcc_lo
	global_store_b32 v[10:11], v1, off
.LBB51_48:
	s_and_not1_b32 vcc_lo, exec_lo, s5
	s_cbranch_vccnz .LBB51_50
; %bb.49:
	v_mul_lo_u32 v2, v5, s2
	v_mul_lo_u32 v5, v4, s3
	v_mad_u64_u32 v[10:11], null, v4, s2, 0
	s_delay_alu instid0(VALU_DEP_1) | instskip(NEXT) | instid1(VALU_DEP_1)
	v_add3_u32 v11, v11, v5, v2
	v_lshlrev_b64 v[4:5], 2, v[10:11]
	s_delay_alu instid0(VALU_DEP_1) | instskip(NEXT) | instid1(VALU_DEP_2)
	v_add_co_u32 v4, vcc_lo, v6, v4
	v_add_co_ci_u32_e32 v5, vcc_lo, v7, v5, vcc_lo
	global_store_b32 v[4:5], v1, off
.LBB51_50:
	s_or_b32 exec_lo, exec_lo, s0
	v_cmp_gt_i32_e32 vcc_lo, s11, v0
	s_and_b32 exec_lo, exec_lo, vcc_lo
	s_cbranch_execz .LBB51_57
; %bb.51:
	v_cndmask_b32_e64 v2, 0, 1, s1
	v_ashrrev_i32_e32 v1, 31, v0
	s_and_not1_b32 vcc_lo, exec_lo, s4
	s_delay_alu instid0(VALU_DEP_2)
	v_cmp_ne_u32_e64 s0, 1, v2
	s_cbranch_vccnz .LBB51_58
; %bb.52:
	s_delay_alu instid0(VALU_DEP_1)
	s_and_b32 vcc_lo, exec_lo, s0
	s_mov_b32 s0, -1
	s_cbranch_vccnz .LBB51_54
; %bb.53:
	v_lshlrev_b64 v[4:5], 2, v[0:1]
	v_mul_f32_e32 v10, s6, v3
	s_mov_b32 s0, 0
	s_delay_alu instid0(VALU_DEP_2) | instskip(NEXT) | instid1(VALU_DEP_3)
	v_add_co_u32 v4, vcc_lo, v8, v4
	v_add_co_ci_u32_e32 v5, vcc_lo, v9, v5, vcc_lo
	global_load_b32 v2, v[4:5], off
	s_waitcnt vmcnt(0)
	v_fmac_f32_e32 v10, s12, v2
	global_store_b32 v[4:5], v10, off
.LBB51_54:
	s_and_not1_b32 vcc_lo, exec_lo, s0
	s_cbranch_vccnz .LBB51_56
; %bb.55:
	v_mul_lo_u32 v2, v1, s2
	v_mul_lo_u32 v10, v0, s3
	v_mad_u64_u32 v[4:5], null, v0, s2, 0
	s_delay_alu instid0(VALU_DEP_1) | instskip(SKIP_1) | instid1(VALU_DEP_2)
	v_add3_u32 v5, v5, v10, v2
	v_mul_f32_e32 v10, s6, v3
	v_lshlrev_b64 v[4:5], 2, v[4:5]
	s_delay_alu instid0(VALU_DEP_1) | instskip(NEXT) | instid1(VALU_DEP_2)
	v_add_co_u32 v4, vcc_lo, v6, v4
	v_add_co_ci_u32_e32 v5, vcc_lo, v7, v5, vcc_lo
	global_load_b32 v2, v[4:5], off
	s_waitcnt vmcnt(0)
	v_fmac_f32_e32 v10, s12, v2
	global_store_b32 v[4:5], v10, off
.LBB51_56:
	s_cbranch_execz .LBB51_59
.LBB51_57:
	s_nop 0
	s_sendmsg sendmsg(MSG_DEALLOC_VGPRS)
	s_endpgm
.LBB51_58:
.LBB51_59:
	v_mul_f32_e32 v2, s6, v3
	s_and_not1_b32 vcc_lo, exec_lo, s1
	s_mov_b32 s0, -1
	s_cbranch_vccnz .LBB51_61
; %bb.60:
	v_lshlrev_b64 v[3:4], 2, v[0:1]
	s_mov_b32 s0, 0
	s_delay_alu instid0(VALU_DEP_1) | instskip(NEXT) | instid1(VALU_DEP_2)
	v_add_co_u32 v3, vcc_lo, v8, v3
	v_add_co_ci_u32_e32 v4, vcc_lo, v9, v4, vcc_lo
	global_store_b32 v[3:4], v2, off
.LBB51_61:
	s_and_not1_b32 vcc_lo, exec_lo, s0
	s_cbranch_vccnz .LBB51_57
; %bb.62:
	v_mul_lo_u32 v1, v1, s2
	v_mul_lo_u32 v5, v0, s3
	v_mad_u64_u32 v[3:4], null, v0, s2, 0
	s_delay_alu instid0(VALU_DEP_1) | instskip(NEXT) | instid1(VALU_DEP_1)
	v_add3_u32 v4, v4, v5, v1
	v_lshlrev_b64 v[0:1], 2, v[3:4]
	s_delay_alu instid0(VALU_DEP_1) | instskip(NEXT) | instid1(VALU_DEP_2)
	v_add_co_u32 v0, vcc_lo, v6, v0
	v_add_co_ci_u32_e32 v1, vcc_lo, v7, v1, vcc_lo
	global_store_b32 v[0:1], v2, off
	s_nop 0
	s_sendmsg sendmsg(MSG_DEALLOC_VGPRS)
	s_endpgm
	.section	.rodata,"a",@progbits
	.p2align	6, 0x0
	.amdhsa_kernel _ZN9rocsparseL31bsrmm_large_blockdim_kernel_extILj32ELj32ELj2EiiDF16_DF16_ffEEvb20rocsparse_direction_T3_S2_llNS_24const_host_device_scalarIT7_EEPKT2_PKS2_PKT4_S2_PKT5_llS5_PT6_ll16rocsparse_order_21rocsparse_index_base_b
		.amdhsa_group_segment_fixed_size 12288
		.amdhsa_private_segment_fixed_size 0
		.amdhsa_kernarg_size 140
		.amdhsa_user_sgpr_count 14
		.amdhsa_user_sgpr_dispatch_ptr 0
		.amdhsa_user_sgpr_queue_ptr 0
		.amdhsa_user_sgpr_kernarg_segment_ptr 1
		.amdhsa_user_sgpr_dispatch_id 0
		.amdhsa_user_sgpr_private_segment_size 0
		.amdhsa_wavefront_size32 1
		.amdhsa_uses_dynamic_stack 0
		.amdhsa_enable_private_segment 0
		.amdhsa_system_sgpr_workgroup_id_x 1
		.amdhsa_system_sgpr_workgroup_id_y 1
		.amdhsa_system_sgpr_workgroup_id_z 0
		.amdhsa_system_sgpr_workgroup_info 0
		.amdhsa_system_vgpr_workitem_id 1
		.amdhsa_next_free_vgpr 37
		.amdhsa_next_free_sgpr 38
		.amdhsa_reserve_vcc 1
		.amdhsa_float_round_mode_32 0
		.amdhsa_float_round_mode_16_64 0
		.amdhsa_float_denorm_mode_32 3
		.amdhsa_float_denorm_mode_16_64 3
		.amdhsa_dx10_clamp 1
		.amdhsa_ieee_mode 1
		.amdhsa_fp16_overflow 0
		.amdhsa_workgroup_processor_mode 1
		.amdhsa_memory_ordered 1
		.amdhsa_forward_progress 0
		.amdhsa_shared_vgpr_count 0
		.amdhsa_exception_fp_ieee_invalid_op 0
		.amdhsa_exception_fp_denorm_src 0
		.amdhsa_exception_fp_ieee_div_zero 0
		.amdhsa_exception_fp_ieee_overflow 0
		.amdhsa_exception_fp_ieee_underflow 0
		.amdhsa_exception_fp_ieee_inexact 0
		.amdhsa_exception_int_div_zero 0
	.end_amdhsa_kernel
	.section	.text._ZN9rocsparseL31bsrmm_large_blockdim_kernel_extILj32ELj32ELj2EiiDF16_DF16_ffEEvb20rocsparse_direction_T3_S2_llNS_24const_host_device_scalarIT7_EEPKT2_PKS2_PKT4_S2_PKT5_llS5_PT6_ll16rocsparse_order_21rocsparse_index_base_b,"axG",@progbits,_ZN9rocsparseL31bsrmm_large_blockdim_kernel_extILj32ELj32ELj2EiiDF16_DF16_ffEEvb20rocsparse_direction_T3_S2_llNS_24const_host_device_scalarIT7_EEPKT2_PKS2_PKT4_S2_PKT5_llS5_PT6_ll16rocsparse_order_21rocsparse_index_base_b,comdat
.Lfunc_end51:
	.size	_ZN9rocsparseL31bsrmm_large_blockdim_kernel_extILj32ELj32ELj2EiiDF16_DF16_ffEEvb20rocsparse_direction_T3_S2_llNS_24const_host_device_scalarIT7_EEPKT2_PKS2_PKT4_S2_PKT5_llS5_PT6_ll16rocsparse_order_21rocsparse_index_base_b, .Lfunc_end51-_ZN9rocsparseL31bsrmm_large_blockdim_kernel_extILj32ELj32ELj2EiiDF16_DF16_ffEEvb20rocsparse_direction_T3_S2_llNS_24const_host_device_scalarIT7_EEPKT2_PKS2_PKT4_S2_PKT5_llS5_PT6_ll16rocsparse_order_21rocsparse_index_base_b
                                        ; -- End function
	.section	.AMDGPU.csdata,"",@progbits
; Kernel info:
; codeLenInByte = 2424
; NumSgprs: 40
; NumVgprs: 37
; ScratchSize: 0
; MemoryBound: 0
; FloatMode: 240
; IeeeMode: 1
; LDSByteSize: 12288 bytes/workgroup (compile time only)
; SGPRBlocks: 4
; VGPRBlocks: 4
; NumSGPRsForWavesPerEU: 40
; NumVGPRsForWavesPerEU: 37
; Occupancy: 16
; WaveLimiterHint : 1
; COMPUTE_PGM_RSRC2:SCRATCH_EN: 0
; COMPUTE_PGM_RSRC2:USER_SGPR: 14
; COMPUTE_PGM_RSRC2:TRAP_HANDLER: 0
; COMPUTE_PGM_RSRC2:TGID_X_EN: 1
; COMPUTE_PGM_RSRC2:TGID_Y_EN: 1
; COMPUTE_PGM_RSRC2:TGID_Z_EN: 0
; COMPUTE_PGM_RSRC2:TIDIG_COMP_CNT: 1
	.section	.text._ZN9rocsparseL31bsrmm_large_blockdim_kernel_extILj8ELj8ELj2EliDF16_DF16_ffEEvb20rocsparse_direction_T3_S2_llNS_24const_host_device_scalarIT7_EEPKT2_PKS2_PKT4_S2_PKT5_llS5_PT6_ll16rocsparse_order_21rocsparse_index_base_b,"axG",@progbits,_ZN9rocsparseL31bsrmm_large_blockdim_kernel_extILj8ELj8ELj2EliDF16_DF16_ffEEvb20rocsparse_direction_T3_S2_llNS_24const_host_device_scalarIT7_EEPKT2_PKS2_PKT4_S2_PKT5_llS5_PT6_ll16rocsparse_order_21rocsparse_index_base_b,comdat
	.globl	_ZN9rocsparseL31bsrmm_large_blockdim_kernel_extILj8ELj8ELj2EliDF16_DF16_ffEEvb20rocsparse_direction_T3_S2_llNS_24const_host_device_scalarIT7_EEPKT2_PKS2_PKT4_S2_PKT5_llS5_PT6_ll16rocsparse_order_21rocsparse_index_base_b ; -- Begin function _ZN9rocsparseL31bsrmm_large_blockdim_kernel_extILj8ELj8ELj2EliDF16_DF16_ffEEvb20rocsparse_direction_T3_S2_llNS_24const_host_device_scalarIT7_EEPKT2_PKS2_PKT4_S2_PKT5_llS5_PT6_ll16rocsparse_order_21rocsparse_index_base_b
	.p2align	8
	.type	_ZN9rocsparseL31bsrmm_large_blockdim_kernel_extILj8ELj8ELj2EliDF16_DF16_ffEEvb20rocsparse_direction_T3_S2_llNS_24const_host_device_scalarIT7_EEPKT2_PKS2_PKT4_S2_PKT5_llS5_PT6_ll16rocsparse_order_21rocsparse_index_base_b,@function
_ZN9rocsparseL31bsrmm_large_blockdim_kernel_extILj8ELj8ELj2EliDF16_DF16_ffEEvb20rocsparse_direction_T3_S2_llNS_24const_host_device_scalarIT7_EEPKT2_PKS2_PKT4_S2_PKT5_llS5_PT6_ll16rocsparse_order_21rocsparse_index_base_b: ; @_ZN9rocsparseL31bsrmm_large_blockdim_kernel_extILj8ELj8ELj2EliDF16_DF16_ffEEvb20rocsparse_direction_T3_S2_llNS_24const_host_device_scalarIT7_EEPKT2_PKS2_PKT4_S2_PKT5_llS5_PT6_ll16rocsparse_order_21rocsparse_index_base_b
; %bb.0:
	s_clause 0x2
	s_load_b128 s[16:19], s[0:1], 0x80
	s_load_b64 s[6:7], s[0:1], 0x20
	s_load_b64 s[12:13], s[0:1], 0x60
	s_mov_b32 s2, s15
	s_waitcnt lgkmcnt(0)
	s_bitcmp1_b32 s18, 0
	s_cselect_b32 s3, -1, 0
	s_delay_alu instid0(SALU_CYCLE_1)
	s_and_b32 vcc_lo, exec_lo, s3
	s_xor_b32 s3, s3, -1
	s_cbranch_vccnz .LBB52_2
; %bb.1:
	s_load_b32 s6, s[6:7], 0x0
.LBB52_2:
	s_and_not1_b32 vcc_lo, exec_lo, s3
	s_cbranch_vccnz .LBB52_4
; %bb.3:
	s_load_b32 s12, s[12:13], 0x0
.LBB52_4:
	s_waitcnt lgkmcnt(0)
	v_cmp_eq_f32_e64 s3, s6, 0
	v_cmp_eq_f32_e64 s4, s12, 1.0
	s_delay_alu instid0(VALU_DEP_1) | instskip(NEXT) | instid1(SALU_CYCLE_1)
	s_and_b32 s3, s3, s4
	s_and_b32 vcc_lo, exec_lo, s3
	s_cbranch_vccnz .LBB52_57
; %bb.5:
	s_clause 0x1
	s_load_b128 s[8:11], s[0:1], 0x0
	s_load_b64 s[4:5], s[0:1], 0x28
	s_mov_b64 s[28:29], 0
	s_mov_b64 s[30:31], 0
	s_waitcnt lgkmcnt(0)
	s_cmp_lt_i32 s14, s10
	s_cselect_b32 s7, -1, 0
	s_cmp_ge_i32 s14, s10
	s_cbranch_scc1 .LBB52_7
; %bb.6:
	s_ashr_i32 s15, s14, 31
	s_delay_alu instid0(SALU_CYCLE_1) | instskip(NEXT) | instid1(SALU_CYCLE_1)
	s_lshl_b64 s[18:19], s[14:15], 3
	s_add_u32 s18, s4, s18
	s_addc_u32 s19, s5, s19
	s_load_b64 s[18:19], s[18:19], 0x0
	s_waitcnt lgkmcnt(0)
	s_sub_u32 s30, s18, s17
	s_subb_u32 s31, s19, 0
.LBB52_7:
	s_and_not1_b32 vcc_lo, exec_lo, s7
	s_cbranch_vccnz .LBB52_9
; %bb.8:
	s_ashr_i32 s15, s14, 31
	s_delay_alu instid0(SALU_CYCLE_1) | instskip(NEXT) | instid1(SALU_CYCLE_1)
	s_lshl_b64 s[18:19], s[14:15], 3
	s_add_u32 s4, s4, s18
	s_addc_u32 s5, s5, s19
	s_load_b64 s[4:5], s[4:5], 0x8
	s_waitcnt lgkmcnt(0)
	s_sub_u32 s28, s4, s17
	s_subb_u32 s29, s5, 0
.LBB52_9:
	s_clause 0x1
	s_load_b32 s10, s[0:1], 0x40
	s_load_b64 s[18:19], s[0:1], 0x68
	v_bfe_u32 v7, v0, 10, 10
	s_mov_b32 s34, 0
	s_delay_alu instid0(SALU_CYCLE_1) | instskip(SKIP_1) | instid1(VALU_DEP_2)
	s_mov_b32 s35, s34
	v_and_b32_e32 v6, 0x3ff, v0
	v_lshl_add_u32 v2, s2, 4, v7
	v_cmp_ge_i64_e64 s2, s[30:31], s[28:29]
	v_dual_mov_b32 v4, s34 :: v_dual_mov_b32 v5, s35
	s_delay_alu instid0(VALU_DEP_3) | instskip(SKIP_1) | instid1(VALU_DEP_4)
	v_add_nc_u32_e32 v0, 8, v2
	v_cmp_gt_i32_e64 s3, s11, v2
	s_and_b32 vcc_lo, exec_lo, s2
	s_delay_alu instid0(VALU_DEP_2)
	v_cmp_gt_i32_e64 s4, s11, v0
	s_waitcnt lgkmcnt(0)
	v_cmp_gt_i32_e64 s2, s10, v6
	s_cbranch_vccnz .LBB52_37
; %bb.10:
	s_clause 0x1
	s_load_b128 s[20:23], s[0:1], 0x30
	s_load_b128 s[24:27], s[0:1], 0x48
	v_mul_lo_u32 v4, v7, s10
	v_dual_mov_b32 v5, 0 :: v_dual_lshlrev_b32 v10, 3, v7
	v_cmp_gt_i32_e32 vcc_lo, s10, v7
	v_lshlrev_b32_e32 v1, 1, v6
	v_ashrrev_i32_e32 v3, 31, v2
	v_lshl_add_u32 v13, v6, 3, v7
	v_lshlrev_b64 v[8:9], 1, v[4:5]
	v_mul_lo_u32 v4, v6, s10
	s_and_b32 s13, s2, vcc_lo
	s_bitcmp1_b32 s8, 0
	v_lshl_add_u32 v15, v13, 2, 0x200
	s_cselect_b32 s5, -1, 0
	s_cmp_eq_u32 s9, 0
	s_delay_alu instid0(VALU_DEP_2) | instskip(SKIP_4) | instid1(VALU_DEP_3)
	v_lshlrev_b64 v[4:5], 1, v[4:5]
	s_waitcnt lgkmcnt(0)
	v_add_co_u32 v8, vcc_lo, s22, v8
	v_add_co_ci_u32_e32 v9, vcc_lo, s23, v9, vcc_lo
	v_mul_lo_u32 v18, v2, s27
	v_add_co_u32 v14, vcc_lo, v8, v1
	v_ashrrev_i32_e32 v1, 31, v0
	s_delay_alu instid0(VALU_DEP_4)
	v_add_co_ci_u32_e32 v17, vcc_lo, 0, v9, vcc_lo
	v_mul_lo_u32 v19, v3, s26
	v_mad_u64_u32 v[8:9], null, v2, s26, 0
	v_mul_lo_u32 v20, v0, s27
	v_mul_lo_u32 v21, v1, s26
	v_mad_u64_u32 v[11:12], null, v0, s26, 0
	v_add_co_u32 v4, vcc_lo, s22, v4
	v_lshlrev_b32_e32 v16, 1, v7
	v_add_co_ci_u32_e32 v5, vcc_lo, s23, v5, vcc_lo
	v_add3_u32 v9, v9, v18, v19
	v_add3_u32 v12, v12, v20, v21
	s_delay_alu instid0(VALU_DEP_4) | instskip(NEXT) | instid1(VALU_DEP_4)
	v_add_co_u32 v4, vcc_lo, v4, v16
	v_add_co_ci_u32_e32 v5, vcc_lo, 0, v5, vcc_lo
	v_lshlrev_b32_e32 v19, 5, v7
	s_cselect_b32 vcc_lo, -1, 0
	s_add_i32 s9, s10, -1
	s_and_b32 s8, s10, 7
	s_cmp_gt_u32 s9, 6
	v_add_lshl_u32 v16, v10, v6, 2
	v_dual_cndmask_b32 v17, v17, v5 :: v_dual_cndmask_b32 v18, v14, v4
	v_mov_b32_e32 v4, s34
	v_lshlrev_b64 v[7:8], 1, v[8:9]
	v_lshlrev_b64 v[9:10], 1, v[2:3]
	v_lshlrev_b64 v[11:12], 1, v[11:12]
	v_lshlrev_b64 v[13:14], 1, v[0:1]
	s_cselect_b32 s9, -1, 0
	s_and_b32 s15, s10, -8
	v_lshl_add_u32 v20, v6, 5, 0x200
	v_add_nc_u32_e32 v21, 0x100, v19
	v_mov_b32_e32 v5, s35
	s_cmp_lg_u32 s8, 0
	s_mul_i32 s23, s10, s10
	s_cselect_b32 s22, -1, 0
	s_branch .LBB52_13
.LBB52_11:                              ;   in Loop: Header=BB52_13 Depth=1
	s_or_b32 exec_lo, exec_lo, s34
.LBB52_12:                              ;   in Loop: Header=BB52_13 Depth=1
	s_delay_alu instid0(SALU_CYCLE_1) | instskip(SKIP_2) | instid1(SALU_CYCLE_1)
	s_or_b32 exec_lo, exec_lo, s33
	s_add_u32 s30, s30, 1
	s_addc_u32 s31, s31, 0
	v_cmp_ge_i64_e64 s33, s[30:31], s[28:29]
	s_barrier
	buffer_gl0_inv
	s_and_b32 vcc_lo, exec_lo, s33
	s_cbranch_vccnz .LBB52_37
.LBB52_13:                              ; =>This Loop Header: Depth=1
                                        ;     Child Loop BB52_24 Depth 2
                                        ;     Child Loop BB52_28 Depth 2
	;; [unrolled: 1-line block ×4, first 2 shown]
	s_and_saveexec_b32 s33, s2
	s_cbranch_execz .LBB52_18
; %bb.14:                               ;   in Loop: Header=BB52_13 Depth=1
	s_lshl_b64 s[34:35], s[30:31], 2
	s_delay_alu instid0(SALU_CYCLE_1) | instskip(SKIP_4) | instid1(SALU_CYCLE_1)
	s_add_u32 s34, s20, s34
	s_addc_u32 s35, s21, s35
	s_load_b32 s34, s[34:35], 0x0
	s_waitcnt lgkmcnt(0)
	s_sub_i32 s34, s34, s17
	v_mad_u64_u32 v[22:23], null, s34, s10, v[6:7]
	s_delay_alu instid0(VALU_DEP_1) | instskip(SKIP_2) | instid1(VALU_DEP_3)
	v_ashrrev_i32_e32 v23, 31, v22
	v_mul_lo_u32 v1, v22, s27
	v_mad_u64_u32 v[24:25], null, v22, s26, 0
	v_mul_lo_u32 v3, v23, s26
	v_lshlrev_b64 v[22:23], 1, v[22:23]
	s_delay_alu instid0(VALU_DEP_2) | instskip(NEXT) | instid1(VALU_DEP_1)
	v_add3_u32 v25, v25, v1, v3
	v_lshlrev_b64 v[24:25], 1, v[24:25]
	s_delay_alu instid0(VALU_DEP_1) | instskip(NEXT) | instid1(VALU_DEP_2)
	v_add_co_u32 v1, vcc_lo, s24, v24
	v_add_co_ci_u32_e32 v3, vcc_lo, s25, v25, vcc_lo
	v_add_co_u32 v22, vcc_lo, s24, v22
	v_add_co_ci_u32_e32 v23, vcc_lo, s25, v23, vcc_lo
	s_and_saveexec_b32 s34, s3
	s_cbranch_execz .LBB52_16
; %bb.15:                               ;   in Loop: Header=BB52_13 Depth=1
	s_delay_alu instid0(VALU_DEP_2) | instskip(NEXT) | instid1(VALU_DEP_2)
	v_add_co_u32 v24, vcc_lo, v22, v7
	v_add_co_ci_u32_e32 v25, vcc_lo, v23, v8, vcc_lo
	v_add_co_u32 v26, vcc_lo, v1, v9
	v_add_co_ci_u32_e32 v27, vcc_lo, v3, v10, vcc_lo
	s_delay_alu instid0(VALU_DEP_2) | instskip(NEXT) | instid1(VALU_DEP_2)
	v_cndmask_b32_e64 v24, v26, v24, s5
	v_cndmask_b32_e64 v25, v27, v25, s5
	global_load_u16 v24, v[24:25], off
	s_waitcnt vmcnt(0)
	v_cvt_f32_f16_e32 v24, v24
	ds_store_b32 v16, v24
.LBB52_16:                              ;   in Loop: Header=BB52_13 Depth=1
	s_or_b32 exec_lo, exec_lo, s34
	s_delay_alu instid0(SALU_CYCLE_1)
	s_and_b32 exec_lo, exec_lo, s4
	s_cbranch_execz .LBB52_18
; %bb.17:                               ;   in Loop: Header=BB52_13 Depth=1
	v_add_co_u32 v22, vcc_lo, v22, v11
	v_add_co_ci_u32_e32 v23, vcc_lo, v23, v12, vcc_lo
	v_add_co_u32 v1, vcc_lo, v1, v13
	v_add_co_ci_u32_e32 v3, vcc_lo, v3, v14, vcc_lo
	s_delay_alu instid0(VALU_DEP_2) | instskip(NEXT) | instid1(VALU_DEP_2)
	v_cndmask_b32_e64 v22, v1, v22, s5
	v_cndmask_b32_e64 v23, v3, v23, s5
	global_load_u16 v1, v[22:23], off
	s_waitcnt vmcnt(0)
	v_cvt_f32_f16_e32 v1, v1
	ds_store_b32 v16, v1 offset:256
.LBB52_18:                              ;   in Loop: Header=BB52_13 Depth=1
	s_or_b32 exec_lo, exec_lo, s33
	s_and_saveexec_b32 s33, s13
	s_cbranch_execz .LBB52_20
; %bb.19:                               ;   in Loop: Header=BB52_13 Depth=1
	s_mul_i32 s35, s31, s23
	s_mul_hi_u32 s36, s30, s23
	s_mul_i32 s34, s30, s23
	s_add_i32 s35, s36, s35
	s_delay_alu instid0(SALU_CYCLE_1) | instskip(NEXT) | instid1(SALU_CYCLE_1)
	s_lshl_b64 s[34:35], s[34:35], 1
	v_add_co_u32 v22, vcc_lo, v18, s34
	v_add_co_ci_u32_e32 v23, vcc_lo, s35, v17, vcc_lo
	global_load_u16 v1, v[22:23], off
	s_waitcnt vmcnt(0)
	v_cvt_f32_f16_e32 v1, v1
	ds_store_b32 v15, v1
.LBB52_20:                              ;   in Loop: Header=BB52_13 Depth=1
	s_or_b32 exec_lo, exec_lo, s33
	s_waitcnt lgkmcnt(0)
	s_barrier
	buffer_gl0_inv
	s_and_saveexec_b32 s33, s2
	s_cbranch_execz .LBB52_12
; %bb.21:                               ;   in Loop: Header=BB52_13 Depth=1
	s_and_saveexec_b32 s34, s3
	s_cbranch_execz .LBB52_29
; %bb.22:                               ;   in Loop: Header=BB52_13 Depth=1
	s_and_not1_b32 vcc_lo, exec_lo, s9
	s_cbranch_vccnz .LBB52_26
; %bb.23:                               ;   in Loop: Header=BB52_13 Depth=1
	v_mov_b32_e32 v1, v20
	v_mov_b32_e32 v3, v19
	s_mov_b32 s35, 0
	.p2align	6
.LBB52_24:                              ;   Parent Loop BB52_13 Depth=1
                                        ; =>  This Inner Loop Header: Depth=2
	ds_load_b128 v[22:25], v3
	ds_load_b128 v[26:29], v1
	ds_load_b128 v[30:33], v1 offset:16
	ds_load_b128 v[34:37], v3 offset:16
	s_add_i32 s35, s35, 8
	v_add_nc_u32_e32 v1, 32, v1
	s_cmp_lg_u32 s15, s35
	v_add_nc_u32_e32 v3, 32, v3
	s_waitcnt lgkmcnt(2)
	v_fma_f32 v4, v26, v22, v4
	s_delay_alu instid0(VALU_DEP_1) | instskip(NEXT) | instid1(VALU_DEP_1)
	v_fmac_f32_e32 v4, v27, v23
	v_fmac_f32_e32 v4, v28, v24
	s_delay_alu instid0(VALU_DEP_1) | instskip(SKIP_1) | instid1(VALU_DEP_1)
	v_fmac_f32_e32 v4, v29, v25
	s_waitcnt lgkmcnt(0)
	v_fmac_f32_e32 v4, v30, v34
	s_delay_alu instid0(VALU_DEP_1) | instskip(NEXT) | instid1(VALU_DEP_1)
	v_fmac_f32_e32 v4, v31, v35
	v_fmac_f32_e32 v4, v32, v36
	s_delay_alu instid0(VALU_DEP_1)
	v_fmac_f32_e32 v4, v33, v37
	s_cbranch_scc1 .LBB52_24
; %bb.25:                               ;   in Loop: Header=BB52_13 Depth=1
	s_mov_b32 s35, s15
	s_and_not1_b32 vcc_lo, exec_lo, s22
	s_cbranch_vccz .LBB52_27
	s_branch .LBB52_29
.LBB52_26:                              ;   in Loop: Header=BB52_13 Depth=1
	s_mov_b32 s35, 0
	s_and_not1_b32 vcc_lo, exec_lo, s22
	s_cbranch_vccnz .LBB52_29
.LBB52_27:                              ;   in Loop: Header=BB52_13 Depth=1
	s_lshl_b32 s35, s35, 2
	s_delay_alu instid0(SALU_CYCLE_1)
	v_add_nc_u32_e32 v1, s35, v19
	v_add_nc_u32_e32 v3, s35, v20
	s_mov_b32 s35, s8
.LBB52_28:                              ;   Parent Loop BB52_13 Depth=1
                                        ; =>  This Inner Loop Header: Depth=2
	ds_load_b32 v22, v3
	ds_load_b32 v23, v1
	v_add_nc_u32_e32 v1, 4, v1
	v_add_nc_u32_e32 v3, 4, v3
	s_add_i32 s35, s35, -1
	s_delay_alu instid0(SALU_CYCLE_1)
	s_cmp_lg_u32 s35, 0
	s_waitcnt lgkmcnt(0)
	v_fma_f32 v4, v22, v23, v4
	s_cbranch_scc1 .LBB52_28
.LBB52_29:                              ;   in Loop: Header=BB52_13 Depth=1
	s_or_b32 exec_lo, exec_lo, s34
	s_and_saveexec_b32 s34, s4
	s_cbranch_execz .LBB52_11
; %bb.30:                               ;   in Loop: Header=BB52_13 Depth=1
	s_and_not1_b32 vcc_lo, exec_lo, s9
	s_cbranch_vccnz .LBB52_34
; %bb.31:                               ;   in Loop: Header=BB52_13 Depth=1
	v_mov_b32_e32 v1, v20
	v_mov_b32_e32 v3, v21
	s_mov_b32 s35, 0
	.p2align	6
.LBB52_32:                              ;   Parent Loop BB52_13 Depth=1
                                        ; =>  This Inner Loop Header: Depth=2
	ds_load_b128 v[22:25], v3
	ds_load_b128 v[26:29], v1
	ds_load_b128 v[30:33], v1 offset:16
	ds_load_b128 v[34:37], v3 offset:16
	v_add_nc_u32_e32 v3, 32, v3
	v_add_nc_u32_e32 v1, 32, v1
	s_add_i32 s35, s35, 8
	s_delay_alu instid0(SALU_CYCLE_1) | instskip(SKIP_2) | instid1(VALU_DEP_1)
	s_cmp_lg_u32 s15, s35
	s_waitcnt lgkmcnt(2)
	v_fma_f32 v5, v26, v22, v5
	v_fmac_f32_e32 v5, v27, v23
	s_delay_alu instid0(VALU_DEP_1) | instskip(NEXT) | instid1(VALU_DEP_1)
	v_fmac_f32_e32 v5, v28, v24
	v_fmac_f32_e32 v5, v29, v25
	s_waitcnt lgkmcnt(0)
	s_delay_alu instid0(VALU_DEP_1) | instskip(NEXT) | instid1(VALU_DEP_1)
	v_fmac_f32_e32 v5, v30, v34
	v_fmac_f32_e32 v5, v31, v35
	s_delay_alu instid0(VALU_DEP_1) | instskip(NEXT) | instid1(VALU_DEP_1)
	v_fmac_f32_e32 v5, v32, v36
	v_fmac_f32_e32 v5, v33, v37
	s_cbranch_scc1 .LBB52_32
; %bb.33:                               ;   in Loop: Header=BB52_13 Depth=1
	s_mov_b32 s35, s15
	s_and_not1_b32 vcc_lo, exec_lo, s22
	s_cbranch_vccz .LBB52_35
	s_branch .LBB52_11
.LBB52_34:                              ;   in Loop: Header=BB52_13 Depth=1
	s_mov_b32 s35, 0
	s_and_not1_b32 vcc_lo, exec_lo, s22
	s_cbranch_vccnz .LBB52_11
.LBB52_35:                              ;   in Loop: Header=BB52_13 Depth=1
	s_lshl_b32 s35, s35, 2
	s_delay_alu instid0(SALU_CYCLE_1)
	v_add_nc_u32_e32 v1, s35, v21
	v_add_nc_u32_e32 v3, s35, v20
	s_mov_b32 s35, s8
.LBB52_36:                              ;   Parent Loop BB52_13 Depth=1
                                        ; =>  This Inner Loop Header: Depth=2
	ds_load_b32 v22, v3
	ds_load_b32 v23, v1
	v_add_nc_u32_e32 v1, 4, v1
	v_add_nc_u32_e32 v3, 4, v3
	s_add_i32 s35, s35, -1
	s_delay_alu instid0(SALU_CYCLE_1)
	s_cmp_lg_u32 s35, 0
	s_waitcnt lgkmcnt(0)
	v_fma_f32 v5, v22, v23, v5
	s_cbranch_scc1 .LBB52_36
	s_branch .LBB52_11
.LBB52_37:
	s_delay_alu instid0(VALU_DEP_1) | instskip(NEXT) | instid1(SALU_CYCLE_1)
	s_and_b32 s2, s7, s2
	s_and_saveexec_b32 s3, s2
	s_cbranch_execz .LBB52_57
; %bb.38:
	s_load_b64 s[2:3], s[0:1], 0x70
	v_mad_u64_u32 v[7:8], null, s14, s10, v[6:7]
	v_cmp_neq_f32_e64 s4, s12, 0
	s_cmp_lg_u32 s16, 1
	s_mov_b32 s0, exec_lo
	s_cselect_b32 s1, -1, 0
	s_delay_alu instid0(VALU_DEP_2) | instskip(SKIP_1) | instid1(VALU_DEP_1)
	v_ashrrev_i32_e32 v8, 31, v7
	s_waitcnt lgkmcnt(0)
	v_mul_lo_u32 v1, v8, s2
	v_mul_lo_u32 v3, v7, s3
	v_mad_u64_u32 v[9:10], null, v7, s2, 0
	v_lshlrev_b64 v[6:7], 2, v[7:8]
	s_delay_alu instid0(VALU_DEP_1) | instskip(NEXT) | instid1(VALU_DEP_3)
	v_add_co_u32 v6, vcc_lo, s18, v6
	v_add3_u32 v10, v10, v3, v1
	s_delay_alu instid0(VALU_DEP_3) | instskip(NEXT) | instid1(VALU_DEP_2)
	v_add_co_ci_u32_e32 v7, vcc_lo, s19, v7, vcc_lo
	v_lshlrev_b64 v[8:9], 2, v[9:10]
	s_delay_alu instid0(VALU_DEP_1) | instskip(NEXT) | instid1(VALU_DEP_2)
	v_add_co_u32 v8, vcc_lo, s18, v8
	v_add_co_ci_u32_e32 v9, vcc_lo, s19, v9, vcc_lo
	v_cmpx_gt_i32_e64 s11, v2
	s_cbranch_execz .LBB52_50
; %bb.39:
	v_ashrrev_i32_e32 v3, 31, v2
	s_and_b32 vcc_lo, exec_lo, s4
	s_cbranch_vccz .LBB52_45
; %bb.40:
	s_and_b32 vcc_lo, exec_lo, s1
	s_mov_b32 s5, -1
	s_cbranch_vccz .LBB52_42
; %bb.41:
	v_lshlrev_b64 v[10:11], 2, v[2:3]
	v_mul_f32_e32 v12, s6, v4
	s_mov_b32 s5, 0
	s_delay_alu instid0(VALU_DEP_2) | instskip(NEXT) | instid1(VALU_DEP_3)
	v_add_co_u32 v10, vcc_lo, v8, v10
	v_add_co_ci_u32_e32 v11, vcc_lo, v9, v11, vcc_lo
	global_load_b32 v1, v[10:11], off
	s_waitcnt vmcnt(0)
	v_fmac_f32_e32 v12, s12, v1
	global_store_b32 v[10:11], v12, off
.LBB52_42:
	s_and_not1_b32 vcc_lo, exec_lo, s5
	s_cbranch_vccnz .LBB52_44
; %bb.43:
	v_mul_lo_u32 v1, v3, s2
	v_mul_lo_u32 v12, v2, s3
	v_mad_u64_u32 v[10:11], null, v2, s2, 0
	s_delay_alu instid0(VALU_DEP_1) | instskip(SKIP_1) | instid1(VALU_DEP_2)
	v_add3_u32 v11, v11, v12, v1
	v_mul_f32_e32 v12, s6, v4
	v_lshlrev_b64 v[10:11], 2, v[10:11]
	s_delay_alu instid0(VALU_DEP_1) | instskip(NEXT) | instid1(VALU_DEP_2)
	v_add_co_u32 v10, vcc_lo, v6, v10
	v_add_co_ci_u32_e32 v11, vcc_lo, v7, v11, vcc_lo
	global_load_b32 v1, v[10:11], off
	s_waitcnt vmcnt(0)
	v_fmac_f32_e32 v12, s12, v1
	global_store_b32 v[10:11], v12, off
.LBB52_44:
	s_cbranch_execz .LBB52_46
	s_branch .LBB52_50
.LBB52_45:
.LBB52_46:
	v_mul_f32_e32 v1, s6, v4
	s_and_b32 vcc_lo, exec_lo, s1
	s_mov_b32 s5, -1
	s_cbranch_vccz .LBB52_48
; %bb.47:
	v_lshlrev_b64 v[10:11], 2, v[2:3]
	s_mov_b32 s5, 0
	s_delay_alu instid0(VALU_DEP_1) | instskip(NEXT) | instid1(VALU_DEP_2)
	v_add_co_u32 v10, vcc_lo, v8, v10
	v_add_co_ci_u32_e32 v11, vcc_lo, v9, v11, vcc_lo
	global_store_b32 v[10:11], v1, off
.LBB52_48:
	s_and_not1_b32 vcc_lo, exec_lo, s5
	s_cbranch_vccnz .LBB52_50
; %bb.49:
	v_mul_lo_u32 v10, v3, s2
	v_mul_lo_u32 v11, v2, s3
	v_mad_u64_u32 v[3:4], null, v2, s2, 0
	s_delay_alu instid0(VALU_DEP_1) | instskip(NEXT) | instid1(VALU_DEP_1)
	v_add3_u32 v4, v4, v11, v10
	v_lshlrev_b64 v[2:3], 2, v[3:4]
	s_delay_alu instid0(VALU_DEP_1) | instskip(NEXT) | instid1(VALU_DEP_2)
	v_add_co_u32 v2, vcc_lo, v6, v2
	v_add_co_ci_u32_e32 v3, vcc_lo, v7, v3, vcc_lo
	global_store_b32 v[2:3], v1, off
.LBB52_50:
	s_or_b32 exec_lo, exec_lo, s0
	v_cmp_gt_i32_e32 vcc_lo, s11, v0
	s_and_b32 exec_lo, exec_lo, vcc_lo
	s_cbranch_execz .LBB52_57
; %bb.51:
	v_cndmask_b32_e64 v2, 0, 1, s1
	v_ashrrev_i32_e32 v1, 31, v0
	s_and_not1_b32 vcc_lo, exec_lo, s4
	s_delay_alu instid0(VALU_DEP_2)
	v_cmp_ne_u32_e64 s0, 1, v2
	s_cbranch_vccnz .LBB52_58
; %bb.52:
	s_delay_alu instid0(VALU_DEP_1)
	s_and_b32 vcc_lo, exec_lo, s0
	s_mov_b32 s0, -1
	s_cbranch_vccnz .LBB52_54
; %bb.53:
	v_lshlrev_b64 v[2:3], 2, v[0:1]
	v_mul_f32_e32 v10, s6, v5
	s_mov_b32 s0, 0
	s_delay_alu instid0(VALU_DEP_2) | instskip(NEXT) | instid1(VALU_DEP_3)
	v_add_co_u32 v2, vcc_lo, v8, v2
	v_add_co_ci_u32_e32 v3, vcc_lo, v9, v3, vcc_lo
	global_load_b32 v4, v[2:3], off
	s_waitcnt vmcnt(0)
	v_fmac_f32_e32 v10, s12, v4
	global_store_b32 v[2:3], v10, off
.LBB52_54:
	s_and_not1_b32 vcc_lo, exec_lo, s0
	s_cbranch_vccnz .LBB52_56
; %bb.55:
	v_mul_lo_u32 v4, v1, s2
	v_mul_lo_u32 v10, v0, s3
	v_mad_u64_u32 v[2:3], null, v0, s2, 0
	s_delay_alu instid0(VALU_DEP_1) | instskip(SKIP_1) | instid1(VALU_DEP_2)
	v_add3_u32 v3, v3, v10, v4
	v_mul_f32_e32 v10, s6, v5
	v_lshlrev_b64 v[2:3], 2, v[2:3]
	s_delay_alu instid0(VALU_DEP_1) | instskip(NEXT) | instid1(VALU_DEP_2)
	v_add_co_u32 v2, vcc_lo, v6, v2
	v_add_co_ci_u32_e32 v3, vcc_lo, v7, v3, vcc_lo
	global_load_b32 v4, v[2:3], off
	s_waitcnt vmcnt(0)
	v_fmac_f32_e32 v10, s12, v4
	global_store_b32 v[2:3], v10, off
.LBB52_56:
	s_cbranch_execz .LBB52_59
.LBB52_57:
	s_nop 0
	s_sendmsg sendmsg(MSG_DEALLOC_VGPRS)
	s_endpgm
.LBB52_58:
.LBB52_59:
	v_mul_f32_e32 v2, s6, v5
	s_and_not1_b32 vcc_lo, exec_lo, s1
	s_mov_b32 s0, -1
	s_cbranch_vccnz .LBB52_61
; %bb.60:
	v_lshlrev_b64 v[3:4], 2, v[0:1]
	s_mov_b32 s0, 0
	s_delay_alu instid0(VALU_DEP_1) | instskip(NEXT) | instid1(VALU_DEP_2)
	v_add_co_u32 v3, vcc_lo, v8, v3
	v_add_co_ci_u32_e32 v4, vcc_lo, v9, v4, vcc_lo
	global_store_b32 v[3:4], v2, off
.LBB52_61:
	s_and_not1_b32 vcc_lo, exec_lo, s0
	s_cbranch_vccnz .LBB52_57
; %bb.62:
	v_mul_lo_u32 v1, v1, s2
	v_mul_lo_u32 v5, v0, s3
	v_mad_u64_u32 v[3:4], null, v0, s2, 0
	s_delay_alu instid0(VALU_DEP_1) | instskip(NEXT) | instid1(VALU_DEP_1)
	v_add3_u32 v4, v4, v5, v1
	v_lshlrev_b64 v[0:1], 2, v[3:4]
	s_delay_alu instid0(VALU_DEP_1) | instskip(NEXT) | instid1(VALU_DEP_2)
	v_add_co_u32 v0, vcc_lo, v6, v0
	v_add_co_ci_u32_e32 v1, vcc_lo, v7, v1, vcc_lo
	global_store_b32 v[0:1], v2, off
	s_nop 0
	s_sendmsg sendmsg(MSG_DEALLOC_VGPRS)
	s_endpgm
	.section	.rodata,"a",@progbits
	.p2align	6, 0x0
	.amdhsa_kernel _ZN9rocsparseL31bsrmm_large_blockdim_kernel_extILj8ELj8ELj2EliDF16_DF16_ffEEvb20rocsparse_direction_T3_S2_llNS_24const_host_device_scalarIT7_EEPKT2_PKS2_PKT4_S2_PKT5_llS5_PT6_ll16rocsparse_order_21rocsparse_index_base_b
		.amdhsa_group_segment_fixed_size 768
		.amdhsa_private_segment_fixed_size 0
		.amdhsa_kernarg_size 140
		.amdhsa_user_sgpr_count 14
		.amdhsa_user_sgpr_dispatch_ptr 0
		.amdhsa_user_sgpr_queue_ptr 0
		.amdhsa_user_sgpr_kernarg_segment_ptr 1
		.amdhsa_user_sgpr_dispatch_id 0
		.amdhsa_user_sgpr_private_segment_size 0
		.amdhsa_wavefront_size32 1
		.amdhsa_uses_dynamic_stack 0
		.amdhsa_enable_private_segment 0
		.amdhsa_system_sgpr_workgroup_id_x 1
		.amdhsa_system_sgpr_workgroup_id_y 1
		.amdhsa_system_sgpr_workgroup_id_z 0
		.amdhsa_system_sgpr_workgroup_info 0
		.amdhsa_system_vgpr_workitem_id 1
		.amdhsa_next_free_vgpr 38
		.amdhsa_next_free_sgpr 37
		.amdhsa_reserve_vcc 1
		.amdhsa_float_round_mode_32 0
		.amdhsa_float_round_mode_16_64 0
		.amdhsa_float_denorm_mode_32 3
		.amdhsa_float_denorm_mode_16_64 3
		.amdhsa_dx10_clamp 1
		.amdhsa_ieee_mode 1
		.amdhsa_fp16_overflow 0
		.amdhsa_workgroup_processor_mode 1
		.amdhsa_memory_ordered 1
		.amdhsa_forward_progress 0
		.amdhsa_shared_vgpr_count 0
		.amdhsa_exception_fp_ieee_invalid_op 0
		.amdhsa_exception_fp_denorm_src 0
		.amdhsa_exception_fp_ieee_div_zero 0
		.amdhsa_exception_fp_ieee_overflow 0
		.amdhsa_exception_fp_ieee_underflow 0
		.amdhsa_exception_fp_ieee_inexact 0
		.amdhsa_exception_int_div_zero 0
	.end_amdhsa_kernel
	.section	.text._ZN9rocsparseL31bsrmm_large_blockdim_kernel_extILj8ELj8ELj2EliDF16_DF16_ffEEvb20rocsparse_direction_T3_S2_llNS_24const_host_device_scalarIT7_EEPKT2_PKS2_PKT4_S2_PKT5_llS5_PT6_ll16rocsparse_order_21rocsparse_index_base_b,"axG",@progbits,_ZN9rocsparseL31bsrmm_large_blockdim_kernel_extILj8ELj8ELj2EliDF16_DF16_ffEEvb20rocsparse_direction_T3_S2_llNS_24const_host_device_scalarIT7_EEPKT2_PKS2_PKT4_S2_PKT5_llS5_PT6_ll16rocsparse_order_21rocsparse_index_base_b,comdat
.Lfunc_end52:
	.size	_ZN9rocsparseL31bsrmm_large_blockdim_kernel_extILj8ELj8ELj2EliDF16_DF16_ffEEvb20rocsparse_direction_T3_S2_llNS_24const_host_device_scalarIT7_EEPKT2_PKS2_PKT4_S2_PKT5_llS5_PT6_ll16rocsparse_order_21rocsparse_index_base_b, .Lfunc_end52-_ZN9rocsparseL31bsrmm_large_blockdim_kernel_extILj8ELj8ELj2EliDF16_DF16_ffEEvb20rocsparse_direction_T3_S2_llNS_24const_host_device_scalarIT7_EEPKT2_PKS2_PKT4_S2_PKT5_llS5_PT6_ll16rocsparse_order_21rocsparse_index_base_b
                                        ; -- End function
	.section	.AMDGPU.csdata,"",@progbits
; Kernel info:
; codeLenInByte = 2520
; NumSgprs: 39
; NumVgprs: 38
; ScratchSize: 0
; MemoryBound: 0
; FloatMode: 240
; IeeeMode: 1
; LDSByteSize: 768 bytes/workgroup (compile time only)
; SGPRBlocks: 4
; VGPRBlocks: 4
; NumSGPRsForWavesPerEU: 39
; NumVGPRsForWavesPerEU: 38
; Occupancy: 16
; WaveLimiterHint : 1
; COMPUTE_PGM_RSRC2:SCRATCH_EN: 0
; COMPUTE_PGM_RSRC2:USER_SGPR: 14
; COMPUTE_PGM_RSRC2:TRAP_HANDLER: 0
; COMPUTE_PGM_RSRC2:TGID_X_EN: 1
; COMPUTE_PGM_RSRC2:TGID_Y_EN: 1
; COMPUTE_PGM_RSRC2:TGID_Z_EN: 0
; COMPUTE_PGM_RSRC2:TIDIG_COMP_CNT: 1
	.section	.text._ZN9rocsparseL31bsrmm_large_blockdim_kernel_extILj4ELj16ELj2EliDF16_DF16_ffEEvb20rocsparse_direction_T3_S2_llNS_24const_host_device_scalarIT7_EEPKT2_PKS2_PKT4_S2_PKT5_llS5_PT6_ll16rocsparse_order_21rocsparse_index_base_b,"axG",@progbits,_ZN9rocsparseL31bsrmm_large_blockdim_kernel_extILj4ELj16ELj2EliDF16_DF16_ffEEvb20rocsparse_direction_T3_S2_llNS_24const_host_device_scalarIT7_EEPKT2_PKS2_PKT4_S2_PKT5_llS5_PT6_ll16rocsparse_order_21rocsparse_index_base_b,comdat
	.globl	_ZN9rocsparseL31bsrmm_large_blockdim_kernel_extILj4ELj16ELj2EliDF16_DF16_ffEEvb20rocsparse_direction_T3_S2_llNS_24const_host_device_scalarIT7_EEPKT2_PKS2_PKT4_S2_PKT5_llS5_PT6_ll16rocsparse_order_21rocsparse_index_base_b ; -- Begin function _ZN9rocsparseL31bsrmm_large_blockdim_kernel_extILj4ELj16ELj2EliDF16_DF16_ffEEvb20rocsparse_direction_T3_S2_llNS_24const_host_device_scalarIT7_EEPKT2_PKS2_PKT4_S2_PKT5_llS5_PT6_ll16rocsparse_order_21rocsparse_index_base_b
	.p2align	8
	.type	_ZN9rocsparseL31bsrmm_large_blockdim_kernel_extILj4ELj16ELj2EliDF16_DF16_ffEEvb20rocsparse_direction_T3_S2_llNS_24const_host_device_scalarIT7_EEPKT2_PKS2_PKT4_S2_PKT5_llS5_PT6_ll16rocsparse_order_21rocsparse_index_base_b,@function
_ZN9rocsparseL31bsrmm_large_blockdim_kernel_extILj4ELj16ELj2EliDF16_DF16_ffEEvb20rocsparse_direction_T3_S2_llNS_24const_host_device_scalarIT7_EEPKT2_PKS2_PKT4_S2_PKT5_llS5_PT6_ll16rocsparse_order_21rocsparse_index_base_b: ; @_ZN9rocsparseL31bsrmm_large_blockdim_kernel_extILj4ELj16ELj2EliDF16_DF16_ffEEvb20rocsparse_direction_T3_S2_llNS_24const_host_device_scalarIT7_EEPKT2_PKS2_PKT4_S2_PKT5_llS5_PT6_ll16rocsparse_order_21rocsparse_index_base_b
; %bb.0:
	s_clause 0x2
	s_load_b128 s[16:19], s[0:1], 0x80
	s_load_b64 s[6:7], s[0:1], 0x20
	s_load_b64 s[12:13], s[0:1], 0x60
	s_mov_b32 s2, s15
	s_waitcnt lgkmcnt(0)
	s_bitcmp1_b32 s18, 0
	s_cselect_b32 s3, -1, 0
	s_delay_alu instid0(SALU_CYCLE_1)
	s_and_b32 vcc_lo, exec_lo, s3
	s_xor_b32 s3, s3, -1
	s_cbranch_vccnz .LBB53_2
; %bb.1:
	s_load_b32 s6, s[6:7], 0x0
.LBB53_2:
	s_and_not1_b32 vcc_lo, exec_lo, s3
	s_cbranch_vccnz .LBB53_4
; %bb.3:
	s_load_b32 s12, s[12:13], 0x0
.LBB53_4:
	s_waitcnt lgkmcnt(0)
	v_cmp_eq_f32_e64 s3, s6, 0
	v_cmp_eq_f32_e64 s4, s12, 1.0
	s_delay_alu instid0(VALU_DEP_1) | instskip(NEXT) | instid1(SALU_CYCLE_1)
	s_and_b32 s3, s3, s4
	s_and_b32 vcc_lo, exec_lo, s3
	s_cbranch_vccnz .LBB53_57
; %bb.5:
	s_clause 0x1
	s_load_b128 s[8:11], s[0:1], 0x0
	s_load_b64 s[4:5], s[0:1], 0x28
	s_mov_b64 s[28:29], 0
	s_mov_b64 s[30:31], 0
	s_waitcnt lgkmcnt(0)
	s_cmp_lt_i32 s14, s10
	s_cselect_b32 s7, -1, 0
	s_cmp_ge_i32 s14, s10
	s_cbranch_scc1 .LBB53_7
; %bb.6:
	s_ashr_i32 s15, s14, 31
	s_delay_alu instid0(SALU_CYCLE_1) | instskip(NEXT) | instid1(SALU_CYCLE_1)
	s_lshl_b64 s[18:19], s[14:15], 3
	s_add_u32 s18, s4, s18
	s_addc_u32 s19, s5, s19
	s_load_b64 s[18:19], s[18:19], 0x0
	s_waitcnt lgkmcnt(0)
	s_sub_u32 s30, s18, s17
	s_subb_u32 s31, s19, 0
.LBB53_7:
	s_and_not1_b32 vcc_lo, exec_lo, s7
	s_cbranch_vccnz .LBB53_9
; %bb.8:
	s_ashr_i32 s15, s14, 31
	s_delay_alu instid0(SALU_CYCLE_1) | instskip(NEXT) | instid1(SALU_CYCLE_1)
	s_lshl_b64 s[18:19], s[14:15], 3
	s_add_u32 s4, s4, s18
	s_addc_u32 s5, s5, s19
	s_load_b64 s[4:5], s[4:5], 0x8
	s_waitcnt lgkmcnt(0)
	s_sub_u32 s28, s4, s17
	s_subb_u32 s29, s5, 0
.LBB53_9:
	s_clause 0x1
	s_load_b32 s10, s[0:1], 0x40
	s_load_b64 s[18:19], s[0:1], 0x68
	v_bfe_u32 v7, v0, 10, 10
	s_mov_b32 s34, 0
	s_delay_alu instid0(SALU_CYCLE_1) | instskip(SKIP_1) | instid1(VALU_DEP_2)
	s_mov_b32 s35, s34
	v_and_b32_e32 v6, 0x3ff, v0
	v_lshl_add_u32 v2, s2, 5, v7
	v_cmp_ge_i64_e64 s2, s[30:31], s[28:29]
	v_dual_mov_b32 v4, s34 :: v_dual_mov_b32 v5, s35
	s_delay_alu instid0(VALU_DEP_3) | instskip(SKIP_1) | instid1(VALU_DEP_4)
	v_add_nc_u32_e32 v0, 16, v2
	v_cmp_gt_i32_e64 s3, s11, v2
	s_and_b32 vcc_lo, exec_lo, s2
	s_delay_alu instid0(VALU_DEP_2)
	v_cmp_gt_i32_e64 s4, s11, v0
	s_waitcnt lgkmcnt(0)
	v_cmp_gt_i32_e64 s2, s10, v6
	s_cbranch_vccnz .LBB53_37
; %bb.10:
	s_clause 0x1
	s_load_b128 s[20:23], s[0:1], 0x30
	s_load_b128 s[24:27], s[0:1], 0x48
	v_mul_lo_u32 v4, v7, s10
	v_dual_mov_b32 v5, 0 :: v_dual_lshlrev_b32 v10, 2, v7
	v_cmp_gt_i32_e32 vcc_lo, s10, v7
	v_lshlrev_b32_e32 v1, 1, v6
	v_ashrrev_i32_e32 v3, 31, v2
	v_lshl_add_u32 v13, v6, 2, v7
	v_lshlrev_b64 v[8:9], 1, v[4:5]
	v_mul_lo_u32 v4, v6, s10
	s_and_b32 s13, s2, vcc_lo
	s_bitcmp1_b32 s8, 0
	v_lshl_add_u32 v15, v13, 2, 0x200
	s_cselect_b32 s5, -1, 0
	s_cmp_eq_u32 s9, 0
	s_delay_alu instid0(VALU_DEP_2) | instskip(SKIP_4) | instid1(VALU_DEP_3)
	v_lshlrev_b64 v[4:5], 1, v[4:5]
	s_waitcnt lgkmcnt(0)
	v_add_co_u32 v8, vcc_lo, s22, v8
	v_add_co_ci_u32_e32 v9, vcc_lo, s23, v9, vcc_lo
	v_mul_lo_u32 v18, v2, s27
	v_add_co_u32 v14, vcc_lo, v8, v1
	v_ashrrev_i32_e32 v1, 31, v0
	s_delay_alu instid0(VALU_DEP_4)
	v_add_co_ci_u32_e32 v17, vcc_lo, 0, v9, vcc_lo
	v_mul_lo_u32 v19, v3, s26
	v_mad_u64_u32 v[8:9], null, v2, s26, 0
	v_mul_lo_u32 v20, v0, s27
	v_mul_lo_u32 v21, v1, s26
	v_mad_u64_u32 v[11:12], null, v0, s26, 0
	v_add_co_u32 v4, vcc_lo, s22, v4
	v_lshlrev_b32_e32 v16, 1, v7
	v_add_co_ci_u32_e32 v5, vcc_lo, s23, v5, vcc_lo
	v_add3_u32 v9, v9, v18, v19
	v_add3_u32 v12, v12, v20, v21
	s_delay_alu instid0(VALU_DEP_4) | instskip(NEXT) | instid1(VALU_DEP_4)
	v_add_co_u32 v4, vcc_lo, v4, v16
	v_add_co_ci_u32_e32 v5, vcc_lo, 0, v5, vcc_lo
	v_lshlrev_b32_e32 v19, 4, v7
	s_cselect_b32 vcc_lo, -1, 0
	s_add_i32 s9, s10, -1
	s_and_b32 s8, s10, 7
	s_cmp_gt_u32 s9, 6
	v_add_lshl_u32 v16, v10, v6, 2
	v_dual_cndmask_b32 v17, v17, v5 :: v_dual_cndmask_b32 v18, v14, v4
	v_mov_b32_e32 v4, s34
	v_lshlrev_b64 v[7:8], 1, v[8:9]
	v_lshlrev_b64 v[9:10], 1, v[2:3]
	;; [unrolled: 1-line block ×4, first 2 shown]
	s_cselect_b32 s9, -1, 0
	s_and_b32 s15, s10, -8
	v_lshl_add_u32 v20, v6, 4, 0x200
	v_add_nc_u32_e32 v21, 0x100, v19
	v_mov_b32_e32 v5, s35
	s_cmp_lg_u32 s8, 0
	s_mul_i32 s23, s10, s10
	s_cselect_b32 s22, -1, 0
	s_branch .LBB53_13
.LBB53_11:                              ;   in Loop: Header=BB53_13 Depth=1
	s_or_b32 exec_lo, exec_lo, s34
.LBB53_12:                              ;   in Loop: Header=BB53_13 Depth=1
	s_delay_alu instid0(SALU_CYCLE_1) | instskip(SKIP_2) | instid1(SALU_CYCLE_1)
	s_or_b32 exec_lo, exec_lo, s33
	s_add_u32 s30, s30, 1
	s_addc_u32 s31, s31, 0
	v_cmp_ge_i64_e64 s33, s[30:31], s[28:29]
	s_barrier
	buffer_gl0_inv
	s_and_b32 vcc_lo, exec_lo, s33
	s_cbranch_vccnz .LBB53_37
.LBB53_13:                              ; =>This Loop Header: Depth=1
                                        ;     Child Loop BB53_24 Depth 2
                                        ;     Child Loop BB53_28 Depth 2
	;; [unrolled: 1-line block ×4, first 2 shown]
	s_and_saveexec_b32 s33, s2
	s_cbranch_execz .LBB53_18
; %bb.14:                               ;   in Loop: Header=BB53_13 Depth=1
	s_lshl_b64 s[34:35], s[30:31], 2
	s_delay_alu instid0(SALU_CYCLE_1) | instskip(SKIP_4) | instid1(SALU_CYCLE_1)
	s_add_u32 s34, s20, s34
	s_addc_u32 s35, s21, s35
	s_load_b32 s34, s[34:35], 0x0
	s_waitcnt lgkmcnt(0)
	s_sub_i32 s34, s34, s17
	v_mad_u64_u32 v[22:23], null, s34, s10, v[6:7]
	s_delay_alu instid0(VALU_DEP_1) | instskip(SKIP_2) | instid1(VALU_DEP_3)
	v_ashrrev_i32_e32 v23, 31, v22
	v_mul_lo_u32 v1, v22, s27
	v_mad_u64_u32 v[24:25], null, v22, s26, 0
	v_mul_lo_u32 v3, v23, s26
	v_lshlrev_b64 v[22:23], 1, v[22:23]
	s_delay_alu instid0(VALU_DEP_2) | instskip(NEXT) | instid1(VALU_DEP_1)
	v_add3_u32 v25, v25, v1, v3
	v_lshlrev_b64 v[24:25], 1, v[24:25]
	s_delay_alu instid0(VALU_DEP_1) | instskip(NEXT) | instid1(VALU_DEP_2)
	v_add_co_u32 v1, vcc_lo, s24, v24
	v_add_co_ci_u32_e32 v3, vcc_lo, s25, v25, vcc_lo
	v_add_co_u32 v22, vcc_lo, s24, v22
	v_add_co_ci_u32_e32 v23, vcc_lo, s25, v23, vcc_lo
	s_and_saveexec_b32 s34, s3
	s_cbranch_execz .LBB53_16
; %bb.15:                               ;   in Loop: Header=BB53_13 Depth=1
	s_delay_alu instid0(VALU_DEP_2) | instskip(NEXT) | instid1(VALU_DEP_2)
	v_add_co_u32 v24, vcc_lo, v22, v7
	v_add_co_ci_u32_e32 v25, vcc_lo, v23, v8, vcc_lo
	v_add_co_u32 v26, vcc_lo, v1, v9
	v_add_co_ci_u32_e32 v27, vcc_lo, v3, v10, vcc_lo
	s_delay_alu instid0(VALU_DEP_2) | instskip(NEXT) | instid1(VALU_DEP_2)
	v_cndmask_b32_e64 v24, v26, v24, s5
	v_cndmask_b32_e64 v25, v27, v25, s5
	global_load_u16 v24, v[24:25], off
	s_waitcnt vmcnt(0)
	v_cvt_f32_f16_e32 v24, v24
	ds_store_b32 v16, v24
.LBB53_16:                              ;   in Loop: Header=BB53_13 Depth=1
	s_or_b32 exec_lo, exec_lo, s34
	s_delay_alu instid0(SALU_CYCLE_1)
	s_and_b32 exec_lo, exec_lo, s4
	s_cbranch_execz .LBB53_18
; %bb.17:                               ;   in Loop: Header=BB53_13 Depth=1
	v_add_co_u32 v22, vcc_lo, v22, v11
	v_add_co_ci_u32_e32 v23, vcc_lo, v23, v12, vcc_lo
	v_add_co_u32 v1, vcc_lo, v1, v13
	v_add_co_ci_u32_e32 v3, vcc_lo, v3, v14, vcc_lo
	s_delay_alu instid0(VALU_DEP_2) | instskip(NEXT) | instid1(VALU_DEP_2)
	v_cndmask_b32_e64 v22, v1, v22, s5
	v_cndmask_b32_e64 v23, v3, v23, s5
	global_load_u16 v1, v[22:23], off
	s_waitcnt vmcnt(0)
	v_cvt_f32_f16_e32 v1, v1
	ds_store_b32 v16, v1 offset:256
.LBB53_18:                              ;   in Loop: Header=BB53_13 Depth=1
	s_or_b32 exec_lo, exec_lo, s33
	s_and_saveexec_b32 s33, s13
	s_cbranch_execz .LBB53_20
; %bb.19:                               ;   in Loop: Header=BB53_13 Depth=1
	s_mul_i32 s35, s31, s23
	s_mul_hi_u32 s36, s30, s23
	s_mul_i32 s34, s30, s23
	s_add_i32 s35, s36, s35
	s_delay_alu instid0(SALU_CYCLE_1) | instskip(NEXT) | instid1(SALU_CYCLE_1)
	s_lshl_b64 s[34:35], s[34:35], 1
	v_add_co_u32 v22, vcc_lo, v18, s34
	v_add_co_ci_u32_e32 v23, vcc_lo, s35, v17, vcc_lo
	global_load_u16 v1, v[22:23], off
	s_waitcnt vmcnt(0)
	v_cvt_f32_f16_e32 v1, v1
	ds_store_b32 v15, v1
.LBB53_20:                              ;   in Loop: Header=BB53_13 Depth=1
	s_or_b32 exec_lo, exec_lo, s33
	s_waitcnt lgkmcnt(0)
	s_barrier
	buffer_gl0_inv
	s_and_saveexec_b32 s33, s2
	s_cbranch_execz .LBB53_12
; %bb.21:                               ;   in Loop: Header=BB53_13 Depth=1
	s_and_saveexec_b32 s34, s3
	s_cbranch_execz .LBB53_29
; %bb.22:                               ;   in Loop: Header=BB53_13 Depth=1
	s_and_not1_b32 vcc_lo, exec_lo, s9
	s_cbranch_vccnz .LBB53_26
; %bb.23:                               ;   in Loop: Header=BB53_13 Depth=1
	v_mov_b32_e32 v1, v20
	v_mov_b32_e32 v3, v19
	s_mov_b32 s35, 0
	.p2align	6
.LBB53_24:                              ;   Parent Loop BB53_13 Depth=1
                                        ; =>  This Inner Loop Header: Depth=2
	ds_load_b128 v[22:25], v3
	ds_load_b128 v[26:29], v1
	ds_load_b128 v[30:33], v1 offset:16
	ds_load_b128 v[34:37], v3 offset:16
	s_add_i32 s35, s35, 8
	v_add_nc_u32_e32 v1, 32, v1
	s_cmp_lg_u32 s15, s35
	v_add_nc_u32_e32 v3, 32, v3
	s_waitcnt lgkmcnt(2)
	v_fma_f32 v4, v26, v22, v4
	s_delay_alu instid0(VALU_DEP_1) | instskip(NEXT) | instid1(VALU_DEP_1)
	v_fmac_f32_e32 v4, v27, v23
	v_fmac_f32_e32 v4, v28, v24
	s_delay_alu instid0(VALU_DEP_1) | instskip(SKIP_1) | instid1(VALU_DEP_1)
	v_fmac_f32_e32 v4, v29, v25
	s_waitcnt lgkmcnt(0)
	v_fmac_f32_e32 v4, v30, v34
	s_delay_alu instid0(VALU_DEP_1) | instskip(NEXT) | instid1(VALU_DEP_1)
	v_fmac_f32_e32 v4, v31, v35
	v_fmac_f32_e32 v4, v32, v36
	s_delay_alu instid0(VALU_DEP_1)
	v_fmac_f32_e32 v4, v33, v37
	s_cbranch_scc1 .LBB53_24
; %bb.25:                               ;   in Loop: Header=BB53_13 Depth=1
	s_mov_b32 s35, s15
	s_and_not1_b32 vcc_lo, exec_lo, s22
	s_cbranch_vccz .LBB53_27
	s_branch .LBB53_29
.LBB53_26:                              ;   in Loop: Header=BB53_13 Depth=1
	s_mov_b32 s35, 0
	s_and_not1_b32 vcc_lo, exec_lo, s22
	s_cbranch_vccnz .LBB53_29
.LBB53_27:                              ;   in Loop: Header=BB53_13 Depth=1
	s_lshl_b32 s35, s35, 2
	s_delay_alu instid0(SALU_CYCLE_1)
	v_add_nc_u32_e32 v1, s35, v19
	v_add_nc_u32_e32 v3, s35, v20
	s_mov_b32 s35, s8
.LBB53_28:                              ;   Parent Loop BB53_13 Depth=1
                                        ; =>  This Inner Loop Header: Depth=2
	ds_load_b32 v22, v3
	ds_load_b32 v23, v1
	v_add_nc_u32_e32 v1, 4, v1
	v_add_nc_u32_e32 v3, 4, v3
	s_add_i32 s35, s35, -1
	s_delay_alu instid0(SALU_CYCLE_1)
	s_cmp_lg_u32 s35, 0
	s_waitcnt lgkmcnt(0)
	v_fma_f32 v4, v22, v23, v4
	s_cbranch_scc1 .LBB53_28
.LBB53_29:                              ;   in Loop: Header=BB53_13 Depth=1
	s_or_b32 exec_lo, exec_lo, s34
	s_and_saveexec_b32 s34, s4
	s_cbranch_execz .LBB53_11
; %bb.30:                               ;   in Loop: Header=BB53_13 Depth=1
	s_and_not1_b32 vcc_lo, exec_lo, s9
	s_cbranch_vccnz .LBB53_34
; %bb.31:                               ;   in Loop: Header=BB53_13 Depth=1
	v_mov_b32_e32 v1, v20
	v_mov_b32_e32 v3, v21
	s_mov_b32 s35, 0
	.p2align	6
.LBB53_32:                              ;   Parent Loop BB53_13 Depth=1
                                        ; =>  This Inner Loop Header: Depth=2
	ds_load_b128 v[22:25], v3
	ds_load_b128 v[26:29], v1
	ds_load_b128 v[30:33], v1 offset:16
	ds_load_b128 v[34:37], v3 offset:16
	v_add_nc_u32_e32 v3, 32, v3
	v_add_nc_u32_e32 v1, 32, v1
	s_add_i32 s35, s35, 8
	s_delay_alu instid0(SALU_CYCLE_1) | instskip(SKIP_2) | instid1(VALU_DEP_1)
	s_cmp_lg_u32 s15, s35
	s_waitcnt lgkmcnt(2)
	v_fma_f32 v5, v26, v22, v5
	v_fmac_f32_e32 v5, v27, v23
	s_delay_alu instid0(VALU_DEP_1) | instskip(NEXT) | instid1(VALU_DEP_1)
	v_fmac_f32_e32 v5, v28, v24
	v_fmac_f32_e32 v5, v29, v25
	s_waitcnt lgkmcnt(0)
	s_delay_alu instid0(VALU_DEP_1) | instskip(NEXT) | instid1(VALU_DEP_1)
	v_fmac_f32_e32 v5, v30, v34
	v_fmac_f32_e32 v5, v31, v35
	s_delay_alu instid0(VALU_DEP_1) | instskip(NEXT) | instid1(VALU_DEP_1)
	v_fmac_f32_e32 v5, v32, v36
	v_fmac_f32_e32 v5, v33, v37
	s_cbranch_scc1 .LBB53_32
; %bb.33:                               ;   in Loop: Header=BB53_13 Depth=1
	s_mov_b32 s35, s15
	s_and_not1_b32 vcc_lo, exec_lo, s22
	s_cbranch_vccz .LBB53_35
	s_branch .LBB53_11
.LBB53_34:                              ;   in Loop: Header=BB53_13 Depth=1
	s_mov_b32 s35, 0
	s_and_not1_b32 vcc_lo, exec_lo, s22
	s_cbranch_vccnz .LBB53_11
.LBB53_35:                              ;   in Loop: Header=BB53_13 Depth=1
	s_lshl_b32 s35, s35, 2
	s_delay_alu instid0(SALU_CYCLE_1)
	v_add_nc_u32_e32 v1, s35, v21
	v_add_nc_u32_e32 v3, s35, v20
	s_mov_b32 s35, s8
.LBB53_36:                              ;   Parent Loop BB53_13 Depth=1
                                        ; =>  This Inner Loop Header: Depth=2
	ds_load_b32 v22, v3
	ds_load_b32 v23, v1
	v_add_nc_u32_e32 v1, 4, v1
	v_add_nc_u32_e32 v3, 4, v3
	s_add_i32 s35, s35, -1
	s_delay_alu instid0(SALU_CYCLE_1)
	s_cmp_lg_u32 s35, 0
	s_waitcnt lgkmcnt(0)
	v_fma_f32 v5, v22, v23, v5
	s_cbranch_scc1 .LBB53_36
	s_branch .LBB53_11
.LBB53_37:
	s_delay_alu instid0(VALU_DEP_1) | instskip(NEXT) | instid1(SALU_CYCLE_1)
	s_and_b32 s2, s7, s2
	s_and_saveexec_b32 s3, s2
	s_cbranch_execz .LBB53_57
; %bb.38:
	s_load_b64 s[2:3], s[0:1], 0x70
	v_mad_u64_u32 v[7:8], null, s14, s10, v[6:7]
	v_cmp_neq_f32_e64 s4, s12, 0
	s_cmp_lg_u32 s16, 1
	s_mov_b32 s0, exec_lo
	s_cselect_b32 s1, -1, 0
	s_delay_alu instid0(VALU_DEP_2) | instskip(SKIP_1) | instid1(VALU_DEP_1)
	v_ashrrev_i32_e32 v8, 31, v7
	s_waitcnt lgkmcnt(0)
	v_mul_lo_u32 v1, v8, s2
	v_mul_lo_u32 v3, v7, s3
	v_mad_u64_u32 v[9:10], null, v7, s2, 0
	v_lshlrev_b64 v[6:7], 2, v[7:8]
	s_delay_alu instid0(VALU_DEP_1) | instskip(NEXT) | instid1(VALU_DEP_3)
	v_add_co_u32 v6, vcc_lo, s18, v6
	v_add3_u32 v10, v10, v3, v1
	s_delay_alu instid0(VALU_DEP_3) | instskip(NEXT) | instid1(VALU_DEP_2)
	v_add_co_ci_u32_e32 v7, vcc_lo, s19, v7, vcc_lo
	v_lshlrev_b64 v[8:9], 2, v[9:10]
	s_delay_alu instid0(VALU_DEP_1) | instskip(NEXT) | instid1(VALU_DEP_2)
	v_add_co_u32 v8, vcc_lo, s18, v8
	v_add_co_ci_u32_e32 v9, vcc_lo, s19, v9, vcc_lo
	v_cmpx_gt_i32_e64 s11, v2
	s_cbranch_execz .LBB53_50
; %bb.39:
	v_ashrrev_i32_e32 v3, 31, v2
	s_and_b32 vcc_lo, exec_lo, s4
	s_cbranch_vccz .LBB53_45
; %bb.40:
	s_and_b32 vcc_lo, exec_lo, s1
	s_mov_b32 s5, -1
	s_cbranch_vccz .LBB53_42
; %bb.41:
	v_lshlrev_b64 v[10:11], 2, v[2:3]
	v_mul_f32_e32 v12, s6, v4
	s_mov_b32 s5, 0
	s_delay_alu instid0(VALU_DEP_2) | instskip(NEXT) | instid1(VALU_DEP_3)
	v_add_co_u32 v10, vcc_lo, v8, v10
	v_add_co_ci_u32_e32 v11, vcc_lo, v9, v11, vcc_lo
	global_load_b32 v1, v[10:11], off
	s_waitcnt vmcnt(0)
	v_fmac_f32_e32 v12, s12, v1
	global_store_b32 v[10:11], v12, off
.LBB53_42:
	s_and_not1_b32 vcc_lo, exec_lo, s5
	s_cbranch_vccnz .LBB53_44
; %bb.43:
	v_mul_lo_u32 v1, v3, s2
	v_mul_lo_u32 v12, v2, s3
	v_mad_u64_u32 v[10:11], null, v2, s2, 0
	s_delay_alu instid0(VALU_DEP_1) | instskip(SKIP_1) | instid1(VALU_DEP_2)
	v_add3_u32 v11, v11, v12, v1
	v_mul_f32_e32 v12, s6, v4
	v_lshlrev_b64 v[10:11], 2, v[10:11]
	s_delay_alu instid0(VALU_DEP_1) | instskip(NEXT) | instid1(VALU_DEP_2)
	v_add_co_u32 v10, vcc_lo, v6, v10
	v_add_co_ci_u32_e32 v11, vcc_lo, v7, v11, vcc_lo
	global_load_b32 v1, v[10:11], off
	s_waitcnt vmcnt(0)
	v_fmac_f32_e32 v12, s12, v1
	global_store_b32 v[10:11], v12, off
.LBB53_44:
	s_cbranch_execz .LBB53_46
	s_branch .LBB53_50
.LBB53_45:
.LBB53_46:
	v_mul_f32_e32 v1, s6, v4
	s_and_b32 vcc_lo, exec_lo, s1
	s_mov_b32 s5, -1
	s_cbranch_vccz .LBB53_48
; %bb.47:
	v_lshlrev_b64 v[10:11], 2, v[2:3]
	s_mov_b32 s5, 0
	s_delay_alu instid0(VALU_DEP_1) | instskip(NEXT) | instid1(VALU_DEP_2)
	v_add_co_u32 v10, vcc_lo, v8, v10
	v_add_co_ci_u32_e32 v11, vcc_lo, v9, v11, vcc_lo
	global_store_b32 v[10:11], v1, off
.LBB53_48:
	s_and_not1_b32 vcc_lo, exec_lo, s5
	s_cbranch_vccnz .LBB53_50
; %bb.49:
	v_mul_lo_u32 v10, v3, s2
	v_mul_lo_u32 v11, v2, s3
	v_mad_u64_u32 v[3:4], null, v2, s2, 0
	s_delay_alu instid0(VALU_DEP_1) | instskip(NEXT) | instid1(VALU_DEP_1)
	v_add3_u32 v4, v4, v11, v10
	v_lshlrev_b64 v[2:3], 2, v[3:4]
	s_delay_alu instid0(VALU_DEP_1) | instskip(NEXT) | instid1(VALU_DEP_2)
	v_add_co_u32 v2, vcc_lo, v6, v2
	v_add_co_ci_u32_e32 v3, vcc_lo, v7, v3, vcc_lo
	global_store_b32 v[2:3], v1, off
.LBB53_50:
	s_or_b32 exec_lo, exec_lo, s0
	v_cmp_gt_i32_e32 vcc_lo, s11, v0
	s_and_b32 exec_lo, exec_lo, vcc_lo
	s_cbranch_execz .LBB53_57
; %bb.51:
	v_cndmask_b32_e64 v2, 0, 1, s1
	v_ashrrev_i32_e32 v1, 31, v0
	s_and_not1_b32 vcc_lo, exec_lo, s4
	s_delay_alu instid0(VALU_DEP_2)
	v_cmp_ne_u32_e64 s0, 1, v2
	s_cbranch_vccnz .LBB53_58
; %bb.52:
	s_delay_alu instid0(VALU_DEP_1)
	s_and_b32 vcc_lo, exec_lo, s0
	s_mov_b32 s0, -1
	s_cbranch_vccnz .LBB53_54
; %bb.53:
	v_lshlrev_b64 v[2:3], 2, v[0:1]
	v_mul_f32_e32 v10, s6, v5
	s_mov_b32 s0, 0
	s_delay_alu instid0(VALU_DEP_2) | instskip(NEXT) | instid1(VALU_DEP_3)
	v_add_co_u32 v2, vcc_lo, v8, v2
	v_add_co_ci_u32_e32 v3, vcc_lo, v9, v3, vcc_lo
	global_load_b32 v4, v[2:3], off
	s_waitcnt vmcnt(0)
	v_fmac_f32_e32 v10, s12, v4
	global_store_b32 v[2:3], v10, off
.LBB53_54:
	s_and_not1_b32 vcc_lo, exec_lo, s0
	s_cbranch_vccnz .LBB53_56
; %bb.55:
	v_mul_lo_u32 v4, v1, s2
	v_mul_lo_u32 v10, v0, s3
	v_mad_u64_u32 v[2:3], null, v0, s2, 0
	s_delay_alu instid0(VALU_DEP_1) | instskip(SKIP_1) | instid1(VALU_DEP_2)
	v_add3_u32 v3, v3, v10, v4
	v_mul_f32_e32 v10, s6, v5
	v_lshlrev_b64 v[2:3], 2, v[2:3]
	s_delay_alu instid0(VALU_DEP_1) | instskip(NEXT) | instid1(VALU_DEP_2)
	v_add_co_u32 v2, vcc_lo, v6, v2
	v_add_co_ci_u32_e32 v3, vcc_lo, v7, v3, vcc_lo
	global_load_b32 v4, v[2:3], off
	s_waitcnt vmcnt(0)
	v_fmac_f32_e32 v10, s12, v4
	global_store_b32 v[2:3], v10, off
.LBB53_56:
	s_cbranch_execz .LBB53_59
.LBB53_57:
	s_nop 0
	s_sendmsg sendmsg(MSG_DEALLOC_VGPRS)
	s_endpgm
.LBB53_58:
.LBB53_59:
	v_mul_f32_e32 v2, s6, v5
	s_and_not1_b32 vcc_lo, exec_lo, s1
	s_mov_b32 s0, -1
	s_cbranch_vccnz .LBB53_61
; %bb.60:
	v_lshlrev_b64 v[3:4], 2, v[0:1]
	s_mov_b32 s0, 0
	s_delay_alu instid0(VALU_DEP_1) | instskip(NEXT) | instid1(VALU_DEP_2)
	v_add_co_u32 v3, vcc_lo, v8, v3
	v_add_co_ci_u32_e32 v4, vcc_lo, v9, v4, vcc_lo
	global_store_b32 v[3:4], v2, off
.LBB53_61:
	s_and_not1_b32 vcc_lo, exec_lo, s0
	s_cbranch_vccnz .LBB53_57
; %bb.62:
	v_mul_lo_u32 v1, v1, s2
	v_mul_lo_u32 v5, v0, s3
	v_mad_u64_u32 v[3:4], null, v0, s2, 0
	s_delay_alu instid0(VALU_DEP_1) | instskip(NEXT) | instid1(VALU_DEP_1)
	v_add3_u32 v4, v4, v5, v1
	v_lshlrev_b64 v[0:1], 2, v[3:4]
	s_delay_alu instid0(VALU_DEP_1) | instskip(NEXT) | instid1(VALU_DEP_2)
	v_add_co_u32 v0, vcc_lo, v6, v0
	v_add_co_ci_u32_e32 v1, vcc_lo, v7, v1, vcc_lo
	global_store_b32 v[0:1], v2, off
	s_nop 0
	s_sendmsg sendmsg(MSG_DEALLOC_VGPRS)
	s_endpgm
	.section	.rodata,"a",@progbits
	.p2align	6, 0x0
	.amdhsa_kernel _ZN9rocsparseL31bsrmm_large_blockdim_kernel_extILj4ELj16ELj2EliDF16_DF16_ffEEvb20rocsparse_direction_T3_S2_llNS_24const_host_device_scalarIT7_EEPKT2_PKS2_PKT4_S2_PKT5_llS5_PT6_ll16rocsparse_order_21rocsparse_index_base_b
		.amdhsa_group_segment_fixed_size 576
		.amdhsa_private_segment_fixed_size 0
		.amdhsa_kernarg_size 140
		.amdhsa_user_sgpr_count 14
		.amdhsa_user_sgpr_dispatch_ptr 0
		.amdhsa_user_sgpr_queue_ptr 0
		.amdhsa_user_sgpr_kernarg_segment_ptr 1
		.amdhsa_user_sgpr_dispatch_id 0
		.amdhsa_user_sgpr_private_segment_size 0
		.amdhsa_wavefront_size32 1
		.amdhsa_uses_dynamic_stack 0
		.amdhsa_enable_private_segment 0
		.amdhsa_system_sgpr_workgroup_id_x 1
		.amdhsa_system_sgpr_workgroup_id_y 1
		.amdhsa_system_sgpr_workgroup_id_z 0
		.amdhsa_system_sgpr_workgroup_info 0
		.amdhsa_system_vgpr_workitem_id 1
		.amdhsa_next_free_vgpr 38
		.amdhsa_next_free_sgpr 37
		.amdhsa_reserve_vcc 1
		.amdhsa_float_round_mode_32 0
		.amdhsa_float_round_mode_16_64 0
		.amdhsa_float_denorm_mode_32 3
		.amdhsa_float_denorm_mode_16_64 3
		.amdhsa_dx10_clamp 1
		.amdhsa_ieee_mode 1
		.amdhsa_fp16_overflow 0
		.amdhsa_workgroup_processor_mode 1
		.amdhsa_memory_ordered 1
		.amdhsa_forward_progress 0
		.amdhsa_shared_vgpr_count 0
		.amdhsa_exception_fp_ieee_invalid_op 0
		.amdhsa_exception_fp_denorm_src 0
		.amdhsa_exception_fp_ieee_div_zero 0
		.amdhsa_exception_fp_ieee_overflow 0
		.amdhsa_exception_fp_ieee_underflow 0
		.amdhsa_exception_fp_ieee_inexact 0
		.amdhsa_exception_int_div_zero 0
	.end_amdhsa_kernel
	.section	.text._ZN9rocsparseL31bsrmm_large_blockdim_kernel_extILj4ELj16ELj2EliDF16_DF16_ffEEvb20rocsparse_direction_T3_S2_llNS_24const_host_device_scalarIT7_EEPKT2_PKS2_PKT4_S2_PKT5_llS5_PT6_ll16rocsparse_order_21rocsparse_index_base_b,"axG",@progbits,_ZN9rocsparseL31bsrmm_large_blockdim_kernel_extILj4ELj16ELj2EliDF16_DF16_ffEEvb20rocsparse_direction_T3_S2_llNS_24const_host_device_scalarIT7_EEPKT2_PKS2_PKT4_S2_PKT5_llS5_PT6_ll16rocsparse_order_21rocsparse_index_base_b,comdat
.Lfunc_end53:
	.size	_ZN9rocsparseL31bsrmm_large_blockdim_kernel_extILj4ELj16ELj2EliDF16_DF16_ffEEvb20rocsparse_direction_T3_S2_llNS_24const_host_device_scalarIT7_EEPKT2_PKS2_PKT4_S2_PKT5_llS5_PT6_ll16rocsparse_order_21rocsparse_index_base_b, .Lfunc_end53-_ZN9rocsparseL31bsrmm_large_blockdim_kernel_extILj4ELj16ELj2EliDF16_DF16_ffEEvb20rocsparse_direction_T3_S2_llNS_24const_host_device_scalarIT7_EEPKT2_PKS2_PKT4_S2_PKT5_llS5_PT6_ll16rocsparse_order_21rocsparse_index_base_b
                                        ; -- End function
	.section	.AMDGPU.csdata,"",@progbits
; Kernel info:
; codeLenInByte = 2520
; NumSgprs: 39
; NumVgprs: 38
; ScratchSize: 0
; MemoryBound: 0
; FloatMode: 240
; IeeeMode: 1
; LDSByteSize: 576 bytes/workgroup (compile time only)
; SGPRBlocks: 4
; VGPRBlocks: 4
; NumSGPRsForWavesPerEU: 39
; NumVGPRsForWavesPerEU: 38
; Occupancy: 16
; WaveLimiterHint : 1
; COMPUTE_PGM_RSRC2:SCRATCH_EN: 0
; COMPUTE_PGM_RSRC2:USER_SGPR: 14
; COMPUTE_PGM_RSRC2:TRAP_HANDLER: 0
; COMPUTE_PGM_RSRC2:TGID_X_EN: 1
; COMPUTE_PGM_RSRC2:TGID_Y_EN: 1
; COMPUTE_PGM_RSRC2:TGID_Z_EN: 0
; COMPUTE_PGM_RSRC2:TIDIG_COMP_CNT: 1
	.section	.text._ZN9rocsparseL31bsrmm_large_blockdim_kernel_extILj16ELj16ELj2EliDF16_DF16_ffEEvb20rocsparse_direction_T3_S2_llNS_24const_host_device_scalarIT7_EEPKT2_PKS2_PKT4_S2_PKT5_llS5_PT6_ll16rocsparse_order_21rocsparse_index_base_b,"axG",@progbits,_ZN9rocsparseL31bsrmm_large_blockdim_kernel_extILj16ELj16ELj2EliDF16_DF16_ffEEvb20rocsparse_direction_T3_S2_llNS_24const_host_device_scalarIT7_EEPKT2_PKS2_PKT4_S2_PKT5_llS5_PT6_ll16rocsparse_order_21rocsparse_index_base_b,comdat
	.globl	_ZN9rocsparseL31bsrmm_large_blockdim_kernel_extILj16ELj16ELj2EliDF16_DF16_ffEEvb20rocsparse_direction_T3_S2_llNS_24const_host_device_scalarIT7_EEPKT2_PKS2_PKT4_S2_PKT5_llS5_PT6_ll16rocsparse_order_21rocsparse_index_base_b ; -- Begin function _ZN9rocsparseL31bsrmm_large_blockdim_kernel_extILj16ELj16ELj2EliDF16_DF16_ffEEvb20rocsparse_direction_T3_S2_llNS_24const_host_device_scalarIT7_EEPKT2_PKS2_PKT4_S2_PKT5_llS5_PT6_ll16rocsparse_order_21rocsparse_index_base_b
	.p2align	8
	.type	_ZN9rocsparseL31bsrmm_large_blockdim_kernel_extILj16ELj16ELj2EliDF16_DF16_ffEEvb20rocsparse_direction_T3_S2_llNS_24const_host_device_scalarIT7_EEPKT2_PKS2_PKT4_S2_PKT5_llS5_PT6_ll16rocsparse_order_21rocsparse_index_base_b,@function
_ZN9rocsparseL31bsrmm_large_blockdim_kernel_extILj16ELj16ELj2EliDF16_DF16_ffEEvb20rocsparse_direction_T3_S2_llNS_24const_host_device_scalarIT7_EEPKT2_PKS2_PKT4_S2_PKT5_llS5_PT6_ll16rocsparse_order_21rocsparse_index_base_b: ; @_ZN9rocsparseL31bsrmm_large_blockdim_kernel_extILj16ELj16ELj2EliDF16_DF16_ffEEvb20rocsparse_direction_T3_S2_llNS_24const_host_device_scalarIT7_EEPKT2_PKS2_PKT4_S2_PKT5_llS5_PT6_ll16rocsparse_order_21rocsparse_index_base_b
; %bb.0:
	s_clause 0x2
	s_load_b128 s[16:19], s[0:1], 0x80
	s_load_b64 s[6:7], s[0:1], 0x20
	s_load_b64 s[12:13], s[0:1], 0x60
	s_mov_b32 s2, s15
	s_waitcnt lgkmcnt(0)
	s_bitcmp1_b32 s18, 0
	s_cselect_b32 s3, -1, 0
	s_delay_alu instid0(SALU_CYCLE_1)
	s_and_b32 vcc_lo, exec_lo, s3
	s_xor_b32 s3, s3, -1
	s_cbranch_vccnz .LBB54_2
; %bb.1:
	s_load_b32 s6, s[6:7], 0x0
.LBB54_2:
	s_and_not1_b32 vcc_lo, exec_lo, s3
	s_cbranch_vccnz .LBB54_4
; %bb.3:
	s_load_b32 s12, s[12:13], 0x0
.LBB54_4:
	s_waitcnt lgkmcnt(0)
	v_cmp_eq_f32_e64 s3, s6, 0
	v_cmp_eq_f32_e64 s4, s12, 1.0
	s_delay_alu instid0(VALU_DEP_1) | instskip(NEXT) | instid1(SALU_CYCLE_1)
	s_and_b32 s3, s3, s4
	s_and_b32 vcc_lo, exec_lo, s3
	s_cbranch_vccnz .LBB54_57
; %bb.5:
	s_clause 0x1
	s_load_b128 s[8:11], s[0:1], 0x0
	s_load_b64 s[4:5], s[0:1], 0x28
	s_mov_b64 s[28:29], 0
	s_mov_b64 s[30:31], 0
	s_waitcnt lgkmcnt(0)
	s_cmp_lt_i32 s14, s10
	s_cselect_b32 s7, -1, 0
	s_cmp_ge_i32 s14, s10
	s_cbranch_scc1 .LBB54_7
; %bb.6:
	s_ashr_i32 s15, s14, 31
	s_delay_alu instid0(SALU_CYCLE_1) | instskip(NEXT) | instid1(SALU_CYCLE_1)
	s_lshl_b64 s[18:19], s[14:15], 3
	s_add_u32 s18, s4, s18
	s_addc_u32 s19, s5, s19
	s_load_b64 s[18:19], s[18:19], 0x0
	s_waitcnt lgkmcnt(0)
	s_sub_u32 s30, s18, s17
	s_subb_u32 s31, s19, 0
.LBB54_7:
	s_and_not1_b32 vcc_lo, exec_lo, s7
	s_cbranch_vccnz .LBB54_9
; %bb.8:
	s_ashr_i32 s15, s14, 31
	s_delay_alu instid0(SALU_CYCLE_1) | instskip(NEXT) | instid1(SALU_CYCLE_1)
	s_lshl_b64 s[18:19], s[14:15], 3
	s_add_u32 s4, s4, s18
	s_addc_u32 s5, s5, s19
	s_load_b64 s[4:5], s[4:5], 0x8
	s_waitcnt lgkmcnt(0)
	s_sub_u32 s28, s4, s17
	s_subb_u32 s29, s5, 0
.LBB54_9:
	s_clause 0x1
	s_load_b32 s10, s[0:1], 0x40
	s_load_b64 s[18:19], s[0:1], 0x68
	v_bfe_u32 v7, v0, 10, 10
	s_mov_b32 s34, 0
	s_delay_alu instid0(SALU_CYCLE_1) | instskip(SKIP_1) | instid1(VALU_DEP_2)
	s_mov_b32 s35, s34
	v_and_b32_e32 v6, 0x3ff, v0
	v_lshl_add_u32 v2, s2, 5, v7
	v_cmp_ge_i64_e64 s2, s[30:31], s[28:29]
	v_dual_mov_b32 v4, s34 :: v_dual_mov_b32 v5, s35
	s_delay_alu instid0(VALU_DEP_3) | instskip(SKIP_1) | instid1(VALU_DEP_4)
	v_add_nc_u32_e32 v0, 16, v2
	v_cmp_gt_i32_e64 s3, s11, v2
	s_and_b32 vcc_lo, exec_lo, s2
	s_delay_alu instid0(VALU_DEP_2)
	v_cmp_gt_i32_e64 s4, s11, v0
	s_waitcnt lgkmcnt(0)
	v_cmp_gt_i32_e64 s2, s10, v6
	s_cbranch_vccnz .LBB54_37
; %bb.10:
	s_clause 0x1
	s_load_b128 s[20:23], s[0:1], 0x30
	s_load_b128 s[24:27], s[0:1], 0x48
	v_mul_lo_u32 v4, v7, s10
	v_dual_mov_b32 v5, 0 :: v_dual_lshlrev_b32 v10, 4, v7
	v_cmp_gt_i32_e32 vcc_lo, s10, v7
	v_lshlrev_b32_e32 v1, 1, v6
	v_ashrrev_i32_e32 v3, 31, v2
	v_lshl_add_u32 v13, v6, 4, v7
	v_lshlrev_b64 v[8:9], 1, v[4:5]
	v_mul_lo_u32 v4, v6, s10
	s_and_b32 s13, s2, vcc_lo
	s_bitcmp1_b32 s8, 0
	v_lshl_add_u32 v15, v13, 2, 0x800
	s_cselect_b32 s5, -1, 0
	s_cmp_eq_u32 s9, 0
	s_delay_alu instid0(VALU_DEP_2) | instskip(SKIP_4) | instid1(VALU_DEP_3)
	v_lshlrev_b64 v[4:5], 1, v[4:5]
	s_waitcnt lgkmcnt(0)
	v_add_co_u32 v8, vcc_lo, s22, v8
	v_add_co_ci_u32_e32 v9, vcc_lo, s23, v9, vcc_lo
	v_mul_lo_u32 v18, v2, s27
	v_add_co_u32 v14, vcc_lo, v8, v1
	v_ashrrev_i32_e32 v1, 31, v0
	s_delay_alu instid0(VALU_DEP_4)
	v_add_co_ci_u32_e32 v17, vcc_lo, 0, v9, vcc_lo
	v_mul_lo_u32 v19, v3, s26
	v_mad_u64_u32 v[8:9], null, v2, s26, 0
	v_mul_lo_u32 v20, v0, s27
	v_mul_lo_u32 v21, v1, s26
	v_mad_u64_u32 v[11:12], null, v0, s26, 0
	v_add_co_u32 v4, vcc_lo, s22, v4
	v_lshlrev_b32_e32 v16, 1, v7
	v_add_co_ci_u32_e32 v5, vcc_lo, s23, v5, vcc_lo
	v_add3_u32 v9, v9, v18, v19
	v_add3_u32 v12, v12, v20, v21
	s_delay_alu instid0(VALU_DEP_4) | instskip(NEXT) | instid1(VALU_DEP_4)
	v_add_co_u32 v4, vcc_lo, v4, v16
	v_add_co_ci_u32_e32 v5, vcc_lo, 0, v5, vcc_lo
	v_lshlrev_b32_e32 v19, 6, v7
	s_cselect_b32 vcc_lo, -1, 0
	s_add_i32 s9, s10, -1
	s_and_b32 s8, s10, 7
	s_cmp_gt_u32 s9, 6
	v_add_lshl_u32 v16, v10, v6, 2
	v_dual_cndmask_b32 v17, v17, v5 :: v_dual_cndmask_b32 v18, v14, v4
	v_mov_b32_e32 v4, s34
	v_lshlrev_b64 v[7:8], 1, v[8:9]
	v_lshlrev_b64 v[9:10], 1, v[2:3]
	;; [unrolled: 1-line block ×4, first 2 shown]
	s_cselect_b32 s9, -1, 0
	s_and_b32 s15, s10, -8
	v_lshl_add_u32 v20, v6, 6, 0x800
	v_add_nc_u32_e32 v21, 0x400, v19
	v_mov_b32_e32 v5, s35
	s_cmp_lg_u32 s8, 0
	s_mul_i32 s23, s10, s10
	s_cselect_b32 s22, -1, 0
	s_branch .LBB54_13
.LBB54_11:                              ;   in Loop: Header=BB54_13 Depth=1
	s_or_b32 exec_lo, exec_lo, s34
.LBB54_12:                              ;   in Loop: Header=BB54_13 Depth=1
	s_delay_alu instid0(SALU_CYCLE_1) | instskip(SKIP_2) | instid1(SALU_CYCLE_1)
	s_or_b32 exec_lo, exec_lo, s33
	s_add_u32 s30, s30, 1
	s_addc_u32 s31, s31, 0
	v_cmp_ge_i64_e64 s33, s[30:31], s[28:29]
	s_barrier
	buffer_gl0_inv
	s_and_b32 vcc_lo, exec_lo, s33
	s_cbranch_vccnz .LBB54_37
.LBB54_13:                              ; =>This Loop Header: Depth=1
                                        ;     Child Loop BB54_24 Depth 2
                                        ;     Child Loop BB54_28 Depth 2
	;; [unrolled: 1-line block ×4, first 2 shown]
	s_and_saveexec_b32 s33, s2
	s_cbranch_execz .LBB54_18
; %bb.14:                               ;   in Loop: Header=BB54_13 Depth=1
	s_lshl_b64 s[34:35], s[30:31], 2
	s_delay_alu instid0(SALU_CYCLE_1) | instskip(SKIP_4) | instid1(SALU_CYCLE_1)
	s_add_u32 s34, s20, s34
	s_addc_u32 s35, s21, s35
	s_load_b32 s34, s[34:35], 0x0
	s_waitcnt lgkmcnt(0)
	s_sub_i32 s34, s34, s17
	v_mad_u64_u32 v[22:23], null, s34, s10, v[6:7]
	s_delay_alu instid0(VALU_DEP_1) | instskip(SKIP_2) | instid1(VALU_DEP_3)
	v_ashrrev_i32_e32 v23, 31, v22
	v_mul_lo_u32 v1, v22, s27
	v_mad_u64_u32 v[24:25], null, v22, s26, 0
	v_mul_lo_u32 v3, v23, s26
	v_lshlrev_b64 v[22:23], 1, v[22:23]
	s_delay_alu instid0(VALU_DEP_2) | instskip(NEXT) | instid1(VALU_DEP_1)
	v_add3_u32 v25, v25, v1, v3
	v_lshlrev_b64 v[24:25], 1, v[24:25]
	s_delay_alu instid0(VALU_DEP_1) | instskip(NEXT) | instid1(VALU_DEP_2)
	v_add_co_u32 v1, vcc_lo, s24, v24
	v_add_co_ci_u32_e32 v3, vcc_lo, s25, v25, vcc_lo
	v_add_co_u32 v22, vcc_lo, s24, v22
	v_add_co_ci_u32_e32 v23, vcc_lo, s25, v23, vcc_lo
	s_and_saveexec_b32 s34, s3
	s_cbranch_execz .LBB54_16
; %bb.15:                               ;   in Loop: Header=BB54_13 Depth=1
	s_delay_alu instid0(VALU_DEP_2) | instskip(NEXT) | instid1(VALU_DEP_2)
	v_add_co_u32 v24, vcc_lo, v22, v7
	v_add_co_ci_u32_e32 v25, vcc_lo, v23, v8, vcc_lo
	v_add_co_u32 v26, vcc_lo, v1, v9
	v_add_co_ci_u32_e32 v27, vcc_lo, v3, v10, vcc_lo
	s_delay_alu instid0(VALU_DEP_2) | instskip(NEXT) | instid1(VALU_DEP_2)
	v_cndmask_b32_e64 v24, v26, v24, s5
	v_cndmask_b32_e64 v25, v27, v25, s5
	global_load_u16 v24, v[24:25], off
	s_waitcnt vmcnt(0)
	v_cvt_f32_f16_e32 v24, v24
	ds_store_b32 v16, v24
.LBB54_16:                              ;   in Loop: Header=BB54_13 Depth=1
	s_or_b32 exec_lo, exec_lo, s34
	s_delay_alu instid0(SALU_CYCLE_1)
	s_and_b32 exec_lo, exec_lo, s4
	s_cbranch_execz .LBB54_18
; %bb.17:                               ;   in Loop: Header=BB54_13 Depth=1
	v_add_co_u32 v22, vcc_lo, v22, v11
	v_add_co_ci_u32_e32 v23, vcc_lo, v23, v12, vcc_lo
	v_add_co_u32 v1, vcc_lo, v1, v13
	v_add_co_ci_u32_e32 v3, vcc_lo, v3, v14, vcc_lo
	s_delay_alu instid0(VALU_DEP_2) | instskip(NEXT) | instid1(VALU_DEP_2)
	v_cndmask_b32_e64 v22, v1, v22, s5
	v_cndmask_b32_e64 v23, v3, v23, s5
	global_load_u16 v1, v[22:23], off
	s_waitcnt vmcnt(0)
	v_cvt_f32_f16_e32 v1, v1
	ds_store_b32 v16, v1 offset:1024
.LBB54_18:                              ;   in Loop: Header=BB54_13 Depth=1
	s_or_b32 exec_lo, exec_lo, s33
	s_and_saveexec_b32 s33, s13
	s_cbranch_execz .LBB54_20
; %bb.19:                               ;   in Loop: Header=BB54_13 Depth=1
	s_mul_i32 s35, s31, s23
	s_mul_hi_u32 s36, s30, s23
	s_mul_i32 s34, s30, s23
	s_add_i32 s35, s36, s35
	s_delay_alu instid0(SALU_CYCLE_1) | instskip(NEXT) | instid1(SALU_CYCLE_1)
	s_lshl_b64 s[34:35], s[34:35], 1
	v_add_co_u32 v22, vcc_lo, v18, s34
	v_add_co_ci_u32_e32 v23, vcc_lo, s35, v17, vcc_lo
	global_load_u16 v1, v[22:23], off
	s_waitcnt vmcnt(0)
	v_cvt_f32_f16_e32 v1, v1
	ds_store_b32 v15, v1
.LBB54_20:                              ;   in Loop: Header=BB54_13 Depth=1
	s_or_b32 exec_lo, exec_lo, s33
	s_waitcnt lgkmcnt(0)
	s_barrier
	buffer_gl0_inv
	s_and_saveexec_b32 s33, s2
	s_cbranch_execz .LBB54_12
; %bb.21:                               ;   in Loop: Header=BB54_13 Depth=1
	s_and_saveexec_b32 s34, s3
	s_cbranch_execz .LBB54_29
; %bb.22:                               ;   in Loop: Header=BB54_13 Depth=1
	s_and_not1_b32 vcc_lo, exec_lo, s9
	s_cbranch_vccnz .LBB54_26
; %bb.23:                               ;   in Loop: Header=BB54_13 Depth=1
	v_mov_b32_e32 v1, v20
	v_mov_b32_e32 v3, v19
	s_mov_b32 s35, 0
	.p2align	6
.LBB54_24:                              ;   Parent Loop BB54_13 Depth=1
                                        ; =>  This Inner Loop Header: Depth=2
	ds_load_b128 v[22:25], v3
	ds_load_b128 v[26:29], v1
	ds_load_b128 v[30:33], v1 offset:16
	ds_load_b128 v[34:37], v3 offset:16
	s_add_i32 s35, s35, 8
	v_add_nc_u32_e32 v1, 32, v1
	s_cmp_lg_u32 s15, s35
	v_add_nc_u32_e32 v3, 32, v3
	s_waitcnt lgkmcnt(2)
	v_fma_f32 v4, v26, v22, v4
	s_delay_alu instid0(VALU_DEP_1) | instskip(NEXT) | instid1(VALU_DEP_1)
	v_fmac_f32_e32 v4, v27, v23
	v_fmac_f32_e32 v4, v28, v24
	s_delay_alu instid0(VALU_DEP_1) | instskip(SKIP_1) | instid1(VALU_DEP_1)
	v_fmac_f32_e32 v4, v29, v25
	s_waitcnt lgkmcnt(0)
	v_fmac_f32_e32 v4, v30, v34
	s_delay_alu instid0(VALU_DEP_1) | instskip(NEXT) | instid1(VALU_DEP_1)
	v_fmac_f32_e32 v4, v31, v35
	v_fmac_f32_e32 v4, v32, v36
	s_delay_alu instid0(VALU_DEP_1)
	v_fmac_f32_e32 v4, v33, v37
	s_cbranch_scc1 .LBB54_24
; %bb.25:                               ;   in Loop: Header=BB54_13 Depth=1
	s_mov_b32 s35, s15
	s_and_not1_b32 vcc_lo, exec_lo, s22
	s_cbranch_vccz .LBB54_27
	s_branch .LBB54_29
.LBB54_26:                              ;   in Loop: Header=BB54_13 Depth=1
	s_mov_b32 s35, 0
	s_and_not1_b32 vcc_lo, exec_lo, s22
	s_cbranch_vccnz .LBB54_29
.LBB54_27:                              ;   in Loop: Header=BB54_13 Depth=1
	s_lshl_b32 s35, s35, 2
	s_delay_alu instid0(SALU_CYCLE_1)
	v_add_nc_u32_e32 v1, s35, v19
	v_add_nc_u32_e32 v3, s35, v20
	s_mov_b32 s35, s8
.LBB54_28:                              ;   Parent Loop BB54_13 Depth=1
                                        ; =>  This Inner Loop Header: Depth=2
	ds_load_b32 v22, v3
	ds_load_b32 v23, v1
	v_add_nc_u32_e32 v1, 4, v1
	v_add_nc_u32_e32 v3, 4, v3
	s_add_i32 s35, s35, -1
	s_delay_alu instid0(SALU_CYCLE_1)
	s_cmp_lg_u32 s35, 0
	s_waitcnt lgkmcnt(0)
	v_fma_f32 v4, v22, v23, v4
	s_cbranch_scc1 .LBB54_28
.LBB54_29:                              ;   in Loop: Header=BB54_13 Depth=1
	s_or_b32 exec_lo, exec_lo, s34
	s_and_saveexec_b32 s34, s4
	s_cbranch_execz .LBB54_11
; %bb.30:                               ;   in Loop: Header=BB54_13 Depth=1
	s_and_not1_b32 vcc_lo, exec_lo, s9
	s_cbranch_vccnz .LBB54_34
; %bb.31:                               ;   in Loop: Header=BB54_13 Depth=1
	v_mov_b32_e32 v1, v20
	v_mov_b32_e32 v3, v21
	s_mov_b32 s35, 0
	.p2align	6
.LBB54_32:                              ;   Parent Loop BB54_13 Depth=1
                                        ; =>  This Inner Loop Header: Depth=2
	ds_load_b128 v[22:25], v3
	ds_load_b128 v[26:29], v1
	ds_load_b128 v[30:33], v1 offset:16
	ds_load_b128 v[34:37], v3 offset:16
	v_add_nc_u32_e32 v3, 32, v3
	v_add_nc_u32_e32 v1, 32, v1
	s_add_i32 s35, s35, 8
	s_delay_alu instid0(SALU_CYCLE_1) | instskip(SKIP_2) | instid1(VALU_DEP_1)
	s_cmp_lg_u32 s15, s35
	s_waitcnt lgkmcnt(2)
	v_fma_f32 v5, v26, v22, v5
	v_fmac_f32_e32 v5, v27, v23
	s_delay_alu instid0(VALU_DEP_1) | instskip(NEXT) | instid1(VALU_DEP_1)
	v_fmac_f32_e32 v5, v28, v24
	v_fmac_f32_e32 v5, v29, v25
	s_waitcnt lgkmcnt(0)
	s_delay_alu instid0(VALU_DEP_1) | instskip(NEXT) | instid1(VALU_DEP_1)
	v_fmac_f32_e32 v5, v30, v34
	v_fmac_f32_e32 v5, v31, v35
	s_delay_alu instid0(VALU_DEP_1) | instskip(NEXT) | instid1(VALU_DEP_1)
	v_fmac_f32_e32 v5, v32, v36
	v_fmac_f32_e32 v5, v33, v37
	s_cbranch_scc1 .LBB54_32
; %bb.33:                               ;   in Loop: Header=BB54_13 Depth=1
	s_mov_b32 s35, s15
	s_and_not1_b32 vcc_lo, exec_lo, s22
	s_cbranch_vccz .LBB54_35
	s_branch .LBB54_11
.LBB54_34:                              ;   in Loop: Header=BB54_13 Depth=1
	s_mov_b32 s35, 0
	s_and_not1_b32 vcc_lo, exec_lo, s22
	s_cbranch_vccnz .LBB54_11
.LBB54_35:                              ;   in Loop: Header=BB54_13 Depth=1
	s_lshl_b32 s35, s35, 2
	s_delay_alu instid0(SALU_CYCLE_1)
	v_add_nc_u32_e32 v1, s35, v21
	v_add_nc_u32_e32 v3, s35, v20
	s_mov_b32 s35, s8
.LBB54_36:                              ;   Parent Loop BB54_13 Depth=1
                                        ; =>  This Inner Loop Header: Depth=2
	ds_load_b32 v22, v3
	ds_load_b32 v23, v1
	v_add_nc_u32_e32 v1, 4, v1
	v_add_nc_u32_e32 v3, 4, v3
	s_add_i32 s35, s35, -1
	s_delay_alu instid0(SALU_CYCLE_1)
	s_cmp_lg_u32 s35, 0
	s_waitcnt lgkmcnt(0)
	v_fma_f32 v5, v22, v23, v5
	s_cbranch_scc1 .LBB54_36
	s_branch .LBB54_11
.LBB54_37:
	s_delay_alu instid0(VALU_DEP_1) | instskip(NEXT) | instid1(SALU_CYCLE_1)
	s_and_b32 s2, s7, s2
	s_and_saveexec_b32 s3, s2
	s_cbranch_execz .LBB54_57
; %bb.38:
	s_load_b64 s[2:3], s[0:1], 0x70
	v_mad_u64_u32 v[7:8], null, s14, s10, v[6:7]
	v_cmp_neq_f32_e64 s4, s12, 0
	s_cmp_lg_u32 s16, 1
	s_mov_b32 s0, exec_lo
	s_cselect_b32 s1, -1, 0
	s_delay_alu instid0(VALU_DEP_2) | instskip(SKIP_1) | instid1(VALU_DEP_1)
	v_ashrrev_i32_e32 v8, 31, v7
	s_waitcnt lgkmcnt(0)
	v_mul_lo_u32 v1, v8, s2
	v_mul_lo_u32 v3, v7, s3
	v_mad_u64_u32 v[9:10], null, v7, s2, 0
	v_lshlrev_b64 v[6:7], 2, v[7:8]
	s_delay_alu instid0(VALU_DEP_1) | instskip(NEXT) | instid1(VALU_DEP_3)
	v_add_co_u32 v6, vcc_lo, s18, v6
	v_add3_u32 v10, v10, v3, v1
	s_delay_alu instid0(VALU_DEP_3) | instskip(NEXT) | instid1(VALU_DEP_2)
	v_add_co_ci_u32_e32 v7, vcc_lo, s19, v7, vcc_lo
	v_lshlrev_b64 v[8:9], 2, v[9:10]
	s_delay_alu instid0(VALU_DEP_1) | instskip(NEXT) | instid1(VALU_DEP_2)
	v_add_co_u32 v8, vcc_lo, s18, v8
	v_add_co_ci_u32_e32 v9, vcc_lo, s19, v9, vcc_lo
	v_cmpx_gt_i32_e64 s11, v2
	s_cbranch_execz .LBB54_50
; %bb.39:
	v_ashrrev_i32_e32 v3, 31, v2
	s_and_b32 vcc_lo, exec_lo, s4
	s_cbranch_vccz .LBB54_45
; %bb.40:
	s_and_b32 vcc_lo, exec_lo, s1
	s_mov_b32 s5, -1
	s_cbranch_vccz .LBB54_42
; %bb.41:
	v_lshlrev_b64 v[10:11], 2, v[2:3]
	v_mul_f32_e32 v12, s6, v4
	s_mov_b32 s5, 0
	s_delay_alu instid0(VALU_DEP_2) | instskip(NEXT) | instid1(VALU_DEP_3)
	v_add_co_u32 v10, vcc_lo, v8, v10
	v_add_co_ci_u32_e32 v11, vcc_lo, v9, v11, vcc_lo
	global_load_b32 v1, v[10:11], off
	s_waitcnt vmcnt(0)
	v_fmac_f32_e32 v12, s12, v1
	global_store_b32 v[10:11], v12, off
.LBB54_42:
	s_and_not1_b32 vcc_lo, exec_lo, s5
	s_cbranch_vccnz .LBB54_44
; %bb.43:
	v_mul_lo_u32 v1, v3, s2
	v_mul_lo_u32 v12, v2, s3
	v_mad_u64_u32 v[10:11], null, v2, s2, 0
	s_delay_alu instid0(VALU_DEP_1) | instskip(SKIP_1) | instid1(VALU_DEP_2)
	v_add3_u32 v11, v11, v12, v1
	v_mul_f32_e32 v12, s6, v4
	v_lshlrev_b64 v[10:11], 2, v[10:11]
	s_delay_alu instid0(VALU_DEP_1) | instskip(NEXT) | instid1(VALU_DEP_2)
	v_add_co_u32 v10, vcc_lo, v6, v10
	v_add_co_ci_u32_e32 v11, vcc_lo, v7, v11, vcc_lo
	global_load_b32 v1, v[10:11], off
	s_waitcnt vmcnt(0)
	v_fmac_f32_e32 v12, s12, v1
	global_store_b32 v[10:11], v12, off
.LBB54_44:
	s_cbranch_execz .LBB54_46
	s_branch .LBB54_50
.LBB54_45:
.LBB54_46:
	v_mul_f32_e32 v1, s6, v4
	s_and_b32 vcc_lo, exec_lo, s1
	s_mov_b32 s5, -1
	s_cbranch_vccz .LBB54_48
; %bb.47:
	v_lshlrev_b64 v[10:11], 2, v[2:3]
	s_mov_b32 s5, 0
	s_delay_alu instid0(VALU_DEP_1) | instskip(NEXT) | instid1(VALU_DEP_2)
	v_add_co_u32 v10, vcc_lo, v8, v10
	v_add_co_ci_u32_e32 v11, vcc_lo, v9, v11, vcc_lo
	global_store_b32 v[10:11], v1, off
.LBB54_48:
	s_and_not1_b32 vcc_lo, exec_lo, s5
	s_cbranch_vccnz .LBB54_50
; %bb.49:
	v_mul_lo_u32 v10, v3, s2
	v_mul_lo_u32 v11, v2, s3
	v_mad_u64_u32 v[3:4], null, v2, s2, 0
	s_delay_alu instid0(VALU_DEP_1) | instskip(NEXT) | instid1(VALU_DEP_1)
	v_add3_u32 v4, v4, v11, v10
	v_lshlrev_b64 v[2:3], 2, v[3:4]
	s_delay_alu instid0(VALU_DEP_1) | instskip(NEXT) | instid1(VALU_DEP_2)
	v_add_co_u32 v2, vcc_lo, v6, v2
	v_add_co_ci_u32_e32 v3, vcc_lo, v7, v3, vcc_lo
	global_store_b32 v[2:3], v1, off
.LBB54_50:
	s_or_b32 exec_lo, exec_lo, s0
	v_cmp_gt_i32_e32 vcc_lo, s11, v0
	s_and_b32 exec_lo, exec_lo, vcc_lo
	s_cbranch_execz .LBB54_57
; %bb.51:
	v_cndmask_b32_e64 v2, 0, 1, s1
	v_ashrrev_i32_e32 v1, 31, v0
	s_and_not1_b32 vcc_lo, exec_lo, s4
	s_delay_alu instid0(VALU_DEP_2)
	v_cmp_ne_u32_e64 s0, 1, v2
	s_cbranch_vccnz .LBB54_58
; %bb.52:
	s_delay_alu instid0(VALU_DEP_1)
	s_and_b32 vcc_lo, exec_lo, s0
	s_mov_b32 s0, -1
	s_cbranch_vccnz .LBB54_54
; %bb.53:
	v_lshlrev_b64 v[2:3], 2, v[0:1]
	v_mul_f32_e32 v10, s6, v5
	s_mov_b32 s0, 0
	s_delay_alu instid0(VALU_DEP_2) | instskip(NEXT) | instid1(VALU_DEP_3)
	v_add_co_u32 v2, vcc_lo, v8, v2
	v_add_co_ci_u32_e32 v3, vcc_lo, v9, v3, vcc_lo
	global_load_b32 v4, v[2:3], off
	s_waitcnt vmcnt(0)
	v_fmac_f32_e32 v10, s12, v4
	global_store_b32 v[2:3], v10, off
.LBB54_54:
	s_and_not1_b32 vcc_lo, exec_lo, s0
	s_cbranch_vccnz .LBB54_56
; %bb.55:
	v_mul_lo_u32 v4, v1, s2
	v_mul_lo_u32 v10, v0, s3
	v_mad_u64_u32 v[2:3], null, v0, s2, 0
	s_delay_alu instid0(VALU_DEP_1) | instskip(SKIP_1) | instid1(VALU_DEP_2)
	v_add3_u32 v3, v3, v10, v4
	v_mul_f32_e32 v10, s6, v5
	v_lshlrev_b64 v[2:3], 2, v[2:3]
	s_delay_alu instid0(VALU_DEP_1) | instskip(NEXT) | instid1(VALU_DEP_2)
	v_add_co_u32 v2, vcc_lo, v6, v2
	v_add_co_ci_u32_e32 v3, vcc_lo, v7, v3, vcc_lo
	global_load_b32 v4, v[2:3], off
	s_waitcnt vmcnt(0)
	v_fmac_f32_e32 v10, s12, v4
	global_store_b32 v[2:3], v10, off
.LBB54_56:
	s_cbranch_execz .LBB54_59
.LBB54_57:
	s_nop 0
	s_sendmsg sendmsg(MSG_DEALLOC_VGPRS)
	s_endpgm
.LBB54_58:
.LBB54_59:
	v_mul_f32_e32 v2, s6, v5
	s_and_not1_b32 vcc_lo, exec_lo, s1
	s_mov_b32 s0, -1
	s_cbranch_vccnz .LBB54_61
; %bb.60:
	v_lshlrev_b64 v[3:4], 2, v[0:1]
	s_mov_b32 s0, 0
	s_delay_alu instid0(VALU_DEP_1) | instskip(NEXT) | instid1(VALU_DEP_2)
	v_add_co_u32 v3, vcc_lo, v8, v3
	v_add_co_ci_u32_e32 v4, vcc_lo, v9, v4, vcc_lo
	global_store_b32 v[3:4], v2, off
.LBB54_61:
	s_and_not1_b32 vcc_lo, exec_lo, s0
	s_cbranch_vccnz .LBB54_57
; %bb.62:
	v_mul_lo_u32 v1, v1, s2
	v_mul_lo_u32 v5, v0, s3
	v_mad_u64_u32 v[3:4], null, v0, s2, 0
	s_delay_alu instid0(VALU_DEP_1) | instskip(NEXT) | instid1(VALU_DEP_1)
	v_add3_u32 v4, v4, v5, v1
	v_lshlrev_b64 v[0:1], 2, v[3:4]
	s_delay_alu instid0(VALU_DEP_1) | instskip(NEXT) | instid1(VALU_DEP_2)
	v_add_co_u32 v0, vcc_lo, v6, v0
	v_add_co_ci_u32_e32 v1, vcc_lo, v7, v1, vcc_lo
	global_store_b32 v[0:1], v2, off
	s_nop 0
	s_sendmsg sendmsg(MSG_DEALLOC_VGPRS)
	s_endpgm
	.section	.rodata,"a",@progbits
	.p2align	6, 0x0
	.amdhsa_kernel _ZN9rocsparseL31bsrmm_large_blockdim_kernel_extILj16ELj16ELj2EliDF16_DF16_ffEEvb20rocsparse_direction_T3_S2_llNS_24const_host_device_scalarIT7_EEPKT2_PKS2_PKT4_S2_PKT5_llS5_PT6_ll16rocsparse_order_21rocsparse_index_base_b
		.amdhsa_group_segment_fixed_size 3072
		.amdhsa_private_segment_fixed_size 0
		.amdhsa_kernarg_size 140
		.amdhsa_user_sgpr_count 14
		.amdhsa_user_sgpr_dispatch_ptr 0
		.amdhsa_user_sgpr_queue_ptr 0
		.amdhsa_user_sgpr_kernarg_segment_ptr 1
		.amdhsa_user_sgpr_dispatch_id 0
		.amdhsa_user_sgpr_private_segment_size 0
		.amdhsa_wavefront_size32 1
		.amdhsa_uses_dynamic_stack 0
		.amdhsa_enable_private_segment 0
		.amdhsa_system_sgpr_workgroup_id_x 1
		.amdhsa_system_sgpr_workgroup_id_y 1
		.amdhsa_system_sgpr_workgroup_id_z 0
		.amdhsa_system_sgpr_workgroup_info 0
		.amdhsa_system_vgpr_workitem_id 1
		.amdhsa_next_free_vgpr 38
		.amdhsa_next_free_sgpr 37
		.amdhsa_reserve_vcc 1
		.amdhsa_float_round_mode_32 0
		.amdhsa_float_round_mode_16_64 0
		.amdhsa_float_denorm_mode_32 3
		.amdhsa_float_denorm_mode_16_64 3
		.amdhsa_dx10_clamp 1
		.amdhsa_ieee_mode 1
		.amdhsa_fp16_overflow 0
		.amdhsa_workgroup_processor_mode 1
		.amdhsa_memory_ordered 1
		.amdhsa_forward_progress 0
		.amdhsa_shared_vgpr_count 0
		.amdhsa_exception_fp_ieee_invalid_op 0
		.amdhsa_exception_fp_denorm_src 0
		.amdhsa_exception_fp_ieee_div_zero 0
		.amdhsa_exception_fp_ieee_overflow 0
		.amdhsa_exception_fp_ieee_underflow 0
		.amdhsa_exception_fp_ieee_inexact 0
		.amdhsa_exception_int_div_zero 0
	.end_amdhsa_kernel
	.section	.text._ZN9rocsparseL31bsrmm_large_blockdim_kernel_extILj16ELj16ELj2EliDF16_DF16_ffEEvb20rocsparse_direction_T3_S2_llNS_24const_host_device_scalarIT7_EEPKT2_PKS2_PKT4_S2_PKT5_llS5_PT6_ll16rocsparse_order_21rocsparse_index_base_b,"axG",@progbits,_ZN9rocsparseL31bsrmm_large_blockdim_kernel_extILj16ELj16ELj2EliDF16_DF16_ffEEvb20rocsparse_direction_T3_S2_llNS_24const_host_device_scalarIT7_EEPKT2_PKS2_PKT4_S2_PKT5_llS5_PT6_ll16rocsparse_order_21rocsparse_index_base_b,comdat
.Lfunc_end54:
	.size	_ZN9rocsparseL31bsrmm_large_blockdim_kernel_extILj16ELj16ELj2EliDF16_DF16_ffEEvb20rocsparse_direction_T3_S2_llNS_24const_host_device_scalarIT7_EEPKT2_PKS2_PKT4_S2_PKT5_llS5_PT6_ll16rocsparse_order_21rocsparse_index_base_b, .Lfunc_end54-_ZN9rocsparseL31bsrmm_large_blockdim_kernel_extILj16ELj16ELj2EliDF16_DF16_ffEEvb20rocsparse_direction_T3_S2_llNS_24const_host_device_scalarIT7_EEPKT2_PKS2_PKT4_S2_PKT5_llS5_PT6_ll16rocsparse_order_21rocsparse_index_base_b
                                        ; -- End function
	.section	.AMDGPU.csdata,"",@progbits
; Kernel info:
; codeLenInByte = 2520
; NumSgprs: 39
; NumVgprs: 38
; ScratchSize: 0
; MemoryBound: 0
; FloatMode: 240
; IeeeMode: 1
; LDSByteSize: 3072 bytes/workgroup (compile time only)
; SGPRBlocks: 4
; VGPRBlocks: 4
; NumSGPRsForWavesPerEU: 39
; NumVGPRsForWavesPerEU: 38
; Occupancy: 16
; WaveLimiterHint : 1
; COMPUTE_PGM_RSRC2:SCRATCH_EN: 0
; COMPUTE_PGM_RSRC2:USER_SGPR: 14
; COMPUTE_PGM_RSRC2:TRAP_HANDLER: 0
; COMPUTE_PGM_RSRC2:TGID_X_EN: 1
; COMPUTE_PGM_RSRC2:TGID_Y_EN: 1
; COMPUTE_PGM_RSRC2:TGID_Z_EN: 0
; COMPUTE_PGM_RSRC2:TIDIG_COMP_CNT: 1
	.section	.text._ZN9rocsparseL31bsrmm_large_blockdim_kernel_extILj32ELj32ELj2EliDF16_DF16_ffEEvb20rocsparse_direction_T3_S2_llNS_24const_host_device_scalarIT7_EEPKT2_PKS2_PKT4_S2_PKT5_llS5_PT6_ll16rocsparse_order_21rocsparse_index_base_b,"axG",@progbits,_ZN9rocsparseL31bsrmm_large_blockdim_kernel_extILj32ELj32ELj2EliDF16_DF16_ffEEvb20rocsparse_direction_T3_S2_llNS_24const_host_device_scalarIT7_EEPKT2_PKS2_PKT4_S2_PKT5_llS5_PT6_ll16rocsparse_order_21rocsparse_index_base_b,comdat
	.globl	_ZN9rocsparseL31bsrmm_large_blockdim_kernel_extILj32ELj32ELj2EliDF16_DF16_ffEEvb20rocsparse_direction_T3_S2_llNS_24const_host_device_scalarIT7_EEPKT2_PKS2_PKT4_S2_PKT5_llS5_PT6_ll16rocsparse_order_21rocsparse_index_base_b ; -- Begin function _ZN9rocsparseL31bsrmm_large_blockdim_kernel_extILj32ELj32ELj2EliDF16_DF16_ffEEvb20rocsparse_direction_T3_S2_llNS_24const_host_device_scalarIT7_EEPKT2_PKS2_PKT4_S2_PKT5_llS5_PT6_ll16rocsparse_order_21rocsparse_index_base_b
	.p2align	8
	.type	_ZN9rocsparseL31bsrmm_large_blockdim_kernel_extILj32ELj32ELj2EliDF16_DF16_ffEEvb20rocsparse_direction_T3_S2_llNS_24const_host_device_scalarIT7_EEPKT2_PKS2_PKT4_S2_PKT5_llS5_PT6_ll16rocsparse_order_21rocsparse_index_base_b,@function
_ZN9rocsparseL31bsrmm_large_blockdim_kernel_extILj32ELj32ELj2EliDF16_DF16_ffEEvb20rocsparse_direction_T3_S2_llNS_24const_host_device_scalarIT7_EEPKT2_PKS2_PKT4_S2_PKT5_llS5_PT6_ll16rocsparse_order_21rocsparse_index_base_b: ; @_ZN9rocsparseL31bsrmm_large_blockdim_kernel_extILj32ELj32ELj2EliDF16_DF16_ffEEvb20rocsparse_direction_T3_S2_llNS_24const_host_device_scalarIT7_EEPKT2_PKS2_PKT4_S2_PKT5_llS5_PT6_ll16rocsparse_order_21rocsparse_index_base_b
; %bb.0:
	s_clause 0x2
	s_load_b128 s[16:19], s[0:1], 0x80
	s_load_b64 s[6:7], s[0:1], 0x20
	s_load_b64 s[12:13], s[0:1], 0x60
	s_mov_b32 s2, s15
	s_waitcnt lgkmcnt(0)
	s_bitcmp1_b32 s18, 0
	s_cselect_b32 s3, -1, 0
	s_delay_alu instid0(SALU_CYCLE_1)
	s_and_b32 vcc_lo, exec_lo, s3
	s_xor_b32 s3, s3, -1
	s_cbranch_vccnz .LBB55_2
; %bb.1:
	s_load_b32 s6, s[6:7], 0x0
.LBB55_2:
	s_and_not1_b32 vcc_lo, exec_lo, s3
	s_cbranch_vccnz .LBB55_4
; %bb.3:
	s_load_b32 s12, s[12:13], 0x0
.LBB55_4:
	s_waitcnt lgkmcnt(0)
	v_cmp_eq_f32_e64 s3, s6, 0
	v_cmp_eq_f32_e64 s4, s12, 1.0
	s_delay_alu instid0(VALU_DEP_1) | instskip(NEXT) | instid1(SALU_CYCLE_1)
	s_and_b32 s3, s3, s4
	s_and_b32 vcc_lo, exec_lo, s3
	s_cbranch_vccnz .LBB55_57
; %bb.5:
	s_clause 0x1
	s_load_b128 s[8:11], s[0:1], 0x0
	s_load_b64 s[4:5], s[0:1], 0x28
	s_mov_b64 s[28:29], 0
	s_mov_b64 s[30:31], 0
	s_waitcnt lgkmcnt(0)
	s_cmp_lt_i32 s14, s10
	s_cselect_b32 s7, -1, 0
	s_cmp_ge_i32 s14, s10
	s_cbranch_scc1 .LBB55_7
; %bb.6:
	s_ashr_i32 s15, s14, 31
	s_delay_alu instid0(SALU_CYCLE_1) | instskip(NEXT) | instid1(SALU_CYCLE_1)
	s_lshl_b64 s[18:19], s[14:15], 3
	s_add_u32 s18, s4, s18
	s_addc_u32 s19, s5, s19
	s_load_b64 s[18:19], s[18:19], 0x0
	s_waitcnt lgkmcnt(0)
	s_sub_u32 s30, s18, s17
	s_subb_u32 s31, s19, 0
.LBB55_7:
	s_and_not1_b32 vcc_lo, exec_lo, s7
	s_cbranch_vccnz .LBB55_9
; %bb.8:
	s_ashr_i32 s15, s14, 31
	s_delay_alu instid0(SALU_CYCLE_1) | instskip(NEXT) | instid1(SALU_CYCLE_1)
	s_lshl_b64 s[18:19], s[14:15], 3
	s_add_u32 s4, s4, s18
	s_addc_u32 s5, s5, s19
	s_load_b64 s[4:5], s[4:5], 0x8
	s_waitcnt lgkmcnt(0)
	s_sub_u32 s28, s4, s17
	s_subb_u32 s29, s5, 0
.LBB55_9:
	s_clause 0x1
	s_load_b32 s10, s[0:1], 0x40
	s_load_b64 s[18:19], s[0:1], 0x68
	v_bfe_u32 v7, v0, 10, 10
	s_mov_b32 s34, 0
	s_delay_alu instid0(SALU_CYCLE_1) | instskip(SKIP_1) | instid1(VALU_DEP_2)
	s_mov_b32 s35, s34
	v_and_b32_e32 v6, 0x3ff, v0
	v_lshl_add_u32 v2, s2, 6, v7
	v_cmp_ge_i64_e64 s2, s[30:31], s[28:29]
	v_dual_mov_b32 v4, s34 :: v_dual_mov_b32 v5, s35
	s_delay_alu instid0(VALU_DEP_3) | instskip(SKIP_1) | instid1(VALU_DEP_4)
	v_add_nc_u32_e32 v0, 32, v2
	v_cmp_gt_i32_e64 s3, s11, v2
	s_and_b32 vcc_lo, exec_lo, s2
	s_delay_alu instid0(VALU_DEP_2)
	v_cmp_gt_i32_e64 s4, s11, v0
	s_waitcnt lgkmcnt(0)
	v_cmp_gt_i32_e64 s2, s10, v6
	s_cbranch_vccnz .LBB55_37
; %bb.10:
	s_clause 0x1
	s_load_b128 s[20:23], s[0:1], 0x30
	s_load_b128 s[24:27], s[0:1], 0x48
	v_mul_lo_u32 v4, v7, s10
	v_dual_mov_b32 v5, 0 :: v_dual_lshlrev_b32 v10, 5, v7
	v_cmp_gt_i32_e32 vcc_lo, s10, v7
	v_lshlrev_b32_e32 v1, 1, v6
	v_ashrrev_i32_e32 v3, 31, v2
	v_lshl_add_u32 v13, v6, 5, v7
	v_lshlrev_b64 v[8:9], 1, v[4:5]
	v_mul_lo_u32 v4, v6, s10
	s_and_b32 s13, s2, vcc_lo
	s_bitcmp1_b32 s8, 0
	v_lshl_add_u32 v15, v13, 2, 0x2000
	s_cselect_b32 s5, -1, 0
	s_cmp_eq_u32 s9, 0
	s_delay_alu instid0(VALU_DEP_2) | instskip(SKIP_4) | instid1(VALU_DEP_3)
	v_lshlrev_b64 v[4:5], 1, v[4:5]
	s_waitcnt lgkmcnt(0)
	v_add_co_u32 v8, vcc_lo, s22, v8
	v_add_co_ci_u32_e32 v9, vcc_lo, s23, v9, vcc_lo
	v_mul_lo_u32 v18, v2, s27
	v_add_co_u32 v14, vcc_lo, v8, v1
	v_ashrrev_i32_e32 v1, 31, v0
	s_delay_alu instid0(VALU_DEP_4)
	v_add_co_ci_u32_e32 v17, vcc_lo, 0, v9, vcc_lo
	v_mul_lo_u32 v19, v3, s26
	v_mad_u64_u32 v[8:9], null, v2, s26, 0
	v_mul_lo_u32 v20, v0, s27
	v_mul_lo_u32 v21, v1, s26
	v_mad_u64_u32 v[11:12], null, v0, s26, 0
	v_add_co_u32 v4, vcc_lo, s22, v4
	v_lshlrev_b32_e32 v16, 1, v7
	v_add_co_ci_u32_e32 v5, vcc_lo, s23, v5, vcc_lo
	v_add3_u32 v9, v9, v18, v19
	v_add3_u32 v12, v12, v20, v21
	s_delay_alu instid0(VALU_DEP_4) | instskip(NEXT) | instid1(VALU_DEP_4)
	v_add_co_u32 v4, vcc_lo, v4, v16
	v_add_co_ci_u32_e32 v5, vcc_lo, 0, v5, vcc_lo
	v_lshlrev_b32_e32 v19, 7, v7
	s_cselect_b32 vcc_lo, -1, 0
	s_add_i32 s9, s10, -1
	s_and_b32 s8, s10, 7
	s_cmp_gt_u32 s9, 6
	v_add_lshl_u32 v16, v10, v6, 2
	v_dual_cndmask_b32 v17, v17, v5 :: v_dual_cndmask_b32 v18, v14, v4
	v_mov_b32_e32 v4, s34
	v_lshlrev_b64 v[7:8], 1, v[8:9]
	v_lshlrev_b64 v[9:10], 1, v[2:3]
	v_lshlrev_b64 v[11:12], 1, v[11:12]
	v_lshlrev_b64 v[13:14], 1, v[0:1]
	s_cselect_b32 s9, -1, 0
	s_and_b32 s15, s10, -8
	v_lshl_add_u32 v20, v6, 7, 0x2000
	v_add_nc_u32_e32 v21, 0x1000, v19
	v_mov_b32_e32 v5, s35
	s_cmp_lg_u32 s8, 0
	s_mul_i32 s23, s10, s10
	s_cselect_b32 s22, -1, 0
	s_branch .LBB55_13
.LBB55_11:                              ;   in Loop: Header=BB55_13 Depth=1
	s_or_b32 exec_lo, exec_lo, s34
.LBB55_12:                              ;   in Loop: Header=BB55_13 Depth=1
	s_delay_alu instid0(SALU_CYCLE_1) | instskip(SKIP_2) | instid1(SALU_CYCLE_1)
	s_or_b32 exec_lo, exec_lo, s33
	s_add_u32 s30, s30, 1
	s_addc_u32 s31, s31, 0
	v_cmp_ge_i64_e64 s33, s[30:31], s[28:29]
	s_barrier
	buffer_gl0_inv
	s_and_b32 vcc_lo, exec_lo, s33
	s_cbranch_vccnz .LBB55_37
.LBB55_13:                              ; =>This Loop Header: Depth=1
                                        ;     Child Loop BB55_24 Depth 2
                                        ;     Child Loop BB55_28 Depth 2
	;; [unrolled: 1-line block ×4, first 2 shown]
	s_and_saveexec_b32 s33, s2
	s_cbranch_execz .LBB55_18
; %bb.14:                               ;   in Loop: Header=BB55_13 Depth=1
	s_lshl_b64 s[34:35], s[30:31], 2
	s_delay_alu instid0(SALU_CYCLE_1) | instskip(SKIP_4) | instid1(SALU_CYCLE_1)
	s_add_u32 s34, s20, s34
	s_addc_u32 s35, s21, s35
	s_load_b32 s34, s[34:35], 0x0
	s_waitcnt lgkmcnt(0)
	s_sub_i32 s34, s34, s17
	v_mad_u64_u32 v[22:23], null, s34, s10, v[6:7]
	s_delay_alu instid0(VALU_DEP_1) | instskip(SKIP_2) | instid1(VALU_DEP_3)
	v_ashrrev_i32_e32 v23, 31, v22
	v_mul_lo_u32 v1, v22, s27
	v_mad_u64_u32 v[24:25], null, v22, s26, 0
	v_mul_lo_u32 v3, v23, s26
	v_lshlrev_b64 v[22:23], 1, v[22:23]
	s_delay_alu instid0(VALU_DEP_2) | instskip(NEXT) | instid1(VALU_DEP_1)
	v_add3_u32 v25, v25, v1, v3
	v_lshlrev_b64 v[24:25], 1, v[24:25]
	s_delay_alu instid0(VALU_DEP_1) | instskip(NEXT) | instid1(VALU_DEP_2)
	v_add_co_u32 v1, vcc_lo, s24, v24
	v_add_co_ci_u32_e32 v3, vcc_lo, s25, v25, vcc_lo
	v_add_co_u32 v22, vcc_lo, s24, v22
	v_add_co_ci_u32_e32 v23, vcc_lo, s25, v23, vcc_lo
	s_and_saveexec_b32 s34, s3
	s_cbranch_execz .LBB55_16
; %bb.15:                               ;   in Loop: Header=BB55_13 Depth=1
	s_delay_alu instid0(VALU_DEP_2) | instskip(NEXT) | instid1(VALU_DEP_2)
	v_add_co_u32 v24, vcc_lo, v22, v7
	v_add_co_ci_u32_e32 v25, vcc_lo, v23, v8, vcc_lo
	v_add_co_u32 v26, vcc_lo, v1, v9
	v_add_co_ci_u32_e32 v27, vcc_lo, v3, v10, vcc_lo
	s_delay_alu instid0(VALU_DEP_2) | instskip(NEXT) | instid1(VALU_DEP_2)
	v_cndmask_b32_e64 v24, v26, v24, s5
	v_cndmask_b32_e64 v25, v27, v25, s5
	global_load_u16 v24, v[24:25], off
	s_waitcnt vmcnt(0)
	v_cvt_f32_f16_e32 v24, v24
	ds_store_b32 v16, v24
.LBB55_16:                              ;   in Loop: Header=BB55_13 Depth=1
	s_or_b32 exec_lo, exec_lo, s34
	s_delay_alu instid0(SALU_CYCLE_1)
	s_and_b32 exec_lo, exec_lo, s4
	s_cbranch_execz .LBB55_18
; %bb.17:                               ;   in Loop: Header=BB55_13 Depth=1
	v_add_co_u32 v22, vcc_lo, v22, v11
	v_add_co_ci_u32_e32 v23, vcc_lo, v23, v12, vcc_lo
	v_add_co_u32 v1, vcc_lo, v1, v13
	v_add_co_ci_u32_e32 v3, vcc_lo, v3, v14, vcc_lo
	s_delay_alu instid0(VALU_DEP_2) | instskip(NEXT) | instid1(VALU_DEP_2)
	v_cndmask_b32_e64 v22, v1, v22, s5
	v_cndmask_b32_e64 v23, v3, v23, s5
	global_load_u16 v1, v[22:23], off
	s_waitcnt vmcnt(0)
	v_cvt_f32_f16_e32 v1, v1
	ds_store_b32 v16, v1 offset:4096
.LBB55_18:                              ;   in Loop: Header=BB55_13 Depth=1
	s_or_b32 exec_lo, exec_lo, s33
	s_and_saveexec_b32 s33, s13
	s_cbranch_execz .LBB55_20
; %bb.19:                               ;   in Loop: Header=BB55_13 Depth=1
	s_mul_i32 s35, s31, s23
	s_mul_hi_u32 s36, s30, s23
	s_mul_i32 s34, s30, s23
	s_add_i32 s35, s36, s35
	s_delay_alu instid0(SALU_CYCLE_1) | instskip(NEXT) | instid1(SALU_CYCLE_1)
	s_lshl_b64 s[34:35], s[34:35], 1
	v_add_co_u32 v22, vcc_lo, v18, s34
	v_add_co_ci_u32_e32 v23, vcc_lo, s35, v17, vcc_lo
	global_load_u16 v1, v[22:23], off
	s_waitcnt vmcnt(0)
	v_cvt_f32_f16_e32 v1, v1
	ds_store_b32 v15, v1
.LBB55_20:                              ;   in Loop: Header=BB55_13 Depth=1
	s_or_b32 exec_lo, exec_lo, s33
	s_waitcnt lgkmcnt(0)
	s_barrier
	buffer_gl0_inv
	s_and_saveexec_b32 s33, s2
	s_cbranch_execz .LBB55_12
; %bb.21:                               ;   in Loop: Header=BB55_13 Depth=1
	s_and_saveexec_b32 s34, s3
	s_cbranch_execz .LBB55_29
; %bb.22:                               ;   in Loop: Header=BB55_13 Depth=1
	s_and_not1_b32 vcc_lo, exec_lo, s9
	s_cbranch_vccnz .LBB55_26
; %bb.23:                               ;   in Loop: Header=BB55_13 Depth=1
	v_mov_b32_e32 v1, v20
	v_mov_b32_e32 v3, v19
	s_mov_b32 s35, 0
	.p2align	6
.LBB55_24:                              ;   Parent Loop BB55_13 Depth=1
                                        ; =>  This Inner Loop Header: Depth=2
	ds_load_b128 v[22:25], v3
	ds_load_b128 v[26:29], v1
	ds_load_b128 v[30:33], v1 offset:16
	ds_load_b128 v[34:37], v3 offset:16
	s_add_i32 s35, s35, 8
	v_add_nc_u32_e32 v1, 32, v1
	s_cmp_lg_u32 s15, s35
	v_add_nc_u32_e32 v3, 32, v3
	s_waitcnt lgkmcnt(2)
	v_fma_f32 v4, v26, v22, v4
	s_delay_alu instid0(VALU_DEP_1) | instskip(NEXT) | instid1(VALU_DEP_1)
	v_fmac_f32_e32 v4, v27, v23
	v_fmac_f32_e32 v4, v28, v24
	s_delay_alu instid0(VALU_DEP_1) | instskip(SKIP_1) | instid1(VALU_DEP_1)
	v_fmac_f32_e32 v4, v29, v25
	s_waitcnt lgkmcnt(0)
	v_fmac_f32_e32 v4, v30, v34
	s_delay_alu instid0(VALU_DEP_1) | instskip(NEXT) | instid1(VALU_DEP_1)
	v_fmac_f32_e32 v4, v31, v35
	v_fmac_f32_e32 v4, v32, v36
	s_delay_alu instid0(VALU_DEP_1)
	v_fmac_f32_e32 v4, v33, v37
	s_cbranch_scc1 .LBB55_24
; %bb.25:                               ;   in Loop: Header=BB55_13 Depth=1
	s_mov_b32 s35, s15
	s_and_not1_b32 vcc_lo, exec_lo, s22
	s_cbranch_vccz .LBB55_27
	s_branch .LBB55_29
.LBB55_26:                              ;   in Loop: Header=BB55_13 Depth=1
	s_mov_b32 s35, 0
	s_and_not1_b32 vcc_lo, exec_lo, s22
	s_cbranch_vccnz .LBB55_29
.LBB55_27:                              ;   in Loop: Header=BB55_13 Depth=1
	s_lshl_b32 s35, s35, 2
	s_delay_alu instid0(SALU_CYCLE_1)
	v_add_nc_u32_e32 v1, s35, v19
	v_add_nc_u32_e32 v3, s35, v20
	s_mov_b32 s35, s8
.LBB55_28:                              ;   Parent Loop BB55_13 Depth=1
                                        ; =>  This Inner Loop Header: Depth=2
	ds_load_b32 v22, v3
	ds_load_b32 v23, v1
	v_add_nc_u32_e32 v1, 4, v1
	v_add_nc_u32_e32 v3, 4, v3
	s_add_i32 s35, s35, -1
	s_delay_alu instid0(SALU_CYCLE_1)
	s_cmp_lg_u32 s35, 0
	s_waitcnt lgkmcnt(0)
	v_fma_f32 v4, v22, v23, v4
	s_cbranch_scc1 .LBB55_28
.LBB55_29:                              ;   in Loop: Header=BB55_13 Depth=1
	s_or_b32 exec_lo, exec_lo, s34
	s_and_saveexec_b32 s34, s4
	s_cbranch_execz .LBB55_11
; %bb.30:                               ;   in Loop: Header=BB55_13 Depth=1
	s_and_not1_b32 vcc_lo, exec_lo, s9
	s_cbranch_vccnz .LBB55_34
; %bb.31:                               ;   in Loop: Header=BB55_13 Depth=1
	v_mov_b32_e32 v1, v20
	v_mov_b32_e32 v3, v21
	s_mov_b32 s35, 0
	.p2align	6
.LBB55_32:                              ;   Parent Loop BB55_13 Depth=1
                                        ; =>  This Inner Loop Header: Depth=2
	ds_load_b128 v[22:25], v3
	ds_load_b128 v[26:29], v1
	ds_load_b128 v[30:33], v1 offset:16
	ds_load_b128 v[34:37], v3 offset:16
	v_add_nc_u32_e32 v3, 32, v3
	v_add_nc_u32_e32 v1, 32, v1
	s_add_i32 s35, s35, 8
	s_delay_alu instid0(SALU_CYCLE_1) | instskip(SKIP_2) | instid1(VALU_DEP_1)
	s_cmp_lg_u32 s15, s35
	s_waitcnt lgkmcnt(2)
	v_fma_f32 v5, v26, v22, v5
	v_fmac_f32_e32 v5, v27, v23
	s_delay_alu instid0(VALU_DEP_1) | instskip(NEXT) | instid1(VALU_DEP_1)
	v_fmac_f32_e32 v5, v28, v24
	v_fmac_f32_e32 v5, v29, v25
	s_waitcnt lgkmcnt(0)
	s_delay_alu instid0(VALU_DEP_1) | instskip(NEXT) | instid1(VALU_DEP_1)
	v_fmac_f32_e32 v5, v30, v34
	v_fmac_f32_e32 v5, v31, v35
	s_delay_alu instid0(VALU_DEP_1) | instskip(NEXT) | instid1(VALU_DEP_1)
	v_fmac_f32_e32 v5, v32, v36
	v_fmac_f32_e32 v5, v33, v37
	s_cbranch_scc1 .LBB55_32
; %bb.33:                               ;   in Loop: Header=BB55_13 Depth=1
	s_mov_b32 s35, s15
	s_and_not1_b32 vcc_lo, exec_lo, s22
	s_cbranch_vccz .LBB55_35
	s_branch .LBB55_11
.LBB55_34:                              ;   in Loop: Header=BB55_13 Depth=1
	s_mov_b32 s35, 0
	s_and_not1_b32 vcc_lo, exec_lo, s22
	s_cbranch_vccnz .LBB55_11
.LBB55_35:                              ;   in Loop: Header=BB55_13 Depth=1
	s_lshl_b32 s35, s35, 2
	s_delay_alu instid0(SALU_CYCLE_1)
	v_add_nc_u32_e32 v1, s35, v21
	v_add_nc_u32_e32 v3, s35, v20
	s_mov_b32 s35, s8
.LBB55_36:                              ;   Parent Loop BB55_13 Depth=1
                                        ; =>  This Inner Loop Header: Depth=2
	ds_load_b32 v22, v3
	ds_load_b32 v23, v1
	v_add_nc_u32_e32 v1, 4, v1
	v_add_nc_u32_e32 v3, 4, v3
	s_add_i32 s35, s35, -1
	s_delay_alu instid0(SALU_CYCLE_1)
	s_cmp_lg_u32 s35, 0
	s_waitcnt lgkmcnt(0)
	v_fma_f32 v5, v22, v23, v5
	s_cbranch_scc1 .LBB55_36
	s_branch .LBB55_11
.LBB55_37:
	s_delay_alu instid0(VALU_DEP_1) | instskip(NEXT) | instid1(SALU_CYCLE_1)
	s_and_b32 s2, s7, s2
	s_and_saveexec_b32 s3, s2
	s_cbranch_execz .LBB55_57
; %bb.38:
	s_load_b64 s[2:3], s[0:1], 0x70
	v_mad_u64_u32 v[7:8], null, s14, s10, v[6:7]
	v_cmp_neq_f32_e64 s4, s12, 0
	s_cmp_lg_u32 s16, 1
	s_mov_b32 s0, exec_lo
	s_cselect_b32 s1, -1, 0
	s_delay_alu instid0(VALU_DEP_2) | instskip(SKIP_1) | instid1(VALU_DEP_1)
	v_ashrrev_i32_e32 v8, 31, v7
	s_waitcnt lgkmcnt(0)
	v_mul_lo_u32 v1, v8, s2
	v_mul_lo_u32 v3, v7, s3
	v_mad_u64_u32 v[9:10], null, v7, s2, 0
	v_lshlrev_b64 v[6:7], 2, v[7:8]
	s_delay_alu instid0(VALU_DEP_1) | instskip(NEXT) | instid1(VALU_DEP_3)
	v_add_co_u32 v6, vcc_lo, s18, v6
	v_add3_u32 v10, v10, v3, v1
	s_delay_alu instid0(VALU_DEP_3) | instskip(NEXT) | instid1(VALU_DEP_2)
	v_add_co_ci_u32_e32 v7, vcc_lo, s19, v7, vcc_lo
	v_lshlrev_b64 v[8:9], 2, v[9:10]
	s_delay_alu instid0(VALU_DEP_1) | instskip(NEXT) | instid1(VALU_DEP_2)
	v_add_co_u32 v8, vcc_lo, s18, v8
	v_add_co_ci_u32_e32 v9, vcc_lo, s19, v9, vcc_lo
	v_cmpx_gt_i32_e64 s11, v2
	s_cbranch_execz .LBB55_50
; %bb.39:
	v_ashrrev_i32_e32 v3, 31, v2
	s_and_b32 vcc_lo, exec_lo, s4
	s_cbranch_vccz .LBB55_45
; %bb.40:
	s_and_b32 vcc_lo, exec_lo, s1
	s_mov_b32 s5, -1
	s_cbranch_vccz .LBB55_42
; %bb.41:
	v_lshlrev_b64 v[10:11], 2, v[2:3]
	v_mul_f32_e32 v12, s6, v4
	s_mov_b32 s5, 0
	s_delay_alu instid0(VALU_DEP_2) | instskip(NEXT) | instid1(VALU_DEP_3)
	v_add_co_u32 v10, vcc_lo, v8, v10
	v_add_co_ci_u32_e32 v11, vcc_lo, v9, v11, vcc_lo
	global_load_b32 v1, v[10:11], off
	s_waitcnt vmcnt(0)
	v_fmac_f32_e32 v12, s12, v1
	global_store_b32 v[10:11], v12, off
.LBB55_42:
	s_and_not1_b32 vcc_lo, exec_lo, s5
	s_cbranch_vccnz .LBB55_44
; %bb.43:
	v_mul_lo_u32 v1, v3, s2
	v_mul_lo_u32 v12, v2, s3
	v_mad_u64_u32 v[10:11], null, v2, s2, 0
	s_delay_alu instid0(VALU_DEP_1) | instskip(SKIP_1) | instid1(VALU_DEP_2)
	v_add3_u32 v11, v11, v12, v1
	v_mul_f32_e32 v12, s6, v4
	v_lshlrev_b64 v[10:11], 2, v[10:11]
	s_delay_alu instid0(VALU_DEP_1) | instskip(NEXT) | instid1(VALU_DEP_2)
	v_add_co_u32 v10, vcc_lo, v6, v10
	v_add_co_ci_u32_e32 v11, vcc_lo, v7, v11, vcc_lo
	global_load_b32 v1, v[10:11], off
	s_waitcnt vmcnt(0)
	v_fmac_f32_e32 v12, s12, v1
	global_store_b32 v[10:11], v12, off
.LBB55_44:
	s_cbranch_execz .LBB55_46
	s_branch .LBB55_50
.LBB55_45:
.LBB55_46:
	v_mul_f32_e32 v1, s6, v4
	s_and_b32 vcc_lo, exec_lo, s1
	s_mov_b32 s5, -1
	s_cbranch_vccz .LBB55_48
; %bb.47:
	v_lshlrev_b64 v[10:11], 2, v[2:3]
	s_mov_b32 s5, 0
	s_delay_alu instid0(VALU_DEP_1) | instskip(NEXT) | instid1(VALU_DEP_2)
	v_add_co_u32 v10, vcc_lo, v8, v10
	v_add_co_ci_u32_e32 v11, vcc_lo, v9, v11, vcc_lo
	global_store_b32 v[10:11], v1, off
.LBB55_48:
	s_and_not1_b32 vcc_lo, exec_lo, s5
	s_cbranch_vccnz .LBB55_50
; %bb.49:
	v_mul_lo_u32 v10, v3, s2
	v_mul_lo_u32 v11, v2, s3
	v_mad_u64_u32 v[3:4], null, v2, s2, 0
	s_delay_alu instid0(VALU_DEP_1) | instskip(NEXT) | instid1(VALU_DEP_1)
	v_add3_u32 v4, v4, v11, v10
	v_lshlrev_b64 v[2:3], 2, v[3:4]
	s_delay_alu instid0(VALU_DEP_1) | instskip(NEXT) | instid1(VALU_DEP_2)
	v_add_co_u32 v2, vcc_lo, v6, v2
	v_add_co_ci_u32_e32 v3, vcc_lo, v7, v3, vcc_lo
	global_store_b32 v[2:3], v1, off
.LBB55_50:
	s_or_b32 exec_lo, exec_lo, s0
	v_cmp_gt_i32_e32 vcc_lo, s11, v0
	s_and_b32 exec_lo, exec_lo, vcc_lo
	s_cbranch_execz .LBB55_57
; %bb.51:
	v_cndmask_b32_e64 v2, 0, 1, s1
	v_ashrrev_i32_e32 v1, 31, v0
	s_and_not1_b32 vcc_lo, exec_lo, s4
	s_delay_alu instid0(VALU_DEP_2)
	v_cmp_ne_u32_e64 s0, 1, v2
	s_cbranch_vccnz .LBB55_58
; %bb.52:
	s_delay_alu instid0(VALU_DEP_1)
	s_and_b32 vcc_lo, exec_lo, s0
	s_mov_b32 s0, -1
	s_cbranch_vccnz .LBB55_54
; %bb.53:
	v_lshlrev_b64 v[2:3], 2, v[0:1]
	v_mul_f32_e32 v10, s6, v5
	s_mov_b32 s0, 0
	s_delay_alu instid0(VALU_DEP_2) | instskip(NEXT) | instid1(VALU_DEP_3)
	v_add_co_u32 v2, vcc_lo, v8, v2
	v_add_co_ci_u32_e32 v3, vcc_lo, v9, v3, vcc_lo
	global_load_b32 v4, v[2:3], off
	s_waitcnt vmcnt(0)
	v_fmac_f32_e32 v10, s12, v4
	global_store_b32 v[2:3], v10, off
.LBB55_54:
	s_and_not1_b32 vcc_lo, exec_lo, s0
	s_cbranch_vccnz .LBB55_56
; %bb.55:
	v_mul_lo_u32 v4, v1, s2
	v_mul_lo_u32 v10, v0, s3
	v_mad_u64_u32 v[2:3], null, v0, s2, 0
	s_delay_alu instid0(VALU_DEP_1) | instskip(SKIP_1) | instid1(VALU_DEP_2)
	v_add3_u32 v3, v3, v10, v4
	v_mul_f32_e32 v10, s6, v5
	v_lshlrev_b64 v[2:3], 2, v[2:3]
	s_delay_alu instid0(VALU_DEP_1) | instskip(NEXT) | instid1(VALU_DEP_2)
	v_add_co_u32 v2, vcc_lo, v6, v2
	v_add_co_ci_u32_e32 v3, vcc_lo, v7, v3, vcc_lo
	global_load_b32 v4, v[2:3], off
	s_waitcnt vmcnt(0)
	v_fmac_f32_e32 v10, s12, v4
	global_store_b32 v[2:3], v10, off
.LBB55_56:
	s_cbranch_execz .LBB55_59
.LBB55_57:
	s_nop 0
	s_sendmsg sendmsg(MSG_DEALLOC_VGPRS)
	s_endpgm
.LBB55_58:
.LBB55_59:
	v_mul_f32_e32 v2, s6, v5
	s_and_not1_b32 vcc_lo, exec_lo, s1
	s_mov_b32 s0, -1
	s_cbranch_vccnz .LBB55_61
; %bb.60:
	v_lshlrev_b64 v[3:4], 2, v[0:1]
	s_mov_b32 s0, 0
	s_delay_alu instid0(VALU_DEP_1) | instskip(NEXT) | instid1(VALU_DEP_2)
	v_add_co_u32 v3, vcc_lo, v8, v3
	v_add_co_ci_u32_e32 v4, vcc_lo, v9, v4, vcc_lo
	global_store_b32 v[3:4], v2, off
.LBB55_61:
	s_and_not1_b32 vcc_lo, exec_lo, s0
	s_cbranch_vccnz .LBB55_57
; %bb.62:
	v_mul_lo_u32 v1, v1, s2
	v_mul_lo_u32 v5, v0, s3
	v_mad_u64_u32 v[3:4], null, v0, s2, 0
	s_delay_alu instid0(VALU_DEP_1) | instskip(NEXT) | instid1(VALU_DEP_1)
	v_add3_u32 v4, v4, v5, v1
	v_lshlrev_b64 v[0:1], 2, v[3:4]
	s_delay_alu instid0(VALU_DEP_1) | instskip(NEXT) | instid1(VALU_DEP_2)
	v_add_co_u32 v0, vcc_lo, v6, v0
	v_add_co_ci_u32_e32 v1, vcc_lo, v7, v1, vcc_lo
	global_store_b32 v[0:1], v2, off
	s_nop 0
	s_sendmsg sendmsg(MSG_DEALLOC_VGPRS)
	s_endpgm
	.section	.rodata,"a",@progbits
	.p2align	6, 0x0
	.amdhsa_kernel _ZN9rocsparseL31bsrmm_large_blockdim_kernel_extILj32ELj32ELj2EliDF16_DF16_ffEEvb20rocsparse_direction_T3_S2_llNS_24const_host_device_scalarIT7_EEPKT2_PKS2_PKT4_S2_PKT5_llS5_PT6_ll16rocsparse_order_21rocsparse_index_base_b
		.amdhsa_group_segment_fixed_size 12288
		.amdhsa_private_segment_fixed_size 0
		.amdhsa_kernarg_size 140
		.amdhsa_user_sgpr_count 14
		.amdhsa_user_sgpr_dispatch_ptr 0
		.amdhsa_user_sgpr_queue_ptr 0
		.amdhsa_user_sgpr_kernarg_segment_ptr 1
		.amdhsa_user_sgpr_dispatch_id 0
		.amdhsa_user_sgpr_private_segment_size 0
		.amdhsa_wavefront_size32 1
		.amdhsa_uses_dynamic_stack 0
		.amdhsa_enable_private_segment 0
		.amdhsa_system_sgpr_workgroup_id_x 1
		.amdhsa_system_sgpr_workgroup_id_y 1
		.amdhsa_system_sgpr_workgroup_id_z 0
		.amdhsa_system_sgpr_workgroup_info 0
		.amdhsa_system_vgpr_workitem_id 1
		.amdhsa_next_free_vgpr 38
		.amdhsa_next_free_sgpr 37
		.amdhsa_reserve_vcc 1
		.amdhsa_float_round_mode_32 0
		.amdhsa_float_round_mode_16_64 0
		.amdhsa_float_denorm_mode_32 3
		.amdhsa_float_denorm_mode_16_64 3
		.amdhsa_dx10_clamp 1
		.amdhsa_ieee_mode 1
		.amdhsa_fp16_overflow 0
		.amdhsa_workgroup_processor_mode 1
		.amdhsa_memory_ordered 1
		.amdhsa_forward_progress 0
		.amdhsa_shared_vgpr_count 0
		.amdhsa_exception_fp_ieee_invalid_op 0
		.amdhsa_exception_fp_denorm_src 0
		.amdhsa_exception_fp_ieee_div_zero 0
		.amdhsa_exception_fp_ieee_overflow 0
		.amdhsa_exception_fp_ieee_underflow 0
		.amdhsa_exception_fp_ieee_inexact 0
		.amdhsa_exception_int_div_zero 0
	.end_amdhsa_kernel
	.section	.text._ZN9rocsparseL31bsrmm_large_blockdim_kernel_extILj32ELj32ELj2EliDF16_DF16_ffEEvb20rocsparse_direction_T3_S2_llNS_24const_host_device_scalarIT7_EEPKT2_PKS2_PKT4_S2_PKT5_llS5_PT6_ll16rocsparse_order_21rocsparse_index_base_b,"axG",@progbits,_ZN9rocsparseL31bsrmm_large_blockdim_kernel_extILj32ELj32ELj2EliDF16_DF16_ffEEvb20rocsparse_direction_T3_S2_llNS_24const_host_device_scalarIT7_EEPKT2_PKS2_PKT4_S2_PKT5_llS5_PT6_ll16rocsparse_order_21rocsparse_index_base_b,comdat
.Lfunc_end55:
	.size	_ZN9rocsparseL31bsrmm_large_blockdim_kernel_extILj32ELj32ELj2EliDF16_DF16_ffEEvb20rocsparse_direction_T3_S2_llNS_24const_host_device_scalarIT7_EEPKT2_PKS2_PKT4_S2_PKT5_llS5_PT6_ll16rocsparse_order_21rocsparse_index_base_b, .Lfunc_end55-_ZN9rocsparseL31bsrmm_large_blockdim_kernel_extILj32ELj32ELj2EliDF16_DF16_ffEEvb20rocsparse_direction_T3_S2_llNS_24const_host_device_scalarIT7_EEPKT2_PKS2_PKT4_S2_PKT5_llS5_PT6_ll16rocsparse_order_21rocsparse_index_base_b
                                        ; -- End function
	.section	.AMDGPU.csdata,"",@progbits
; Kernel info:
; codeLenInByte = 2520
; NumSgprs: 39
; NumVgprs: 38
; ScratchSize: 0
; MemoryBound: 0
; FloatMode: 240
; IeeeMode: 1
; LDSByteSize: 12288 bytes/workgroup (compile time only)
; SGPRBlocks: 4
; VGPRBlocks: 4
; NumSGPRsForWavesPerEU: 39
; NumVGPRsForWavesPerEU: 38
; Occupancy: 16
; WaveLimiterHint : 1
; COMPUTE_PGM_RSRC2:SCRATCH_EN: 0
; COMPUTE_PGM_RSRC2:USER_SGPR: 14
; COMPUTE_PGM_RSRC2:TRAP_HANDLER: 0
; COMPUTE_PGM_RSRC2:TGID_X_EN: 1
; COMPUTE_PGM_RSRC2:TGID_Y_EN: 1
; COMPUTE_PGM_RSRC2:TGID_Z_EN: 0
; COMPUTE_PGM_RSRC2:TIDIG_COMP_CNT: 1
	.section	.text._ZN9rocsparseL31bsrmm_large_blockdim_kernel_extILj8ELj8ELj2EllDF16_DF16_ffEEvb20rocsparse_direction_T3_S2_llNS_24const_host_device_scalarIT7_EEPKT2_PKS2_PKT4_S2_PKT5_llS5_PT6_ll16rocsparse_order_21rocsparse_index_base_b,"axG",@progbits,_ZN9rocsparseL31bsrmm_large_blockdim_kernel_extILj8ELj8ELj2EllDF16_DF16_ffEEvb20rocsparse_direction_T3_S2_llNS_24const_host_device_scalarIT7_EEPKT2_PKS2_PKT4_S2_PKT5_llS5_PT6_ll16rocsparse_order_21rocsparse_index_base_b,comdat
	.globl	_ZN9rocsparseL31bsrmm_large_blockdim_kernel_extILj8ELj8ELj2EllDF16_DF16_ffEEvb20rocsparse_direction_T3_S2_llNS_24const_host_device_scalarIT7_EEPKT2_PKS2_PKT4_S2_PKT5_llS5_PT6_ll16rocsparse_order_21rocsparse_index_base_b ; -- Begin function _ZN9rocsparseL31bsrmm_large_blockdim_kernel_extILj8ELj8ELj2EllDF16_DF16_ffEEvb20rocsparse_direction_T3_S2_llNS_24const_host_device_scalarIT7_EEPKT2_PKS2_PKT4_S2_PKT5_llS5_PT6_ll16rocsparse_order_21rocsparse_index_base_b
	.p2align	8
	.type	_ZN9rocsparseL31bsrmm_large_blockdim_kernel_extILj8ELj8ELj2EllDF16_DF16_ffEEvb20rocsparse_direction_T3_S2_llNS_24const_host_device_scalarIT7_EEPKT2_PKS2_PKT4_S2_PKT5_llS5_PT6_ll16rocsparse_order_21rocsparse_index_base_b,@function
_ZN9rocsparseL31bsrmm_large_blockdim_kernel_extILj8ELj8ELj2EllDF16_DF16_ffEEvb20rocsparse_direction_T3_S2_llNS_24const_host_device_scalarIT7_EEPKT2_PKS2_PKT4_S2_PKT5_llS5_PT6_ll16rocsparse_order_21rocsparse_index_base_b: ; @_ZN9rocsparseL31bsrmm_large_blockdim_kernel_extILj8ELj8ELj2EllDF16_DF16_ffEEvb20rocsparse_direction_T3_S2_llNS_24const_host_device_scalarIT7_EEPKT2_PKS2_PKT4_S2_PKT5_llS5_PT6_ll16rocsparse_order_21rocsparse_index_base_b
; %bb.0:
	s_clause 0x2
	s_load_b128 s[8:11], s[0:1], 0x88
	s_load_b64 s[12:13], s[0:1], 0x28
	s_load_b64 s[24:25], s[0:1], 0x68
	s_mov_b32 s2, s15
	s_waitcnt lgkmcnt(0)
	s_bitcmp1_b32 s10, 0
	s_cselect_b32 s3, -1, 0
	s_delay_alu instid0(SALU_CYCLE_1)
	s_and_b32 vcc_lo, exec_lo, s3
	s_xor_b32 s3, s3, -1
	s_cbranch_vccnz .LBB56_2
; %bb.1:
	s_load_b32 s12, s[12:13], 0x0
.LBB56_2:
	s_and_not1_b32 vcc_lo, exec_lo, s3
	s_cbranch_vccnz .LBB56_4
; %bb.3:
	s_load_b32 s24, s[24:25], 0x0
.LBB56_4:
	s_waitcnt lgkmcnt(0)
	v_cmp_eq_f32_e64 s3, s12, 0
	v_cmp_eq_f32_e64 s4, s24, 1.0
	s_delay_alu instid0(VALU_DEP_1) | instskip(NEXT) | instid1(SALU_CYCLE_1)
	s_and_b32 s3, s3, s4
	s_and_b32 vcc_lo, exec_lo, s3
	s_cbranch_vccnz .LBB56_57
; %bb.5:
	s_clause 0x1
	s_load_b128 s[4:7], s[0:1], 0x8
	s_load_b64 s[10:11], s[0:1], 0x30
	s_ashr_i32 s15, s14, 31
	s_mov_b64 s[26:27], 0
	s_mov_b64 s[28:29], 0
	s_waitcnt lgkmcnt(0)
	v_cmp_ge_i64_e64 s3, s[14:15], s[4:5]
	v_cmp_lt_i64_e64 s13, s[14:15], s[4:5]
	s_delay_alu instid0(VALU_DEP_2)
	s_and_b32 vcc_lo, exec_lo, s3
	s_cbranch_vccnz .LBB56_7
; %bb.6:
	s_lshl_b64 s[4:5], s[14:15], 3
	s_delay_alu instid0(SALU_CYCLE_1)
	s_add_u32 s4, s10, s4
	s_addc_u32 s5, s11, s5
	s_load_b64 s[4:5], s[4:5], 0x0
	s_waitcnt lgkmcnt(0)
	s_sub_u32 s28, s4, s9
	s_subb_u32 s29, s5, 0
.LBB56_7:
	s_delay_alu instid0(VALU_DEP_1)
	s_and_not1_b32 vcc_lo, exec_lo, s13
	s_cbranch_vccnz .LBB56_9
; %bb.8:
	s_lshl_b64 s[4:5], s[14:15], 3
	s_delay_alu instid0(SALU_CYCLE_1)
	s_add_u32 s4, s10, s4
	s_addc_u32 s5, s11, s5
	s_load_b64 s[4:5], s[4:5], 0x8
	s_waitcnt lgkmcnt(0)
	s_sub_u32 s26, s4, s9
	s_subb_u32 s27, s5, 0
.LBB56_9:
	s_clause 0x1
	s_load_b64 s[30:31], s[0:1], 0x48
	s_load_b64 s[10:11], s[0:1], 0x70
	v_bfe_u32 v8, v0, 10, 10
	v_dual_mov_b32 v3, 0 :: v_dual_and_b32 v6, 0x3ff, v0
	s_mov_b32 s36, 0
	s_delay_alu instid0(VALU_DEP_2) | instskip(SKIP_1) | instid1(VALU_DEP_3)
	v_lshl_add_u32 v2, s2, 4, v8
	v_cmp_ge_i64_e64 s2, s[28:29], s[26:27]
	v_mov_b32_e32 v1, v3
	s_mov_b32 s37, s36
	v_dual_mov_b32 v7, v3 :: v_dual_mov_b32 v4, s36
	v_add_nc_u32_e32 v0, 8, v2
	s_delay_alu instid0(VALU_DEP_4) | instskip(SKIP_2) | instid1(VALU_DEP_3)
	s_and_b32 vcc_lo, exec_lo, s2
	v_cmp_gt_i64_e64 s3, s[6:7], v[2:3]
	v_mov_b32_e32 v5, s37
	v_cmp_gt_i64_e64 s4, s[6:7], v[0:1]
	s_waitcnt lgkmcnt(0)
	v_cmp_gt_i64_e64 s2, s[30:31], v[6:7]
	s_cbranch_vccnz .LBB56_37
; %bb.10:
	v_mad_u64_u32 v[4:5], null, v8, s30, 0
	s_clause 0x2
	s_load_b64 s[34:35], s[0:1], 0x0
	s_load_b128 s[16:19], s[0:1], 0x38
	s_load_b128 s[20:23], s[0:1], 0x50
	v_mad_u64_u32 v[10:11], null, v6, s30, 0
	v_dual_mov_b32 v9, v3 :: v_dual_lshlrev_b32 v14, 1, v6
	v_lshl_add_u32 v20, v6, 3, v8
	v_mad_u64_u32 v[12:13], null, v8, s31, v[5:6]
	s_delay_alu instid0(VALU_DEP_3)
	v_cmp_gt_i64_e32 vcc_lo, s[30:31], v[8:9]
	v_mov_b32_e32 v9, v11
	s_mul_i32 s5, s30, s31
	s_mul_hi_u32 s25, s30, s30
	v_lshl_add_u32 v23, v6, 5, 0x200
	s_add_i32 s25, s25, s5
	s_delay_alu instid0(VALU_DEP_4) | instskip(SKIP_2) | instid1(VALU_DEP_2)
	v_dual_mov_b32 v5, v12 :: v_dual_lshlrev_b32 v22, 1, v8
	v_mad_u64_u32 v[11:12], null, v6, s31, v[9:10]
	s_and_b32 s33, s2, vcc_lo
	v_lshlrev_b64 v[4:5], 1, v[4:5]
	s_waitcnt lgkmcnt(0)
	v_mad_u64_u32 v[12:13], null, v0, s22, 0
	s_add_i32 s25, s25, s5
	s_bitcmp1_b32 s34, 0
	v_add_co_u32 v16, s34, s20, v14
	v_add_co_u32 v15, vcc_lo, s18, v4
	v_add_co_ci_u32_e32 v18, vcc_lo, s19, v5, vcc_lo
	v_lshlrev_b64 v[4:5], 1, v[10:11]
	s_delay_alu instid0(VALU_DEP_3) | instskip(SKIP_1) | instid1(VALU_DEP_4)
	v_add_co_u32 v11, vcc_lo, v15, v14
	v_mad_u64_u32 v[9:10], null, v2, s22, 0
	v_add_co_ci_u32_e32 v21, vcc_lo, 0, v18, vcc_lo
	v_lshl_add_u32 v18, v20, 2, 0x200
	v_add_co_u32 v20, vcc_lo, s18, v4
	v_add_co_ci_u32_e32 v5, vcc_lo, s19, v5, vcc_lo
	v_mov_b32_e32 v4, v13
	v_mad_u64_u32 v[13:14], null, v2, s23, v[10:11]
	v_cmp_gt_i64_e64 s18, s[30:31], 0
	s_cselect_b32 s5, -1, 0
	s_delay_alu instid0(VALU_DEP_3)
	v_mad_u64_u32 v[14:15], null, v0, s23, v[4:5]
	v_add_co_u32 v4, vcc_lo, v20, v22
	s_cmp_eq_u32 s35, 0
	v_add_co_ci_u32_e32 v5, vcc_lo, 0, v5, vcc_lo
	v_dual_mov_b32 v10, v13 :: v_dual_lshlrev_b32 v19, 3, v8
	s_cselect_b32 vcc_lo, -1, 0
	s_delay_alu instid0(VALU_DEP_2)
	v_dual_mov_b32 v13, v14 :: v_dual_cndmask_b32 v20, v21, v5
	s_and_b32 s38, s3, s18
	s_and_b32 s39, s4, s18
	v_lshlrev_b32_e32 v22, 5, v8
	s_add_u32 s40, s30, -1
	s_addc_u32 s41, s31, -1
	v_cndmask_b32_e32 v21, v11, v4, vcc_lo
	s_and_b32 s18, s30, 7
	s_mov_b32 s19, s36
	v_mov_b32_e32 v4, s36
	v_lshlrev_b64 v[8:9], 1, v[9:10]
	v_lshlrev_b64 v[10:11], 1, v[2:3]
	;; [unrolled: 1-line block ×4, first 2 shown]
	v_cmp_gt_u64_e64 s40, s[40:41], 6
	v_add_co_ci_u32_e64 v17, null, s21, 0, s34
	v_add_lshl_u32 v19, v19, v6, 2
	s_and_b32 s35, s31, 0x7fffffff
	s_and_b32 s34, s30, -8
	v_dual_mov_b32 v5, s37 :: v_dual_add_nc_u32 v24, 0x100, v22
	s_cmp_lg_u64 s[18:19], 0
	s_mul_i32 s15, s30, s30
	s_cselect_b32 s41, -1, 0
	s_branch .LBB56_13
.LBB56_11:                              ;   in Loop: Header=BB56_13 Depth=1
	s_or_b32 exec_lo, exec_lo, s43
.LBB56_12:                              ;   in Loop: Header=BB56_13 Depth=1
	s_delay_alu instid0(SALU_CYCLE_1) | instskip(SKIP_2) | instid1(SALU_CYCLE_1)
	s_or_b32 exec_lo, exec_lo, s42
	s_add_u32 s28, s28, 1
	s_addc_u32 s29, s29, 0
	v_cmp_ge_i64_e64 s36, s[28:29], s[26:27]
	s_barrier
	buffer_gl0_inv
	s_and_b32 vcc_lo, exec_lo, s36
	s_cbranch_vccnz .LBB56_37
.LBB56_13:                              ; =>This Loop Header: Depth=1
                                        ;     Child Loop BB56_24 Depth 2
                                        ;     Child Loop BB56_28 Depth 2
	;; [unrolled: 1-line block ×4, first 2 shown]
	s_and_saveexec_b32 s36, s2
	s_cbranch_execz .LBB56_18
; %bb.14:                               ;   in Loop: Header=BB56_13 Depth=1
	s_lshl_b64 s[42:43], s[28:29], 3
	s_delay_alu instid0(SALU_CYCLE_1)
	s_add_u32 s42, s16, s42
	s_addc_u32 s43, s17, s43
	s_load_b64 s[42:43], s[42:43], 0x0
	s_waitcnt lgkmcnt(0)
	s_sub_u32 s37, s42, s9
	s_subb_u32 s42, s43, 0
	s_mul_i32 s43, s37, s31
	s_mul_hi_u32 s44, s37, s30
	s_mul_i32 s45, s42, s30
	s_add_i32 s43, s44, s43
	s_mul_i32 s42, s37, s30
	s_add_i32 s43, s43, s45
	v_add_co_u32 v27, s37, s42, v6
	s_delay_alu instid0(VALU_DEP_1) | instskip(SKIP_1) | instid1(VALU_DEP_2)
	v_add_co_ci_u32_e64 v28, null, s43, 0, s37
	s_lshl_b64 s[42:43], s[42:43], 1
	v_mul_lo_u32 v29, v27, s23
	v_mad_u64_u32 v[25:26], null, v27, s22, 0
	s_delay_alu instid0(VALU_DEP_3) | instskip(NEXT) | instid1(VALU_DEP_1)
	v_mul_lo_u32 v27, v28, s22
	v_add3_u32 v26, v26, v29, v27
	s_delay_alu instid0(VALU_DEP_1) | instskip(NEXT) | instid1(VALU_DEP_1)
	v_lshlrev_b64 v[25:26], 1, v[25:26]
	v_add_co_u32 v25, vcc_lo, s20, v25
	s_delay_alu instid0(VALU_DEP_2)
	v_add_co_ci_u32_e32 v26, vcc_lo, s21, v26, vcc_lo
	v_add_co_u32 v27, vcc_lo, v16, s42
	v_add_co_ci_u32_e32 v28, vcc_lo, s43, v17, vcc_lo
	s_and_saveexec_b32 s37, s3
	s_cbranch_execz .LBB56_16
; %bb.15:                               ;   in Loop: Header=BB56_13 Depth=1
	s_delay_alu instid0(VALU_DEP_2) | instskip(NEXT) | instid1(VALU_DEP_2)
	v_add_co_u32 v29, vcc_lo, v27, v8
	v_add_co_ci_u32_e32 v30, vcc_lo, v28, v9, vcc_lo
	v_add_co_u32 v31, vcc_lo, v25, v10
	v_add_co_ci_u32_e32 v32, vcc_lo, v26, v11, vcc_lo
	s_delay_alu instid0(VALU_DEP_2) | instskip(NEXT) | instid1(VALU_DEP_2)
	v_cndmask_b32_e64 v29, v31, v29, s5
	v_cndmask_b32_e64 v30, v32, v30, s5
	global_load_u16 v29, v[29:30], off
	s_waitcnt vmcnt(0)
	v_cvt_f32_f16_e32 v29, v29
	ds_store_b32 v19, v29
.LBB56_16:                              ;   in Loop: Header=BB56_13 Depth=1
	s_or_b32 exec_lo, exec_lo, s37
	s_delay_alu instid0(SALU_CYCLE_1)
	s_and_b32 exec_lo, exec_lo, s4
	s_cbranch_execz .LBB56_18
; %bb.17:                               ;   in Loop: Header=BB56_13 Depth=1
	v_add_co_u32 v27, vcc_lo, v27, v12
	v_add_co_ci_u32_e32 v28, vcc_lo, v28, v13, vcc_lo
	v_add_co_u32 v25, vcc_lo, v25, v14
	v_add_co_ci_u32_e32 v26, vcc_lo, v26, v15, vcc_lo
	s_delay_alu instid0(VALU_DEP_2) | instskip(NEXT) | instid1(VALU_DEP_2)
	v_cndmask_b32_e64 v25, v25, v27, s5
	v_cndmask_b32_e64 v26, v26, v28, s5
	global_load_u16 v25, v[25:26], off
	s_waitcnt vmcnt(0)
	v_cvt_f32_f16_e32 v25, v25
	ds_store_b32 v19, v25 offset:256
.LBB56_18:                              ;   in Loop: Header=BB56_13 Depth=1
	s_or_b32 exec_lo, exec_lo, s36
	s_and_saveexec_b32 s36, s33
	s_cbranch_execz .LBB56_20
; %bb.19:                               ;   in Loop: Header=BB56_13 Depth=1
	s_mul_i32 s37, s15, s29
	s_mul_hi_u32 s42, s15, s28
	s_mul_i32 s43, s25, s28
	s_add_i32 s37, s42, s37
	s_mul_i32 s42, s15, s28
	s_add_i32 s43, s37, s43
	s_delay_alu instid0(SALU_CYCLE_1) | instskip(NEXT) | instid1(SALU_CYCLE_1)
	s_lshl_b64 s[42:43], s[42:43], 1
	v_add_co_u32 v25, vcc_lo, v21, s42
	v_add_co_ci_u32_e32 v26, vcc_lo, s43, v20, vcc_lo
	global_load_u16 v25, v[25:26], off
	s_waitcnt vmcnt(0)
	v_cvt_f32_f16_e32 v25, v25
	ds_store_b32 v18, v25
.LBB56_20:                              ;   in Loop: Header=BB56_13 Depth=1
	s_or_b32 exec_lo, exec_lo, s36
	s_waitcnt lgkmcnt(0)
	s_barrier
	buffer_gl0_inv
	s_and_saveexec_b32 s42, s2
	s_cbranch_execz .LBB56_12
; %bb.21:                               ;   in Loop: Header=BB56_13 Depth=1
	s_and_saveexec_b32 s43, s38
	s_cbranch_execz .LBB56_29
; %bb.22:                               ;   in Loop: Header=BB56_13 Depth=1
	s_and_not1_b32 vcc_lo, exec_lo, s40
	s_cbranch_vccnz .LBB56_26
; %bb.23:                               ;   in Loop: Header=BB56_13 Depth=1
	v_dual_mov_b32 v25, v23 :: v_dual_mov_b32 v26, v22
	s_mov_b64 s[36:37], 0
	.p2align	6
.LBB56_24:                              ;   Parent Loop BB56_13 Depth=1
                                        ; =>  This Inner Loop Header: Depth=2
	ds_load_b128 v[27:30], v26
	ds_load_b128 v[31:34], v25
	ds_load_b128 v[35:38], v25 offset:16
	ds_load_b128 v[39:42], v26 offset:16
	s_add_u32 s36, s36, 8
	v_add_nc_u32_e32 v26, 32, v26
	s_addc_u32 s37, s37, 0
	v_add_nc_u32_e32 v25, 32, v25
	s_cmp_lg_u64 s[34:35], s[36:37]
	s_waitcnt lgkmcnt(2)
	v_fma_f32 v4, v31, v27, v4
	s_delay_alu instid0(VALU_DEP_1) | instskip(NEXT) | instid1(VALU_DEP_1)
	v_fmac_f32_e32 v4, v32, v28
	v_fmac_f32_e32 v4, v33, v29
	s_delay_alu instid0(VALU_DEP_1) | instskip(SKIP_1) | instid1(VALU_DEP_1)
	v_fmac_f32_e32 v4, v34, v30
	s_waitcnt lgkmcnt(0)
	v_fmac_f32_e32 v4, v35, v39
	s_delay_alu instid0(VALU_DEP_1) | instskip(NEXT) | instid1(VALU_DEP_1)
	v_fmac_f32_e32 v4, v36, v40
	v_fmac_f32_e32 v4, v37, v41
	s_delay_alu instid0(VALU_DEP_1)
	v_fmac_f32_e32 v4, v38, v42
	s_cbranch_scc1 .LBB56_24
; %bb.25:                               ;   in Loop: Header=BB56_13 Depth=1
	s_mov_b64 s[36:37], s[34:35]
	s_and_not1_b32 vcc_lo, exec_lo, s41
	s_cbranch_vccz .LBB56_27
	s_branch .LBB56_29
.LBB56_26:                              ;   in Loop: Header=BB56_13 Depth=1
	s_mov_b64 s[36:37], 0
	s_and_not1_b32 vcc_lo, exec_lo, s41
	s_cbranch_vccnz .LBB56_29
.LBB56_27:                              ;   in Loop: Header=BB56_13 Depth=1
	s_lshl_b32 s36, s36, 2
	s_delay_alu instid0(SALU_CYCLE_1)
	v_add_nc_u32_e32 v25, s36, v22
	v_add_nc_u32_e32 v26, s36, v23
	s_mov_b64 s[36:37], s[18:19]
.LBB56_28:                              ;   Parent Loop BB56_13 Depth=1
                                        ; =>  This Inner Loop Header: Depth=2
	ds_load_b32 v27, v26
	ds_load_b32 v28, v25
	v_add_nc_u32_e32 v25, 4, v25
	v_add_nc_u32_e32 v26, 4, v26
	s_add_u32 s36, s36, -1
	s_addc_u32 s37, s37, -1
	s_delay_alu instid0(SALU_CYCLE_1)
	s_cmp_lg_u64 s[36:37], 0
	s_waitcnt lgkmcnt(0)
	v_fma_f32 v4, v27, v28, v4
	s_cbranch_scc1 .LBB56_28
.LBB56_29:                              ;   in Loop: Header=BB56_13 Depth=1
	s_or_b32 exec_lo, exec_lo, s43
	s_and_saveexec_b32 s43, s39
	s_cbranch_execz .LBB56_11
; %bb.30:                               ;   in Loop: Header=BB56_13 Depth=1
	s_and_not1_b32 vcc_lo, exec_lo, s40
	s_cbranch_vccnz .LBB56_34
; %bb.31:                               ;   in Loop: Header=BB56_13 Depth=1
	v_dual_mov_b32 v25, v23 :: v_dual_mov_b32 v26, v24
	s_mov_b64 s[36:37], 0
	.p2align	6
.LBB56_32:                              ;   Parent Loop BB56_13 Depth=1
                                        ; =>  This Inner Loop Header: Depth=2
	ds_load_b128 v[27:30], v26
	ds_load_b128 v[31:34], v25
	ds_load_b128 v[35:38], v25 offset:16
	ds_load_b128 v[39:42], v26 offset:16
	s_add_u32 s36, s36, 8
	v_add_nc_u32_e32 v25, 32, v25
	s_addc_u32 s37, s37, 0
	v_add_nc_u32_e32 v26, 32, v26
	s_cmp_lg_u64 s[34:35], s[36:37]
	s_waitcnt lgkmcnt(2)
	v_fma_f32 v5, v31, v27, v5
	s_delay_alu instid0(VALU_DEP_1) | instskip(NEXT) | instid1(VALU_DEP_1)
	v_fmac_f32_e32 v5, v32, v28
	v_fmac_f32_e32 v5, v33, v29
	s_delay_alu instid0(VALU_DEP_1) | instskip(SKIP_1) | instid1(VALU_DEP_1)
	v_fmac_f32_e32 v5, v34, v30
	s_waitcnt lgkmcnt(0)
	v_fmac_f32_e32 v5, v35, v39
	s_delay_alu instid0(VALU_DEP_1) | instskip(NEXT) | instid1(VALU_DEP_1)
	v_fmac_f32_e32 v5, v36, v40
	v_fmac_f32_e32 v5, v37, v41
	s_delay_alu instid0(VALU_DEP_1)
	v_fmac_f32_e32 v5, v38, v42
	s_cbranch_scc1 .LBB56_32
; %bb.33:                               ;   in Loop: Header=BB56_13 Depth=1
	s_mov_b64 s[36:37], s[34:35]
	s_and_not1_b32 vcc_lo, exec_lo, s41
	s_cbranch_vccz .LBB56_35
	s_branch .LBB56_11
.LBB56_34:                              ;   in Loop: Header=BB56_13 Depth=1
	s_mov_b64 s[36:37], 0
	s_and_not1_b32 vcc_lo, exec_lo, s41
	s_cbranch_vccnz .LBB56_11
.LBB56_35:                              ;   in Loop: Header=BB56_13 Depth=1
	s_lshl_b32 s36, s36, 2
	s_delay_alu instid0(SALU_CYCLE_1)
	v_add_nc_u32_e32 v25, s36, v24
	v_add_nc_u32_e32 v26, s36, v23
	s_mov_b64 s[36:37], s[18:19]
.LBB56_36:                              ;   Parent Loop BB56_13 Depth=1
                                        ; =>  This Inner Loop Header: Depth=2
	ds_load_b32 v27, v26
	ds_load_b32 v28, v25
	v_add_nc_u32_e32 v25, 4, v25
	v_add_nc_u32_e32 v26, 4, v26
	s_add_u32 s36, s36, -1
	s_addc_u32 s37, s37, -1
	s_delay_alu instid0(SALU_CYCLE_1)
	s_cmp_lg_u64 s[36:37], 0
	s_waitcnt lgkmcnt(0)
	v_fma_f32 v5, v27, v28, v5
	s_cbranch_scc1 .LBB56_36
	s_branch .LBB56_11
.LBB56_37:
	s_delay_alu instid0(VALU_DEP_1) | instskip(NEXT) | instid1(SALU_CYCLE_1)
	s_and_b32 s2, s13, s2
	s_and_saveexec_b32 s3, s2
	s_cbranch_execz .LBB56_57
; %bb.38:
	v_mad_u64_u32 v[8:9], null, s14, s30, v[6:7]
	s_load_b64 s[2:3], s[0:1], 0x78
	v_cmp_neq_f32_e64 s4, s24, 0
	s_cmp_lg_u32 s8, 1
	s_cselect_b32 s1, -1, 0
	s_delay_alu instid0(VALU_DEP_2) | instskip(NEXT) | instid1(VALU_DEP_1)
	v_mov_b32_e32 v6, v9
	v_mad_u64_u32 v[9:10], null, s14, s31, v[6:7]
	s_waitcnt lgkmcnt(0)
	v_mul_lo_u32 v10, v8, s3
	v_mad_u64_u32 v[6:7], null, v8, s2, 0
	s_delay_alu instid0(VALU_DEP_3) | instskip(NEXT) | instid1(VALU_DEP_1)
	v_mul_lo_u32 v11, v9, s2
	v_add3_u32 v7, v7, v10, v11
	v_lshlrev_b64 v[10:11], 2, v[8:9]
	s_delay_alu instid0(VALU_DEP_2) | instskip(NEXT) | instid1(VALU_DEP_1)
	v_lshlrev_b64 v[6:7], 2, v[6:7]
	v_add_co_u32 v8, s0, s10, v6
	s_delay_alu instid0(VALU_DEP_1) | instskip(NEXT) | instid1(VALU_DEP_4)
	v_add_co_ci_u32_e64 v9, s0, s11, v7, s0
	v_add_co_u32 v6, s0, s10, v10
	s_delay_alu instid0(VALU_DEP_1)
	v_add_co_ci_u32_e64 v7, s0, s11, v11, s0
	s_mov_b32 s0, exec_lo
	v_cmpx_gt_i64_e64 s[6:7], v[2:3]
	s_cbranch_execz .LBB56_50
; %bb.39:
	s_and_b32 vcc_lo, exec_lo, s4
	s_cbranch_vccz .LBB56_45
; %bb.40:
	s_and_b32 vcc_lo, exec_lo, s1
	s_mov_b32 s5, -1
	s_cbranch_vccz .LBB56_42
; %bb.41:
	v_lshlrev_b64 v[10:11], 2, v[2:3]
	v_mul_f32_e32 v13, s12, v4
	s_mov_b32 s5, 0
	s_delay_alu instid0(VALU_DEP_2) | instskip(NEXT) | instid1(VALU_DEP_3)
	v_add_co_u32 v10, vcc_lo, v8, v10
	v_add_co_ci_u32_e32 v11, vcc_lo, v9, v11, vcc_lo
	global_load_b32 v12, v[10:11], off
	s_waitcnt vmcnt(0)
	v_fmac_f32_e32 v13, s24, v12
	global_store_b32 v[10:11], v13, off
.LBB56_42:
	s_and_not1_b32 vcc_lo, exec_lo, s5
	s_cbranch_vccnz .LBB56_44
; %bb.43:
	v_mad_u64_u32 v[10:11], null, v2, s2, 0
	s_delay_alu instid0(VALU_DEP_1) | instskip(SKIP_1) | instid1(VALU_DEP_2)
	v_mad_u64_u32 v[12:13], null, v2, s3, v[11:12]
	v_mul_f32_e32 v13, s12, v4
	v_mov_b32_e32 v11, v12
	s_delay_alu instid0(VALU_DEP_1) | instskip(NEXT) | instid1(VALU_DEP_1)
	v_lshlrev_b64 v[10:11], 2, v[10:11]
	v_add_co_u32 v10, vcc_lo, v6, v10
	s_delay_alu instid0(VALU_DEP_2)
	v_add_co_ci_u32_e32 v11, vcc_lo, v7, v11, vcc_lo
	global_load_b32 v12, v[10:11], off
	s_waitcnt vmcnt(0)
	v_fmac_f32_e32 v13, s24, v12
	global_store_b32 v[10:11], v13, off
.LBB56_44:
	s_cbranch_execz .LBB56_46
	s_branch .LBB56_50
.LBB56_45:
.LBB56_46:
	v_mul_f32_e32 v4, s12, v4
	s_and_b32 vcc_lo, exec_lo, s1
	s_mov_b32 s5, -1
	s_cbranch_vccz .LBB56_48
; %bb.47:
	v_lshlrev_b64 v[10:11], 2, v[2:3]
	s_mov_b32 s5, 0
	s_delay_alu instid0(VALU_DEP_1) | instskip(NEXT) | instid1(VALU_DEP_2)
	v_add_co_u32 v10, vcc_lo, v8, v10
	v_add_co_ci_u32_e32 v11, vcc_lo, v9, v11, vcc_lo
	global_store_b32 v[10:11], v4, off
.LBB56_48:
	s_and_not1_b32 vcc_lo, exec_lo, s5
	s_cbranch_vccnz .LBB56_50
; %bb.49:
	v_mad_u64_u32 v[10:11], null, v2, s2, 0
	s_delay_alu instid0(VALU_DEP_1) | instskip(NEXT) | instid1(VALU_DEP_1)
	v_mov_b32_e32 v3, v11
	v_mad_u64_u32 v[11:12], null, v2, s3, v[3:4]
	s_delay_alu instid0(VALU_DEP_1) | instskip(NEXT) | instid1(VALU_DEP_1)
	v_lshlrev_b64 v[2:3], 2, v[10:11]
	v_add_co_u32 v2, vcc_lo, v6, v2
	s_delay_alu instid0(VALU_DEP_2)
	v_add_co_ci_u32_e32 v3, vcc_lo, v7, v3, vcc_lo
	global_store_b32 v[2:3], v4, off
.LBB56_50:
	s_or_b32 exec_lo, exec_lo, s0
	v_cmp_gt_i64_e32 vcc_lo, s[6:7], v[0:1]
	s_and_b32 exec_lo, exec_lo, vcc_lo
	s_cbranch_execz .LBB56_57
; %bb.51:
	v_cndmask_b32_e64 v2, 0, 1, s1
	s_and_not1_b32 vcc_lo, exec_lo, s4
	s_delay_alu instid0(VALU_DEP_1)
	v_cmp_ne_u32_e64 s0, 1, v2
	s_cbranch_vccnz .LBB56_58
; %bb.52:
	s_delay_alu instid0(VALU_DEP_1)
	s_and_b32 vcc_lo, exec_lo, s0
	s_mov_b32 s0, -1
	s_cbranch_vccnz .LBB56_54
; %bb.53:
	v_lshlrev_b64 v[2:3], 2, v[0:1]
	v_mul_f32_e32 v10, s12, v5
	s_mov_b32 s0, 0
	s_delay_alu instid0(VALU_DEP_2) | instskip(NEXT) | instid1(VALU_DEP_3)
	v_add_co_u32 v2, vcc_lo, v8, v2
	v_add_co_ci_u32_e32 v3, vcc_lo, v9, v3, vcc_lo
	global_load_b32 v4, v[2:3], off
	s_waitcnt vmcnt(0)
	v_fmac_f32_e32 v10, s24, v4
	global_store_b32 v[2:3], v10, off
.LBB56_54:
	s_and_not1_b32 vcc_lo, exec_lo, s0
	s_cbranch_vccnz .LBB56_56
; %bb.55:
	v_mad_u64_u32 v[2:3], null, v0, s2, 0
	s_delay_alu instid0(VALU_DEP_1) | instskip(NEXT) | instid1(VALU_DEP_1)
	v_mad_u64_u32 v[10:11], null, v0, s3, v[3:4]
	v_dual_mov_b32 v3, v10 :: v_dual_mul_f32 v10, s12, v5
	s_delay_alu instid0(VALU_DEP_1) | instskip(NEXT) | instid1(VALU_DEP_1)
	v_lshlrev_b64 v[2:3], 2, v[2:3]
	v_add_co_u32 v2, vcc_lo, v6, v2
	s_delay_alu instid0(VALU_DEP_2)
	v_add_co_ci_u32_e32 v3, vcc_lo, v7, v3, vcc_lo
	global_load_b32 v4, v[2:3], off
	s_waitcnt vmcnt(0)
	v_fmac_f32_e32 v10, s24, v4
	global_store_b32 v[2:3], v10, off
.LBB56_56:
	s_cbranch_execz .LBB56_59
.LBB56_57:
	s_nop 0
	s_sendmsg sendmsg(MSG_DEALLOC_VGPRS)
	s_endpgm
.LBB56_58:
.LBB56_59:
	v_mul_f32_e32 v2, s12, v5
	s_and_not1_b32 vcc_lo, exec_lo, s1
	s_mov_b32 s0, -1
	s_cbranch_vccnz .LBB56_61
; %bb.60:
	v_lshlrev_b64 v[3:4], 2, v[0:1]
	s_mov_b32 s0, 0
	s_delay_alu instid0(VALU_DEP_1) | instskip(NEXT) | instid1(VALU_DEP_2)
	v_add_co_u32 v3, vcc_lo, v8, v3
	v_add_co_ci_u32_e32 v4, vcc_lo, v9, v4, vcc_lo
	global_store_b32 v[3:4], v2, off
.LBB56_61:
	s_and_not1_b32 vcc_lo, exec_lo, s0
	s_cbranch_vccnz .LBB56_57
; %bb.62:
	v_mad_u64_u32 v[3:4], null, v0, s2, 0
	s_delay_alu instid0(VALU_DEP_1) | instskip(NEXT) | instid1(VALU_DEP_1)
	v_mov_b32_e32 v1, v4
	v_mad_u64_u32 v[4:5], null, v0, s3, v[1:2]
	s_delay_alu instid0(VALU_DEP_1) | instskip(NEXT) | instid1(VALU_DEP_1)
	v_lshlrev_b64 v[0:1], 2, v[3:4]
	v_add_co_u32 v0, vcc_lo, v6, v0
	s_delay_alu instid0(VALU_DEP_2)
	v_add_co_ci_u32_e32 v1, vcc_lo, v7, v1, vcc_lo
	global_store_b32 v[0:1], v2, off
	s_nop 0
	s_sendmsg sendmsg(MSG_DEALLOC_VGPRS)
	s_endpgm
	.section	.rodata,"a",@progbits
	.p2align	6, 0x0
	.amdhsa_kernel _ZN9rocsparseL31bsrmm_large_blockdim_kernel_extILj8ELj8ELj2EllDF16_DF16_ffEEvb20rocsparse_direction_T3_S2_llNS_24const_host_device_scalarIT7_EEPKT2_PKS2_PKT4_S2_PKT5_llS5_PT6_ll16rocsparse_order_21rocsparse_index_base_b
		.amdhsa_group_segment_fixed_size 768
		.amdhsa_private_segment_fixed_size 0
		.amdhsa_kernarg_size 148
		.amdhsa_user_sgpr_count 14
		.amdhsa_user_sgpr_dispatch_ptr 0
		.amdhsa_user_sgpr_queue_ptr 0
		.amdhsa_user_sgpr_kernarg_segment_ptr 1
		.amdhsa_user_sgpr_dispatch_id 0
		.amdhsa_user_sgpr_private_segment_size 0
		.amdhsa_wavefront_size32 1
		.amdhsa_uses_dynamic_stack 0
		.amdhsa_enable_private_segment 0
		.amdhsa_system_sgpr_workgroup_id_x 1
		.amdhsa_system_sgpr_workgroup_id_y 1
		.amdhsa_system_sgpr_workgroup_id_z 0
		.amdhsa_system_sgpr_workgroup_info 0
		.amdhsa_system_vgpr_workitem_id 1
		.amdhsa_next_free_vgpr 43
		.amdhsa_next_free_sgpr 46
		.amdhsa_reserve_vcc 1
		.amdhsa_float_round_mode_32 0
		.amdhsa_float_round_mode_16_64 0
		.amdhsa_float_denorm_mode_32 3
		.amdhsa_float_denorm_mode_16_64 3
		.amdhsa_dx10_clamp 1
		.amdhsa_ieee_mode 1
		.amdhsa_fp16_overflow 0
		.amdhsa_workgroup_processor_mode 1
		.amdhsa_memory_ordered 1
		.amdhsa_forward_progress 0
		.amdhsa_shared_vgpr_count 0
		.amdhsa_exception_fp_ieee_invalid_op 0
		.amdhsa_exception_fp_denorm_src 0
		.amdhsa_exception_fp_ieee_div_zero 0
		.amdhsa_exception_fp_ieee_overflow 0
		.amdhsa_exception_fp_ieee_underflow 0
		.amdhsa_exception_fp_ieee_inexact 0
		.amdhsa_exception_int_div_zero 0
	.end_amdhsa_kernel
	.section	.text._ZN9rocsparseL31bsrmm_large_blockdim_kernel_extILj8ELj8ELj2EllDF16_DF16_ffEEvb20rocsparse_direction_T3_S2_llNS_24const_host_device_scalarIT7_EEPKT2_PKS2_PKT4_S2_PKT5_llS5_PT6_ll16rocsparse_order_21rocsparse_index_base_b,"axG",@progbits,_ZN9rocsparseL31bsrmm_large_blockdim_kernel_extILj8ELj8ELj2EllDF16_DF16_ffEEvb20rocsparse_direction_T3_S2_llNS_24const_host_device_scalarIT7_EEPKT2_PKS2_PKT4_S2_PKT5_llS5_PT6_ll16rocsparse_order_21rocsparse_index_base_b,comdat
.Lfunc_end56:
	.size	_ZN9rocsparseL31bsrmm_large_blockdim_kernel_extILj8ELj8ELj2EllDF16_DF16_ffEEvb20rocsparse_direction_T3_S2_llNS_24const_host_device_scalarIT7_EEPKT2_PKS2_PKT4_S2_PKT5_llS5_PT6_ll16rocsparse_order_21rocsparse_index_base_b, .Lfunc_end56-_ZN9rocsparseL31bsrmm_large_blockdim_kernel_extILj8ELj8ELj2EllDF16_DF16_ffEEvb20rocsparse_direction_T3_S2_llNS_24const_host_device_scalarIT7_EEPKT2_PKS2_PKT4_S2_PKT5_llS5_PT6_ll16rocsparse_order_21rocsparse_index_base_b
                                        ; -- End function
	.section	.AMDGPU.csdata,"",@progbits
; Kernel info:
; codeLenInByte = 2652
; NumSgprs: 48
; NumVgprs: 43
; ScratchSize: 0
; MemoryBound: 0
; FloatMode: 240
; IeeeMode: 1
; LDSByteSize: 768 bytes/workgroup (compile time only)
; SGPRBlocks: 5
; VGPRBlocks: 5
; NumSGPRsForWavesPerEU: 48
; NumVGPRsForWavesPerEU: 43
; Occupancy: 16
; WaveLimiterHint : 1
; COMPUTE_PGM_RSRC2:SCRATCH_EN: 0
; COMPUTE_PGM_RSRC2:USER_SGPR: 14
; COMPUTE_PGM_RSRC2:TRAP_HANDLER: 0
; COMPUTE_PGM_RSRC2:TGID_X_EN: 1
; COMPUTE_PGM_RSRC2:TGID_Y_EN: 1
; COMPUTE_PGM_RSRC2:TGID_Z_EN: 0
; COMPUTE_PGM_RSRC2:TIDIG_COMP_CNT: 1
	.section	.text._ZN9rocsparseL31bsrmm_large_blockdim_kernel_extILj4ELj16ELj2EllDF16_DF16_ffEEvb20rocsparse_direction_T3_S2_llNS_24const_host_device_scalarIT7_EEPKT2_PKS2_PKT4_S2_PKT5_llS5_PT6_ll16rocsparse_order_21rocsparse_index_base_b,"axG",@progbits,_ZN9rocsparseL31bsrmm_large_blockdim_kernel_extILj4ELj16ELj2EllDF16_DF16_ffEEvb20rocsparse_direction_T3_S2_llNS_24const_host_device_scalarIT7_EEPKT2_PKS2_PKT4_S2_PKT5_llS5_PT6_ll16rocsparse_order_21rocsparse_index_base_b,comdat
	.globl	_ZN9rocsparseL31bsrmm_large_blockdim_kernel_extILj4ELj16ELj2EllDF16_DF16_ffEEvb20rocsparse_direction_T3_S2_llNS_24const_host_device_scalarIT7_EEPKT2_PKS2_PKT4_S2_PKT5_llS5_PT6_ll16rocsparse_order_21rocsparse_index_base_b ; -- Begin function _ZN9rocsparseL31bsrmm_large_blockdim_kernel_extILj4ELj16ELj2EllDF16_DF16_ffEEvb20rocsparse_direction_T3_S2_llNS_24const_host_device_scalarIT7_EEPKT2_PKS2_PKT4_S2_PKT5_llS5_PT6_ll16rocsparse_order_21rocsparse_index_base_b
	.p2align	8
	.type	_ZN9rocsparseL31bsrmm_large_blockdim_kernel_extILj4ELj16ELj2EllDF16_DF16_ffEEvb20rocsparse_direction_T3_S2_llNS_24const_host_device_scalarIT7_EEPKT2_PKS2_PKT4_S2_PKT5_llS5_PT6_ll16rocsparse_order_21rocsparse_index_base_b,@function
_ZN9rocsparseL31bsrmm_large_blockdim_kernel_extILj4ELj16ELj2EllDF16_DF16_ffEEvb20rocsparse_direction_T3_S2_llNS_24const_host_device_scalarIT7_EEPKT2_PKS2_PKT4_S2_PKT5_llS5_PT6_ll16rocsparse_order_21rocsparse_index_base_b: ; @_ZN9rocsparseL31bsrmm_large_blockdim_kernel_extILj4ELj16ELj2EllDF16_DF16_ffEEvb20rocsparse_direction_T3_S2_llNS_24const_host_device_scalarIT7_EEPKT2_PKS2_PKT4_S2_PKT5_llS5_PT6_ll16rocsparse_order_21rocsparse_index_base_b
; %bb.0:
	s_clause 0x2
	s_load_b128 s[8:11], s[0:1], 0x88
	s_load_b64 s[12:13], s[0:1], 0x28
	s_load_b64 s[24:25], s[0:1], 0x68
	s_mov_b32 s2, s15
	s_waitcnt lgkmcnt(0)
	s_bitcmp1_b32 s10, 0
	s_cselect_b32 s3, -1, 0
	s_delay_alu instid0(SALU_CYCLE_1)
	s_and_b32 vcc_lo, exec_lo, s3
	s_xor_b32 s3, s3, -1
	s_cbranch_vccnz .LBB57_2
; %bb.1:
	s_load_b32 s12, s[12:13], 0x0
.LBB57_2:
	s_and_not1_b32 vcc_lo, exec_lo, s3
	s_cbranch_vccnz .LBB57_4
; %bb.3:
	s_load_b32 s24, s[24:25], 0x0
.LBB57_4:
	s_waitcnt lgkmcnt(0)
	v_cmp_eq_f32_e64 s3, s12, 0
	v_cmp_eq_f32_e64 s4, s24, 1.0
	s_delay_alu instid0(VALU_DEP_1) | instskip(NEXT) | instid1(SALU_CYCLE_1)
	s_and_b32 s3, s3, s4
	s_and_b32 vcc_lo, exec_lo, s3
	s_cbranch_vccnz .LBB57_57
; %bb.5:
	s_clause 0x1
	s_load_b128 s[4:7], s[0:1], 0x8
	s_load_b64 s[10:11], s[0:1], 0x30
	s_ashr_i32 s15, s14, 31
	s_mov_b64 s[26:27], 0
	s_mov_b64 s[28:29], 0
	s_waitcnt lgkmcnt(0)
	v_cmp_ge_i64_e64 s3, s[14:15], s[4:5]
	v_cmp_lt_i64_e64 s13, s[14:15], s[4:5]
	s_delay_alu instid0(VALU_DEP_2)
	s_and_b32 vcc_lo, exec_lo, s3
	s_cbranch_vccnz .LBB57_7
; %bb.6:
	s_lshl_b64 s[4:5], s[14:15], 3
	s_delay_alu instid0(SALU_CYCLE_1)
	s_add_u32 s4, s10, s4
	s_addc_u32 s5, s11, s5
	s_load_b64 s[4:5], s[4:5], 0x0
	s_waitcnt lgkmcnt(0)
	s_sub_u32 s28, s4, s9
	s_subb_u32 s29, s5, 0
.LBB57_7:
	s_delay_alu instid0(VALU_DEP_1)
	s_and_not1_b32 vcc_lo, exec_lo, s13
	s_cbranch_vccnz .LBB57_9
; %bb.8:
	s_lshl_b64 s[4:5], s[14:15], 3
	s_delay_alu instid0(SALU_CYCLE_1)
	s_add_u32 s4, s10, s4
	s_addc_u32 s5, s11, s5
	s_load_b64 s[4:5], s[4:5], 0x8
	s_waitcnt lgkmcnt(0)
	s_sub_u32 s26, s4, s9
	s_subb_u32 s27, s5, 0
.LBB57_9:
	s_clause 0x1
	s_load_b64 s[30:31], s[0:1], 0x48
	s_load_b64 s[10:11], s[0:1], 0x70
	v_bfe_u32 v8, v0, 10, 10
	v_dual_mov_b32 v3, 0 :: v_dual_and_b32 v6, 0x3ff, v0
	s_mov_b32 s36, 0
	s_delay_alu instid0(VALU_DEP_2) | instskip(SKIP_1) | instid1(VALU_DEP_3)
	v_lshl_add_u32 v2, s2, 5, v8
	v_cmp_ge_i64_e64 s2, s[28:29], s[26:27]
	v_mov_b32_e32 v1, v3
	s_mov_b32 s37, s36
	v_dual_mov_b32 v7, v3 :: v_dual_mov_b32 v4, s36
	v_add_nc_u32_e32 v0, 16, v2
	s_delay_alu instid0(VALU_DEP_4) | instskip(SKIP_2) | instid1(VALU_DEP_3)
	s_and_b32 vcc_lo, exec_lo, s2
	v_cmp_gt_i64_e64 s3, s[6:7], v[2:3]
	v_mov_b32_e32 v5, s37
	v_cmp_gt_i64_e64 s4, s[6:7], v[0:1]
	s_waitcnt lgkmcnt(0)
	v_cmp_gt_i64_e64 s2, s[30:31], v[6:7]
	s_cbranch_vccnz .LBB57_37
; %bb.10:
	v_mad_u64_u32 v[4:5], null, v8, s30, 0
	s_clause 0x2
	s_load_b64 s[34:35], s[0:1], 0x0
	s_load_b128 s[16:19], s[0:1], 0x38
	s_load_b128 s[20:23], s[0:1], 0x50
	v_mad_u64_u32 v[10:11], null, v6, s30, 0
	v_dual_mov_b32 v9, v3 :: v_dual_lshlrev_b32 v14, 1, v6
	v_lshl_add_u32 v20, v6, 2, v8
	v_mad_u64_u32 v[12:13], null, v8, s31, v[5:6]
	s_delay_alu instid0(VALU_DEP_3)
	v_cmp_gt_i64_e32 vcc_lo, s[30:31], v[8:9]
	v_mov_b32_e32 v9, v11
	s_mul_i32 s5, s30, s31
	s_mul_hi_u32 s25, s30, s30
	v_lshl_add_u32 v23, v6, 4, 0x200
	s_add_i32 s25, s25, s5
	s_delay_alu instid0(VALU_DEP_4) | instskip(SKIP_2) | instid1(VALU_DEP_2)
	v_dual_mov_b32 v5, v12 :: v_dual_lshlrev_b32 v22, 1, v8
	v_mad_u64_u32 v[11:12], null, v6, s31, v[9:10]
	s_and_b32 s33, s2, vcc_lo
	v_lshlrev_b64 v[4:5], 1, v[4:5]
	s_waitcnt lgkmcnt(0)
	v_mad_u64_u32 v[12:13], null, v0, s22, 0
	s_add_i32 s25, s25, s5
	s_bitcmp1_b32 s34, 0
	v_add_co_u32 v16, s34, s20, v14
	v_add_co_u32 v15, vcc_lo, s18, v4
	v_add_co_ci_u32_e32 v18, vcc_lo, s19, v5, vcc_lo
	v_lshlrev_b64 v[4:5], 1, v[10:11]
	s_delay_alu instid0(VALU_DEP_3) | instskip(SKIP_1) | instid1(VALU_DEP_4)
	v_add_co_u32 v11, vcc_lo, v15, v14
	v_mad_u64_u32 v[9:10], null, v2, s22, 0
	v_add_co_ci_u32_e32 v21, vcc_lo, 0, v18, vcc_lo
	v_lshl_add_u32 v18, v20, 2, 0x200
	v_add_co_u32 v20, vcc_lo, s18, v4
	v_add_co_ci_u32_e32 v5, vcc_lo, s19, v5, vcc_lo
	v_mov_b32_e32 v4, v13
	v_mad_u64_u32 v[13:14], null, v2, s23, v[10:11]
	v_cmp_gt_i64_e64 s18, s[30:31], 0
	s_cselect_b32 s5, -1, 0
	s_delay_alu instid0(VALU_DEP_3)
	v_mad_u64_u32 v[14:15], null, v0, s23, v[4:5]
	v_add_co_u32 v4, vcc_lo, v20, v22
	s_cmp_eq_u32 s35, 0
	v_add_co_ci_u32_e32 v5, vcc_lo, 0, v5, vcc_lo
	v_dual_mov_b32 v10, v13 :: v_dual_lshlrev_b32 v19, 2, v8
	s_cselect_b32 vcc_lo, -1, 0
	s_delay_alu instid0(VALU_DEP_2)
	v_dual_mov_b32 v13, v14 :: v_dual_cndmask_b32 v20, v21, v5
	s_and_b32 s38, s3, s18
	s_and_b32 s39, s4, s18
	v_lshlrev_b32_e32 v22, 4, v8
	s_add_u32 s40, s30, -1
	s_addc_u32 s41, s31, -1
	v_cndmask_b32_e32 v21, v11, v4, vcc_lo
	s_and_b32 s18, s30, 7
	s_mov_b32 s19, s36
	v_mov_b32_e32 v4, s36
	v_lshlrev_b64 v[8:9], 1, v[9:10]
	v_lshlrev_b64 v[10:11], 1, v[2:3]
	;; [unrolled: 1-line block ×4, first 2 shown]
	v_cmp_gt_u64_e64 s40, s[40:41], 6
	v_add_co_ci_u32_e64 v17, null, s21, 0, s34
	v_add_lshl_u32 v19, v19, v6, 2
	s_and_b32 s35, s31, 0x7fffffff
	s_and_b32 s34, s30, -8
	v_dual_mov_b32 v5, s37 :: v_dual_add_nc_u32 v24, 0x100, v22
	s_cmp_lg_u64 s[18:19], 0
	s_mul_i32 s15, s30, s30
	s_cselect_b32 s41, -1, 0
	s_branch .LBB57_13
.LBB57_11:                              ;   in Loop: Header=BB57_13 Depth=1
	s_or_b32 exec_lo, exec_lo, s43
.LBB57_12:                              ;   in Loop: Header=BB57_13 Depth=1
	s_delay_alu instid0(SALU_CYCLE_1) | instskip(SKIP_2) | instid1(SALU_CYCLE_1)
	s_or_b32 exec_lo, exec_lo, s42
	s_add_u32 s28, s28, 1
	s_addc_u32 s29, s29, 0
	v_cmp_ge_i64_e64 s36, s[28:29], s[26:27]
	s_barrier
	buffer_gl0_inv
	s_and_b32 vcc_lo, exec_lo, s36
	s_cbranch_vccnz .LBB57_37
.LBB57_13:                              ; =>This Loop Header: Depth=1
                                        ;     Child Loop BB57_24 Depth 2
                                        ;     Child Loop BB57_28 Depth 2
	;; [unrolled: 1-line block ×4, first 2 shown]
	s_and_saveexec_b32 s36, s2
	s_cbranch_execz .LBB57_18
; %bb.14:                               ;   in Loop: Header=BB57_13 Depth=1
	s_lshl_b64 s[42:43], s[28:29], 3
	s_delay_alu instid0(SALU_CYCLE_1)
	s_add_u32 s42, s16, s42
	s_addc_u32 s43, s17, s43
	s_load_b64 s[42:43], s[42:43], 0x0
	s_waitcnt lgkmcnt(0)
	s_sub_u32 s37, s42, s9
	s_subb_u32 s42, s43, 0
	s_mul_i32 s43, s37, s31
	s_mul_hi_u32 s44, s37, s30
	s_mul_i32 s45, s42, s30
	s_add_i32 s43, s44, s43
	s_mul_i32 s42, s37, s30
	s_add_i32 s43, s43, s45
	v_add_co_u32 v27, s37, s42, v6
	s_delay_alu instid0(VALU_DEP_1) | instskip(SKIP_1) | instid1(VALU_DEP_2)
	v_add_co_ci_u32_e64 v28, null, s43, 0, s37
	s_lshl_b64 s[42:43], s[42:43], 1
	v_mul_lo_u32 v29, v27, s23
	v_mad_u64_u32 v[25:26], null, v27, s22, 0
	s_delay_alu instid0(VALU_DEP_3) | instskip(NEXT) | instid1(VALU_DEP_1)
	v_mul_lo_u32 v27, v28, s22
	v_add3_u32 v26, v26, v29, v27
	s_delay_alu instid0(VALU_DEP_1) | instskip(NEXT) | instid1(VALU_DEP_1)
	v_lshlrev_b64 v[25:26], 1, v[25:26]
	v_add_co_u32 v25, vcc_lo, s20, v25
	s_delay_alu instid0(VALU_DEP_2)
	v_add_co_ci_u32_e32 v26, vcc_lo, s21, v26, vcc_lo
	v_add_co_u32 v27, vcc_lo, v16, s42
	v_add_co_ci_u32_e32 v28, vcc_lo, s43, v17, vcc_lo
	s_and_saveexec_b32 s37, s3
	s_cbranch_execz .LBB57_16
; %bb.15:                               ;   in Loop: Header=BB57_13 Depth=1
	s_delay_alu instid0(VALU_DEP_2) | instskip(NEXT) | instid1(VALU_DEP_2)
	v_add_co_u32 v29, vcc_lo, v27, v8
	v_add_co_ci_u32_e32 v30, vcc_lo, v28, v9, vcc_lo
	v_add_co_u32 v31, vcc_lo, v25, v10
	v_add_co_ci_u32_e32 v32, vcc_lo, v26, v11, vcc_lo
	s_delay_alu instid0(VALU_DEP_2) | instskip(NEXT) | instid1(VALU_DEP_2)
	v_cndmask_b32_e64 v29, v31, v29, s5
	v_cndmask_b32_e64 v30, v32, v30, s5
	global_load_u16 v29, v[29:30], off
	s_waitcnt vmcnt(0)
	v_cvt_f32_f16_e32 v29, v29
	ds_store_b32 v19, v29
.LBB57_16:                              ;   in Loop: Header=BB57_13 Depth=1
	s_or_b32 exec_lo, exec_lo, s37
	s_delay_alu instid0(SALU_CYCLE_1)
	s_and_b32 exec_lo, exec_lo, s4
	s_cbranch_execz .LBB57_18
; %bb.17:                               ;   in Loop: Header=BB57_13 Depth=1
	v_add_co_u32 v27, vcc_lo, v27, v12
	v_add_co_ci_u32_e32 v28, vcc_lo, v28, v13, vcc_lo
	v_add_co_u32 v25, vcc_lo, v25, v14
	v_add_co_ci_u32_e32 v26, vcc_lo, v26, v15, vcc_lo
	s_delay_alu instid0(VALU_DEP_2) | instskip(NEXT) | instid1(VALU_DEP_2)
	v_cndmask_b32_e64 v25, v25, v27, s5
	v_cndmask_b32_e64 v26, v26, v28, s5
	global_load_u16 v25, v[25:26], off
	s_waitcnt vmcnt(0)
	v_cvt_f32_f16_e32 v25, v25
	ds_store_b32 v19, v25 offset:256
.LBB57_18:                              ;   in Loop: Header=BB57_13 Depth=1
	s_or_b32 exec_lo, exec_lo, s36
	s_and_saveexec_b32 s36, s33
	s_cbranch_execz .LBB57_20
; %bb.19:                               ;   in Loop: Header=BB57_13 Depth=1
	s_mul_i32 s37, s15, s29
	s_mul_hi_u32 s42, s15, s28
	s_mul_i32 s43, s25, s28
	s_add_i32 s37, s42, s37
	s_mul_i32 s42, s15, s28
	s_add_i32 s43, s37, s43
	s_delay_alu instid0(SALU_CYCLE_1) | instskip(NEXT) | instid1(SALU_CYCLE_1)
	s_lshl_b64 s[42:43], s[42:43], 1
	v_add_co_u32 v25, vcc_lo, v21, s42
	v_add_co_ci_u32_e32 v26, vcc_lo, s43, v20, vcc_lo
	global_load_u16 v25, v[25:26], off
	s_waitcnt vmcnt(0)
	v_cvt_f32_f16_e32 v25, v25
	ds_store_b32 v18, v25
.LBB57_20:                              ;   in Loop: Header=BB57_13 Depth=1
	s_or_b32 exec_lo, exec_lo, s36
	s_waitcnt lgkmcnt(0)
	s_barrier
	buffer_gl0_inv
	s_and_saveexec_b32 s42, s2
	s_cbranch_execz .LBB57_12
; %bb.21:                               ;   in Loop: Header=BB57_13 Depth=1
	s_and_saveexec_b32 s43, s38
	s_cbranch_execz .LBB57_29
; %bb.22:                               ;   in Loop: Header=BB57_13 Depth=1
	s_and_not1_b32 vcc_lo, exec_lo, s40
	s_cbranch_vccnz .LBB57_26
; %bb.23:                               ;   in Loop: Header=BB57_13 Depth=1
	v_dual_mov_b32 v25, v23 :: v_dual_mov_b32 v26, v22
	s_mov_b64 s[36:37], 0
	.p2align	6
.LBB57_24:                              ;   Parent Loop BB57_13 Depth=1
                                        ; =>  This Inner Loop Header: Depth=2
	ds_load_b128 v[27:30], v26
	ds_load_b128 v[31:34], v25
	ds_load_b128 v[35:38], v25 offset:16
	ds_load_b128 v[39:42], v26 offset:16
	s_add_u32 s36, s36, 8
	v_add_nc_u32_e32 v26, 32, v26
	s_addc_u32 s37, s37, 0
	v_add_nc_u32_e32 v25, 32, v25
	s_cmp_lg_u64 s[34:35], s[36:37]
	s_waitcnt lgkmcnt(2)
	v_fma_f32 v4, v31, v27, v4
	s_delay_alu instid0(VALU_DEP_1) | instskip(NEXT) | instid1(VALU_DEP_1)
	v_fmac_f32_e32 v4, v32, v28
	v_fmac_f32_e32 v4, v33, v29
	s_delay_alu instid0(VALU_DEP_1) | instskip(SKIP_1) | instid1(VALU_DEP_1)
	v_fmac_f32_e32 v4, v34, v30
	s_waitcnt lgkmcnt(0)
	v_fmac_f32_e32 v4, v35, v39
	s_delay_alu instid0(VALU_DEP_1) | instskip(NEXT) | instid1(VALU_DEP_1)
	v_fmac_f32_e32 v4, v36, v40
	v_fmac_f32_e32 v4, v37, v41
	s_delay_alu instid0(VALU_DEP_1)
	v_fmac_f32_e32 v4, v38, v42
	s_cbranch_scc1 .LBB57_24
; %bb.25:                               ;   in Loop: Header=BB57_13 Depth=1
	s_mov_b64 s[36:37], s[34:35]
	s_and_not1_b32 vcc_lo, exec_lo, s41
	s_cbranch_vccz .LBB57_27
	s_branch .LBB57_29
.LBB57_26:                              ;   in Loop: Header=BB57_13 Depth=1
	s_mov_b64 s[36:37], 0
	s_and_not1_b32 vcc_lo, exec_lo, s41
	s_cbranch_vccnz .LBB57_29
.LBB57_27:                              ;   in Loop: Header=BB57_13 Depth=1
	s_lshl_b32 s36, s36, 2
	s_delay_alu instid0(SALU_CYCLE_1)
	v_add_nc_u32_e32 v25, s36, v22
	v_add_nc_u32_e32 v26, s36, v23
	s_mov_b64 s[36:37], s[18:19]
.LBB57_28:                              ;   Parent Loop BB57_13 Depth=1
                                        ; =>  This Inner Loop Header: Depth=2
	ds_load_b32 v27, v26
	ds_load_b32 v28, v25
	v_add_nc_u32_e32 v25, 4, v25
	v_add_nc_u32_e32 v26, 4, v26
	s_add_u32 s36, s36, -1
	s_addc_u32 s37, s37, -1
	s_delay_alu instid0(SALU_CYCLE_1)
	s_cmp_lg_u64 s[36:37], 0
	s_waitcnt lgkmcnt(0)
	v_fma_f32 v4, v27, v28, v4
	s_cbranch_scc1 .LBB57_28
.LBB57_29:                              ;   in Loop: Header=BB57_13 Depth=1
	s_or_b32 exec_lo, exec_lo, s43
	s_and_saveexec_b32 s43, s39
	s_cbranch_execz .LBB57_11
; %bb.30:                               ;   in Loop: Header=BB57_13 Depth=1
	s_and_not1_b32 vcc_lo, exec_lo, s40
	s_cbranch_vccnz .LBB57_34
; %bb.31:                               ;   in Loop: Header=BB57_13 Depth=1
	v_dual_mov_b32 v25, v23 :: v_dual_mov_b32 v26, v24
	s_mov_b64 s[36:37], 0
	.p2align	6
.LBB57_32:                              ;   Parent Loop BB57_13 Depth=1
                                        ; =>  This Inner Loop Header: Depth=2
	ds_load_b128 v[27:30], v26
	ds_load_b128 v[31:34], v25
	ds_load_b128 v[35:38], v25 offset:16
	ds_load_b128 v[39:42], v26 offset:16
	s_add_u32 s36, s36, 8
	v_add_nc_u32_e32 v25, 32, v25
	s_addc_u32 s37, s37, 0
	v_add_nc_u32_e32 v26, 32, v26
	s_cmp_lg_u64 s[34:35], s[36:37]
	s_waitcnt lgkmcnt(2)
	v_fma_f32 v5, v31, v27, v5
	s_delay_alu instid0(VALU_DEP_1) | instskip(NEXT) | instid1(VALU_DEP_1)
	v_fmac_f32_e32 v5, v32, v28
	v_fmac_f32_e32 v5, v33, v29
	s_delay_alu instid0(VALU_DEP_1) | instskip(SKIP_1) | instid1(VALU_DEP_1)
	v_fmac_f32_e32 v5, v34, v30
	s_waitcnt lgkmcnt(0)
	v_fmac_f32_e32 v5, v35, v39
	s_delay_alu instid0(VALU_DEP_1) | instskip(NEXT) | instid1(VALU_DEP_1)
	v_fmac_f32_e32 v5, v36, v40
	v_fmac_f32_e32 v5, v37, v41
	s_delay_alu instid0(VALU_DEP_1)
	v_fmac_f32_e32 v5, v38, v42
	s_cbranch_scc1 .LBB57_32
; %bb.33:                               ;   in Loop: Header=BB57_13 Depth=1
	s_mov_b64 s[36:37], s[34:35]
	s_and_not1_b32 vcc_lo, exec_lo, s41
	s_cbranch_vccz .LBB57_35
	s_branch .LBB57_11
.LBB57_34:                              ;   in Loop: Header=BB57_13 Depth=1
	s_mov_b64 s[36:37], 0
	s_and_not1_b32 vcc_lo, exec_lo, s41
	s_cbranch_vccnz .LBB57_11
.LBB57_35:                              ;   in Loop: Header=BB57_13 Depth=1
	s_lshl_b32 s36, s36, 2
	s_delay_alu instid0(SALU_CYCLE_1)
	v_add_nc_u32_e32 v25, s36, v24
	v_add_nc_u32_e32 v26, s36, v23
	s_mov_b64 s[36:37], s[18:19]
.LBB57_36:                              ;   Parent Loop BB57_13 Depth=1
                                        ; =>  This Inner Loop Header: Depth=2
	ds_load_b32 v27, v26
	ds_load_b32 v28, v25
	v_add_nc_u32_e32 v25, 4, v25
	v_add_nc_u32_e32 v26, 4, v26
	s_add_u32 s36, s36, -1
	s_addc_u32 s37, s37, -1
	s_delay_alu instid0(SALU_CYCLE_1)
	s_cmp_lg_u64 s[36:37], 0
	s_waitcnt lgkmcnt(0)
	v_fma_f32 v5, v27, v28, v5
	s_cbranch_scc1 .LBB57_36
	s_branch .LBB57_11
.LBB57_37:
	s_delay_alu instid0(VALU_DEP_1) | instskip(NEXT) | instid1(SALU_CYCLE_1)
	s_and_b32 s2, s13, s2
	s_and_saveexec_b32 s3, s2
	s_cbranch_execz .LBB57_57
; %bb.38:
	v_mad_u64_u32 v[8:9], null, s14, s30, v[6:7]
	s_load_b64 s[2:3], s[0:1], 0x78
	v_cmp_neq_f32_e64 s4, s24, 0
	s_cmp_lg_u32 s8, 1
	s_cselect_b32 s1, -1, 0
	s_delay_alu instid0(VALU_DEP_2) | instskip(NEXT) | instid1(VALU_DEP_1)
	v_mov_b32_e32 v6, v9
	v_mad_u64_u32 v[9:10], null, s14, s31, v[6:7]
	s_waitcnt lgkmcnt(0)
	v_mul_lo_u32 v10, v8, s3
	v_mad_u64_u32 v[6:7], null, v8, s2, 0
	s_delay_alu instid0(VALU_DEP_3) | instskip(NEXT) | instid1(VALU_DEP_1)
	v_mul_lo_u32 v11, v9, s2
	v_add3_u32 v7, v7, v10, v11
	v_lshlrev_b64 v[10:11], 2, v[8:9]
	s_delay_alu instid0(VALU_DEP_2) | instskip(NEXT) | instid1(VALU_DEP_1)
	v_lshlrev_b64 v[6:7], 2, v[6:7]
	v_add_co_u32 v8, s0, s10, v6
	s_delay_alu instid0(VALU_DEP_1) | instskip(NEXT) | instid1(VALU_DEP_4)
	v_add_co_ci_u32_e64 v9, s0, s11, v7, s0
	v_add_co_u32 v6, s0, s10, v10
	s_delay_alu instid0(VALU_DEP_1)
	v_add_co_ci_u32_e64 v7, s0, s11, v11, s0
	s_mov_b32 s0, exec_lo
	v_cmpx_gt_i64_e64 s[6:7], v[2:3]
	s_cbranch_execz .LBB57_50
; %bb.39:
	s_and_b32 vcc_lo, exec_lo, s4
	s_cbranch_vccz .LBB57_45
; %bb.40:
	s_and_b32 vcc_lo, exec_lo, s1
	s_mov_b32 s5, -1
	s_cbranch_vccz .LBB57_42
; %bb.41:
	v_lshlrev_b64 v[10:11], 2, v[2:3]
	v_mul_f32_e32 v13, s12, v4
	s_mov_b32 s5, 0
	s_delay_alu instid0(VALU_DEP_2) | instskip(NEXT) | instid1(VALU_DEP_3)
	v_add_co_u32 v10, vcc_lo, v8, v10
	v_add_co_ci_u32_e32 v11, vcc_lo, v9, v11, vcc_lo
	global_load_b32 v12, v[10:11], off
	s_waitcnt vmcnt(0)
	v_fmac_f32_e32 v13, s24, v12
	global_store_b32 v[10:11], v13, off
.LBB57_42:
	s_and_not1_b32 vcc_lo, exec_lo, s5
	s_cbranch_vccnz .LBB57_44
; %bb.43:
	v_mad_u64_u32 v[10:11], null, v2, s2, 0
	s_delay_alu instid0(VALU_DEP_1) | instskip(SKIP_1) | instid1(VALU_DEP_2)
	v_mad_u64_u32 v[12:13], null, v2, s3, v[11:12]
	v_mul_f32_e32 v13, s12, v4
	v_mov_b32_e32 v11, v12
	s_delay_alu instid0(VALU_DEP_1) | instskip(NEXT) | instid1(VALU_DEP_1)
	v_lshlrev_b64 v[10:11], 2, v[10:11]
	v_add_co_u32 v10, vcc_lo, v6, v10
	s_delay_alu instid0(VALU_DEP_2)
	v_add_co_ci_u32_e32 v11, vcc_lo, v7, v11, vcc_lo
	global_load_b32 v12, v[10:11], off
	s_waitcnt vmcnt(0)
	v_fmac_f32_e32 v13, s24, v12
	global_store_b32 v[10:11], v13, off
.LBB57_44:
	s_cbranch_execz .LBB57_46
	s_branch .LBB57_50
.LBB57_45:
.LBB57_46:
	v_mul_f32_e32 v4, s12, v4
	s_and_b32 vcc_lo, exec_lo, s1
	s_mov_b32 s5, -1
	s_cbranch_vccz .LBB57_48
; %bb.47:
	v_lshlrev_b64 v[10:11], 2, v[2:3]
	s_mov_b32 s5, 0
	s_delay_alu instid0(VALU_DEP_1) | instskip(NEXT) | instid1(VALU_DEP_2)
	v_add_co_u32 v10, vcc_lo, v8, v10
	v_add_co_ci_u32_e32 v11, vcc_lo, v9, v11, vcc_lo
	global_store_b32 v[10:11], v4, off
.LBB57_48:
	s_and_not1_b32 vcc_lo, exec_lo, s5
	s_cbranch_vccnz .LBB57_50
; %bb.49:
	v_mad_u64_u32 v[10:11], null, v2, s2, 0
	s_delay_alu instid0(VALU_DEP_1) | instskip(NEXT) | instid1(VALU_DEP_1)
	v_mov_b32_e32 v3, v11
	v_mad_u64_u32 v[11:12], null, v2, s3, v[3:4]
	s_delay_alu instid0(VALU_DEP_1) | instskip(NEXT) | instid1(VALU_DEP_1)
	v_lshlrev_b64 v[2:3], 2, v[10:11]
	v_add_co_u32 v2, vcc_lo, v6, v2
	s_delay_alu instid0(VALU_DEP_2)
	v_add_co_ci_u32_e32 v3, vcc_lo, v7, v3, vcc_lo
	global_store_b32 v[2:3], v4, off
.LBB57_50:
	s_or_b32 exec_lo, exec_lo, s0
	v_cmp_gt_i64_e32 vcc_lo, s[6:7], v[0:1]
	s_and_b32 exec_lo, exec_lo, vcc_lo
	s_cbranch_execz .LBB57_57
; %bb.51:
	v_cndmask_b32_e64 v2, 0, 1, s1
	s_and_not1_b32 vcc_lo, exec_lo, s4
	s_delay_alu instid0(VALU_DEP_1)
	v_cmp_ne_u32_e64 s0, 1, v2
	s_cbranch_vccnz .LBB57_58
; %bb.52:
	s_delay_alu instid0(VALU_DEP_1)
	s_and_b32 vcc_lo, exec_lo, s0
	s_mov_b32 s0, -1
	s_cbranch_vccnz .LBB57_54
; %bb.53:
	v_lshlrev_b64 v[2:3], 2, v[0:1]
	v_mul_f32_e32 v10, s12, v5
	s_mov_b32 s0, 0
	s_delay_alu instid0(VALU_DEP_2) | instskip(NEXT) | instid1(VALU_DEP_3)
	v_add_co_u32 v2, vcc_lo, v8, v2
	v_add_co_ci_u32_e32 v3, vcc_lo, v9, v3, vcc_lo
	global_load_b32 v4, v[2:3], off
	s_waitcnt vmcnt(0)
	v_fmac_f32_e32 v10, s24, v4
	global_store_b32 v[2:3], v10, off
.LBB57_54:
	s_and_not1_b32 vcc_lo, exec_lo, s0
	s_cbranch_vccnz .LBB57_56
; %bb.55:
	v_mad_u64_u32 v[2:3], null, v0, s2, 0
	s_delay_alu instid0(VALU_DEP_1) | instskip(NEXT) | instid1(VALU_DEP_1)
	v_mad_u64_u32 v[10:11], null, v0, s3, v[3:4]
	v_dual_mov_b32 v3, v10 :: v_dual_mul_f32 v10, s12, v5
	s_delay_alu instid0(VALU_DEP_1) | instskip(NEXT) | instid1(VALU_DEP_1)
	v_lshlrev_b64 v[2:3], 2, v[2:3]
	v_add_co_u32 v2, vcc_lo, v6, v2
	s_delay_alu instid0(VALU_DEP_2)
	v_add_co_ci_u32_e32 v3, vcc_lo, v7, v3, vcc_lo
	global_load_b32 v4, v[2:3], off
	s_waitcnt vmcnt(0)
	v_fmac_f32_e32 v10, s24, v4
	global_store_b32 v[2:3], v10, off
.LBB57_56:
	s_cbranch_execz .LBB57_59
.LBB57_57:
	s_nop 0
	s_sendmsg sendmsg(MSG_DEALLOC_VGPRS)
	s_endpgm
.LBB57_58:
.LBB57_59:
	v_mul_f32_e32 v2, s12, v5
	s_and_not1_b32 vcc_lo, exec_lo, s1
	s_mov_b32 s0, -1
	s_cbranch_vccnz .LBB57_61
; %bb.60:
	v_lshlrev_b64 v[3:4], 2, v[0:1]
	s_mov_b32 s0, 0
	s_delay_alu instid0(VALU_DEP_1) | instskip(NEXT) | instid1(VALU_DEP_2)
	v_add_co_u32 v3, vcc_lo, v8, v3
	v_add_co_ci_u32_e32 v4, vcc_lo, v9, v4, vcc_lo
	global_store_b32 v[3:4], v2, off
.LBB57_61:
	s_and_not1_b32 vcc_lo, exec_lo, s0
	s_cbranch_vccnz .LBB57_57
; %bb.62:
	v_mad_u64_u32 v[3:4], null, v0, s2, 0
	s_delay_alu instid0(VALU_DEP_1) | instskip(NEXT) | instid1(VALU_DEP_1)
	v_mov_b32_e32 v1, v4
	v_mad_u64_u32 v[4:5], null, v0, s3, v[1:2]
	s_delay_alu instid0(VALU_DEP_1) | instskip(NEXT) | instid1(VALU_DEP_1)
	v_lshlrev_b64 v[0:1], 2, v[3:4]
	v_add_co_u32 v0, vcc_lo, v6, v0
	s_delay_alu instid0(VALU_DEP_2)
	v_add_co_ci_u32_e32 v1, vcc_lo, v7, v1, vcc_lo
	global_store_b32 v[0:1], v2, off
	s_nop 0
	s_sendmsg sendmsg(MSG_DEALLOC_VGPRS)
	s_endpgm
	.section	.rodata,"a",@progbits
	.p2align	6, 0x0
	.amdhsa_kernel _ZN9rocsparseL31bsrmm_large_blockdim_kernel_extILj4ELj16ELj2EllDF16_DF16_ffEEvb20rocsparse_direction_T3_S2_llNS_24const_host_device_scalarIT7_EEPKT2_PKS2_PKT4_S2_PKT5_llS5_PT6_ll16rocsparse_order_21rocsparse_index_base_b
		.amdhsa_group_segment_fixed_size 576
		.amdhsa_private_segment_fixed_size 0
		.amdhsa_kernarg_size 148
		.amdhsa_user_sgpr_count 14
		.amdhsa_user_sgpr_dispatch_ptr 0
		.amdhsa_user_sgpr_queue_ptr 0
		.amdhsa_user_sgpr_kernarg_segment_ptr 1
		.amdhsa_user_sgpr_dispatch_id 0
		.amdhsa_user_sgpr_private_segment_size 0
		.amdhsa_wavefront_size32 1
		.amdhsa_uses_dynamic_stack 0
		.amdhsa_enable_private_segment 0
		.amdhsa_system_sgpr_workgroup_id_x 1
		.amdhsa_system_sgpr_workgroup_id_y 1
		.amdhsa_system_sgpr_workgroup_id_z 0
		.amdhsa_system_sgpr_workgroup_info 0
		.amdhsa_system_vgpr_workitem_id 1
		.amdhsa_next_free_vgpr 43
		.amdhsa_next_free_sgpr 46
		.amdhsa_reserve_vcc 1
		.amdhsa_float_round_mode_32 0
		.amdhsa_float_round_mode_16_64 0
		.amdhsa_float_denorm_mode_32 3
		.amdhsa_float_denorm_mode_16_64 3
		.amdhsa_dx10_clamp 1
		.amdhsa_ieee_mode 1
		.amdhsa_fp16_overflow 0
		.amdhsa_workgroup_processor_mode 1
		.amdhsa_memory_ordered 1
		.amdhsa_forward_progress 0
		.amdhsa_shared_vgpr_count 0
		.amdhsa_exception_fp_ieee_invalid_op 0
		.amdhsa_exception_fp_denorm_src 0
		.amdhsa_exception_fp_ieee_div_zero 0
		.amdhsa_exception_fp_ieee_overflow 0
		.amdhsa_exception_fp_ieee_underflow 0
		.amdhsa_exception_fp_ieee_inexact 0
		.amdhsa_exception_int_div_zero 0
	.end_amdhsa_kernel
	.section	.text._ZN9rocsparseL31bsrmm_large_blockdim_kernel_extILj4ELj16ELj2EllDF16_DF16_ffEEvb20rocsparse_direction_T3_S2_llNS_24const_host_device_scalarIT7_EEPKT2_PKS2_PKT4_S2_PKT5_llS5_PT6_ll16rocsparse_order_21rocsparse_index_base_b,"axG",@progbits,_ZN9rocsparseL31bsrmm_large_blockdim_kernel_extILj4ELj16ELj2EllDF16_DF16_ffEEvb20rocsparse_direction_T3_S2_llNS_24const_host_device_scalarIT7_EEPKT2_PKS2_PKT4_S2_PKT5_llS5_PT6_ll16rocsparse_order_21rocsparse_index_base_b,comdat
.Lfunc_end57:
	.size	_ZN9rocsparseL31bsrmm_large_blockdim_kernel_extILj4ELj16ELj2EllDF16_DF16_ffEEvb20rocsparse_direction_T3_S2_llNS_24const_host_device_scalarIT7_EEPKT2_PKS2_PKT4_S2_PKT5_llS5_PT6_ll16rocsparse_order_21rocsparse_index_base_b, .Lfunc_end57-_ZN9rocsparseL31bsrmm_large_blockdim_kernel_extILj4ELj16ELj2EllDF16_DF16_ffEEvb20rocsparse_direction_T3_S2_llNS_24const_host_device_scalarIT7_EEPKT2_PKS2_PKT4_S2_PKT5_llS5_PT6_ll16rocsparse_order_21rocsparse_index_base_b
                                        ; -- End function
	.section	.AMDGPU.csdata,"",@progbits
; Kernel info:
; codeLenInByte = 2652
; NumSgprs: 48
; NumVgprs: 43
; ScratchSize: 0
; MemoryBound: 0
; FloatMode: 240
; IeeeMode: 1
; LDSByteSize: 576 bytes/workgroup (compile time only)
; SGPRBlocks: 5
; VGPRBlocks: 5
; NumSGPRsForWavesPerEU: 48
; NumVGPRsForWavesPerEU: 43
; Occupancy: 16
; WaveLimiterHint : 1
; COMPUTE_PGM_RSRC2:SCRATCH_EN: 0
; COMPUTE_PGM_RSRC2:USER_SGPR: 14
; COMPUTE_PGM_RSRC2:TRAP_HANDLER: 0
; COMPUTE_PGM_RSRC2:TGID_X_EN: 1
; COMPUTE_PGM_RSRC2:TGID_Y_EN: 1
; COMPUTE_PGM_RSRC2:TGID_Z_EN: 0
; COMPUTE_PGM_RSRC2:TIDIG_COMP_CNT: 1
	.section	.text._ZN9rocsparseL31bsrmm_large_blockdim_kernel_extILj16ELj16ELj2EllDF16_DF16_ffEEvb20rocsparse_direction_T3_S2_llNS_24const_host_device_scalarIT7_EEPKT2_PKS2_PKT4_S2_PKT5_llS5_PT6_ll16rocsparse_order_21rocsparse_index_base_b,"axG",@progbits,_ZN9rocsparseL31bsrmm_large_blockdim_kernel_extILj16ELj16ELj2EllDF16_DF16_ffEEvb20rocsparse_direction_T3_S2_llNS_24const_host_device_scalarIT7_EEPKT2_PKS2_PKT4_S2_PKT5_llS5_PT6_ll16rocsparse_order_21rocsparse_index_base_b,comdat
	.globl	_ZN9rocsparseL31bsrmm_large_blockdim_kernel_extILj16ELj16ELj2EllDF16_DF16_ffEEvb20rocsparse_direction_T3_S2_llNS_24const_host_device_scalarIT7_EEPKT2_PKS2_PKT4_S2_PKT5_llS5_PT6_ll16rocsparse_order_21rocsparse_index_base_b ; -- Begin function _ZN9rocsparseL31bsrmm_large_blockdim_kernel_extILj16ELj16ELj2EllDF16_DF16_ffEEvb20rocsparse_direction_T3_S2_llNS_24const_host_device_scalarIT7_EEPKT2_PKS2_PKT4_S2_PKT5_llS5_PT6_ll16rocsparse_order_21rocsparse_index_base_b
	.p2align	8
	.type	_ZN9rocsparseL31bsrmm_large_blockdim_kernel_extILj16ELj16ELj2EllDF16_DF16_ffEEvb20rocsparse_direction_T3_S2_llNS_24const_host_device_scalarIT7_EEPKT2_PKS2_PKT4_S2_PKT5_llS5_PT6_ll16rocsparse_order_21rocsparse_index_base_b,@function
_ZN9rocsparseL31bsrmm_large_blockdim_kernel_extILj16ELj16ELj2EllDF16_DF16_ffEEvb20rocsparse_direction_T3_S2_llNS_24const_host_device_scalarIT7_EEPKT2_PKS2_PKT4_S2_PKT5_llS5_PT6_ll16rocsparse_order_21rocsparse_index_base_b: ; @_ZN9rocsparseL31bsrmm_large_blockdim_kernel_extILj16ELj16ELj2EllDF16_DF16_ffEEvb20rocsparse_direction_T3_S2_llNS_24const_host_device_scalarIT7_EEPKT2_PKS2_PKT4_S2_PKT5_llS5_PT6_ll16rocsparse_order_21rocsparse_index_base_b
; %bb.0:
	s_clause 0x2
	s_load_b128 s[8:11], s[0:1], 0x88
	s_load_b64 s[12:13], s[0:1], 0x28
	s_load_b64 s[24:25], s[0:1], 0x68
	s_mov_b32 s2, s15
	s_waitcnt lgkmcnt(0)
	s_bitcmp1_b32 s10, 0
	s_cselect_b32 s3, -1, 0
	s_delay_alu instid0(SALU_CYCLE_1)
	s_and_b32 vcc_lo, exec_lo, s3
	s_xor_b32 s3, s3, -1
	s_cbranch_vccnz .LBB58_2
; %bb.1:
	s_load_b32 s12, s[12:13], 0x0
.LBB58_2:
	s_and_not1_b32 vcc_lo, exec_lo, s3
	s_cbranch_vccnz .LBB58_4
; %bb.3:
	s_load_b32 s24, s[24:25], 0x0
.LBB58_4:
	s_waitcnt lgkmcnt(0)
	v_cmp_eq_f32_e64 s3, s12, 0
	v_cmp_eq_f32_e64 s4, s24, 1.0
	s_delay_alu instid0(VALU_DEP_1) | instskip(NEXT) | instid1(SALU_CYCLE_1)
	s_and_b32 s3, s3, s4
	s_and_b32 vcc_lo, exec_lo, s3
	s_cbranch_vccnz .LBB58_57
; %bb.5:
	s_clause 0x1
	s_load_b128 s[4:7], s[0:1], 0x8
	s_load_b64 s[10:11], s[0:1], 0x30
	s_ashr_i32 s15, s14, 31
	s_mov_b64 s[26:27], 0
	s_mov_b64 s[28:29], 0
	s_waitcnt lgkmcnt(0)
	v_cmp_ge_i64_e64 s3, s[14:15], s[4:5]
	v_cmp_lt_i64_e64 s13, s[14:15], s[4:5]
	s_delay_alu instid0(VALU_DEP_2)
	s_and_b32 vcc_lo, exec_lo, s3
	s_cbranch_vccnz .LBB58_7
; %bb.6:
	s_lshl_b64 s[4:5], s[14:15], 3
	s_delay_alu instid0(SALU_CYCLE_1)
	s_add_u32 s4, s10, s4
	s_addc_u32 s5, s11, s5
	s_load_b64 s[4:5], s[4:5], 0x0
	s_waitcnt lgkmcnt(0)
	s_sub_u32 s28, s4, s9
	s_subb_u32 s29, s5, 0
.LBB58_7:
	s_delay_alu instid0(VALU_DEP_1)
	s_and_not1_b32 vcc_lo, exec_lo, s13
	s_cbranch_vccnz .LBB58_9
; %bb.8:
	s_lshl_b64 s[4:5], s[14:15], 3
	s_delay_alu instid0(SALU_CYCLE_1)
	s_add_u32 s4, s10, s4
	s_addc_u32 s5, s11, s5
	s_load_b64 s[4:5], s[4:5], 0x8
	s_waitcnt lgkmcnt(0)
	s_sub_u32 s26, s4, s9
	s_subb_u32 s27, s5, 0
.LBB58_9:
	s_clause 0x1
	s_load_b64 s[30:31], s[0:1], 0x48
	s_load_b64 s[10:11], s[0:1], 0x70
	v_bfe_u32 v8, v0, 10, 10
	v_dual_mov_b32 v3, 0 :: v_dual_and_b32 v6, 0x3ff, v0
	s_mov_b32 s36, 0
	s_delay_alu instid0(VALU_DEP_2) | instskip(SKIP_1) | instid1(VALU_DEP_3)
	v_lshl_add_u32 v2, s2, 5, v8
	v_cmp_ge_i64_e64 s2, s[28:29], s[26:27]
	v_mov_b32_e32 v1, v3
	s_mov_b32 s37, s36
	v_dual_mov_b32 v7, v3 :: v_dual_mov_b32 v4, s36
	v_add_nc_u32_e32 v0, 16, v2
	s_delay_alu instid0(VALU_DEP_4) | instskip(SKIP_2) | instid1(VALU_DEP_3)
	s_and_b32 vcc_lo, exec_lo, s2
	v_cmp_gt_i64_e64 s3, s[6:7], v[2:3]
	v_mov_b32_e32 v5, s37
	v_cmp_gt_i64_e64 s4, s[6:7], v[0:1]
	s_waitcnt lgkmcnt(0)
	v_cmp_gt_i64_e64 s2, s[30:31], v[6:7]
	s_cbranch_vccnz .LBB58_37
; %bb.10:
	v_mad_u64_u32 v[4:5], null, v8, s30, 0
	s_clause 0x2
	s_load_b64 s[34:35], s[0:1], 0x0
	s_load_b128 s[16:19], s[0:1], 0x38
	s_load_b128 s[20:23], s[0:1], 0x50
	v_mad_u64_u32 v[10:11], null, v6, s30, 0
	v_dual_mov_b32 v9, v3 :: v_dual_lshlrev_b32 v14, 1, v6
	v_lshl_add_u32 v20, v6, 4, v8
	v_mad_u64_u32 v[12:13], null, v8, s31, v[5:6]
	s_delay_alu instid0(VALU_DEP_3)
	v_cmp_gt_i64_e32 vcc_lo, s[30:31], v[8:9]
	v_mov_b32_e32 v9, v11
	s_mul_i32 s5, s30, s31
	s_mul_hi_u32 s25, s30, s30
	v_lshl_add_u32 v23, v6, 6, 0x800
	s_add_i32 s25, s25, s5
	s_delay_alu instid0(VALU_DEP_4) | instskip(SKIP_2) | instid1(VALU_DEP_2)
	v_dual_mov_b32 v5, v12 :: v_dual_lshlrev_b32 v22, 1, v8
	v_mad_u64_u32 v[11:12], null, v6, s31, v[9:10]
	s_and_b32 s33, s2, vcc_lo
	v_lshlrev_b64 v[4:5], 1, v[4:5]
	s_waitcnt lgkmcnt(0)
	v_mad_u64_u32 v[12:13], null, v0, s22, 0
	s_add_i32 s25, s25, s5
	s_bitcmp1_b32 s34, 0
	v_add_co_u32 v16, s34, s20, v14
	v_add_co_u32 v15, vcc_lo, s18, v4
	v_add_co_ci_u32_e32 v18, vcc_lo, s19, v5, vcc_lo
	v_lshlrev_b64 v[4:5], 1, v[10:11]
	s_delay_alu instid0(VALU_DEP_3) | instskip(SKIP_1) | instid1(VALU_DEP_4)
	v_add_co_u32 v11, vcc_lo, v15, v14
	v_mad_u64_u32 v[9:10], null, v2, s22, 0
	v_add_co_ci_u32_e32 v21, vcc_lo, 0, v18, vcc_lo
	v_lshl_add_u32 v18, v20, 2, 0x800
	v_add_co_u32 v20, vcc_lo, s18, v4
	v_add_co_ci_u32_e32 v5, vcc_lo, s19, v5, vcc_lo
	v_mov_b32_e32 v4, v13
	v_mad_u64_u32 v[13:14], null, v2, s23, v[10:11]
	v_cmp_gt_i64_e64 s18, s[30:31], 0
	s_cselect_b32 s5, -1, 0
	s_delay_alu instid0(VALU_DEP_3)
	v_mad_u64_u32 v[14:15], null, v0, s23, v[4:5]
	v_add_co_u32 v4, vcc_lo, v20, v22
	s_cmp_eq_u32 s35, 0
	v_add_co_ci_u32_e32 v5, vcc_lo, 0, v5, vcc_lo
	v_dual_mov_b32 v10, v13 :: v_dual_lshlrev_b32 v19, 4, v8
	s_cselect_b32 vcc_lo, -1, 0
	s_delay_alu instid0(VALU_DEP_2)
	v_dual_mov_b32 v13, v14 :: v_dual_cndmask_b32 v20, v21, v5
	s_and_b32 s38, s3, s18
	s_and_b32 s39, s4, s18
	v_lshlrev_b32_e32 v22, 6, v8
	s_add_u32 s40, s30, -1
	s_addc_u32 s41, s31, -1
	v_cndmask_b32_e32 v21, v11, v4, vcc_lo
	s_and_b32 s18, s30, 7
	s_mov_b32 s19, s36
	v_mov_b32_e32 v4, s36
	v_lshlrev_b64 v[8:9], 1, v[9:10]
	v_lshlrev_b64 v[10:11], 1, v[2:3]
	;; [unrolled: 1-line block ×4, first 2 shown]
	v_cmp_gt_u64_e64 s40, s[40:41], 6
	v_add_co_ci_u32_e64 v17, null, s21, 0, s34
	v_add_lshl_u32 v19, v19, v6, 2
	s_and_b32 s35, s31, 0x7fffffff
	s_and_b32 s34, s30, -8
	v_dual_mov_b32 v5, s37 :: v_dual_add_nc_u32 v24, 0x400, v22
	s_cmp_lg_u64 s[18:19], 0
	s_mul_i32 s15, s30, s30
	s_cselect_b32 s41, -1, 0
	s_branch .LBB58_13
.LBB58_11:                              ;   in Loop: Header=BB58_13 Depth=1
	s_or_b32 exec_lo, exec_lo, s43
.LBB58_12:                              ;   in Loop: Header=BB58_13 Depth=1
	s_delay_alu instid0(SALU_CYCLE_1) | instskip(SKIP_2) | instid1(SALU_CYCLE_1)
	s_or_b32 exec_lo, exec_lo, s42
	s_add_u32 s28, s28, 1
	s_addc_u32 s29, s29, 0
	v_cmp_ge_i64_e64 s36, s[28:29], s[26:27]
	s_barrier
	buffer_gl0_inv
	s_and_b32 vcc_lo, exec_lo, s36
	s_cbranch_vccnz .LBB58_37
.LBB58_13:                              ; =>This Loop Header: Depth=1
                                        ;     Child Loop BB58_24 Depth 2
                                        ;     Child Loop BB58_28 Depth 2
	;; [unrolled: 1-line block ×4, first 2 shown]
	s_and_saveexec_b32 s36, s2
	s_cbranch_execz .LBB58_18
; %bb.14:                               ;   in Loop: Header=BB58_13 Depth=1
	s_lshl_b64 s[42:43], s[28:29], 3
	s_delay_alu instid0(SALU_CYCLE_1)
	s_add_u32 s42, s16, s42
	s_addc_u32 s43, s17, s43
	s_load_b64 s[42:43], s[42:43], 0x0
	s_waitcnt lgkmcnt(0)
	s_sub_u32 s37, s42, s9
	s_subb_u32 s42, s43, 0
	s_mul_i32 s43, s37, s31
	s_mul_hi_u32 s44, s37, s30
	s_mul_i32 s45, s42, s30
	s_add_i32 s43, s44, s43
	s_mul_i32 s42, s37, s30
	s_add_i32 s43, s43, s45
	v_add_co_u32 v27, s37, s42, v6
	s_delay_alu instid0(VALU_DEP_1) | instskip(SKIP_1) | instid1(VALU_DEP_2)
	v_add_co_ci_u32_e64 v28, null, s43, 0, s37
	s_lshl_b64 s[42:43], s[42:43], 1
	v_mul_lo_u32 v29, v27, s23
	v_mad_u64_u32 v[25:26], null, v27, s22, 0
	s_delay_alu instid0(VALU_DEP_3) | instskip(NEXT) | instid1(VALU_DEP_1)
	v_mul_lo_u32 v27, v28, s22
	v_add3_u32 v26, v26, v29, v27
	s_delay_alu instid0(VALU_DEP_1) | instskip(NEXT) | instid1(VALU_DEP_1)
	v_lshlrev_b64 v[25:26], 1, v[25:26]
	v_add_co_u32 v25, vcc_lo, s20, v25
	s_delay_alu instid0(VALU_DEP_2)
	v_add_co_ci_u32_e32 v26, vcc_lo, s21, v26, vcc_lo
	v_add_co_u32 v27, vcc_lo, v16, s42
	v_add_co_ci_u32_e32 v28, vcc_lo, s43, v17, vcc_lo
	s_and_saveexec_b32 s37, s3
	s_cbranch_execz .LBB58_16
; %bb.15:                               ;   in Loop: Header=BB58_13 Depth=1
	s_delay_alu instid0(VALU_DEP_2) | instskip(NEXT) | instid1(VALU_DEP_2)
	v_add_co_u32 v29, vcc_lo, v27, v8
	v_add_co_ci_u32_e32 v30, vcc_lo, v28, v9, vcc_lo
	v_add_co_u32 v31, vcc_lo, v25, v10
	v_add_co_ci_u32_e32 v32, vcc_lo, v26, v11, vcc_lo
	s_delay_alu instid0(VALU_DEP_2) | instskip(NEXT) | instid1(VALU_DEP_2)
	v_cndmask_b32_e64 v29, v31, v29, s5
	v_cndmask_b32_e64 v30, v32, v30, s5
	global_load_u16 v29, v[29:30], off
	s_waitcnt vmcnt(0)
	v_cvt_f32_f16_e32 v29, v29
	ds_store_b32 v19, v29
.LBB58_16:                              ;   in Loop: Header=BB58_13 Depth=1
	s_or_b32 exec_lo, exec_lo, s37
	s_delay_alu instid0(SALU_CYCLE_1)
	s_and_b32 exec_lo, exec_lo, s4
	s_cbranch_execz .LBB58_18
; %bb.17:                               ;   in Loop: Header=BB58_13 Depth=1
	v_add_co_u32 v27, vcc_lo, v27, v12
	v_add_co_ci_u32_e32 v28, vcc_lo, v28, v13, vcc_lo
	v_add_co_u32 v25, vcc_lo, v25, v14
	v_add_co_ci_u32_e32 v26, vcc_lo, v26, v15, vcc_lo
	s_delay_alu instid0(VALU_DEP_2) | instskip(NEXT) | instid1(VALU_DEP_2)
	v_cndmask_b32_e64 v25, v25, v27, s5
	v_cndmask_b32_e64 v26, v26, v28, s5
	global_load_u16 v25, v[25:26], off
	s_waitcnt vmcnt(0)
	v_cvt_f32_f16_e32 v25, v25
	ds_store_b32 v19, v25 offset:1024
.LBB58_18:                              ;   in Loop: Header=BB58_13 Depth=1
	s_or_b32 exec_lo, exec_lo, s36
	s_and_saveexec_b32 s36, s33
	s_cbranch_execz .LBB58_20
; %bb.19:                               ;   in Loop: Header=BB58_13 Depth=1
	s_mul_i32 s37, s15, s29
	s_mul_hi_u32 s42, s15, s28
	s_mul_i32 s43, s25, s28
	s_add_i32 s37, s42, s37
	s_mul_i32 s42, s15, s28
	s_add_i32 s43, s37, s43
	s_delay_alu instid0(SALU_CYCLE_1) | instskip(NEXT) | instid1(SALU_CYCLE_1)
	s_lshl_b64 s[42:43], s[42:43], 1
	v_add_co_u32 v25, vcc_lo, v21, s42
	v_add_co_ci_u32_e32 v26, vcc_lo, s43, v20, vcc_lo
	global_load_u16 v25, v[25:26], off
	s_waitcnt vmcnt(0)
	v_cvt_f32_f16_e32 v25, v25
	ds_store_b32 v18, v25
.LBB58_20:                              ;   in Loop: Header=BB58_13 Depth=1
	s_or_b32 exec_lo, exec_lo, s36
	s_waitcnt lgkmcnt(0)
	s_barrier
	buffer_gl0_inv
	s_and_saveexec_b32 s42, s2
	s_cbranch_execz .LBB58_12
; %bb.21:                               ;   in Loop: Header=BB58_13 Depth=1
	s_and_saveexec_b32 s43, s38
	s_cbranch_execz .LBB58_29
; %bb.22:                               ;   in Loop: Header=BB58_13 Depth=1
	s_and_not1_b32 vcc_lo, exec_lo, s40
	s_cbranch_vccnz .LBB58_26
; %bb.23:                               ;   in Loop: Header=BB58_13 Depth=1
	v_dual_mov_b32 v25, v23 :: v_dual_mov_b32 v26, v22
	s_mov_b64 s[36:37], 0
	.p2align	6
.LBB58_24:                              ;   Parent Loop BB58_13 Depth=1
                                        ; =>  This Inner Loop Header: Depth=2
	ds_load_b128 v[27:30], v26
	ds_load_b128 v[31:34], v25
	ds_load_b128 v[35:38], v25 offset:16
	ds_load_b128 v[39:42], v26 offset:16
	s_add_u32 s36, s36, 8
	v_add_nc_u32_e32 v26, 32, v26
	s_addc_u32 s37, s37, 0
	v_add_nc_u32_e32 v25, 32, v25
	s_cmp_lg_u64 s[34:35], s[36:37]
	s_waitcnt lgkmcnt(2)
	v_fma_f32 v4, v31, v27, v4
	s_delay_alu instid0(VALU_DEP_1) | instskip(NEXT) | instid1(VALU_DEP_1)
	v_fmac_f32_e32 v4, v32, v28
	v_fmac_f32_e32 v4, v33, v29
	s_delay_alu instid0(VALU_DEP_1) | instskip(SKIP_1) | instid1(VALU_DEP_1)
	v_fmac_f32_e32 v4, v34, v30
	s_waitcnt lgkmcnt(0)
	v_fmac_f32_e32 v4, v35, v39
	s_delay_alu instid0(VALU_DEP_1) | instskip(NEXT) | instid1(VALU_DEP_1)
	v_fmac_f32_e32 v4, v36, v40
	v_fmac_f32_e32 v4, v37, v41
	s_delay_alu instid0(VALU_DEP_1)
	v_fmac_f32_e32 v4, v38, v42
	s_cbranch_scc1 .LBB58_24
; %bb.25:                               ;   in Loop: Header=BB58_13 Depth=1
	s_mov_b64 s[36:37], s[34:35]
	s_and_not1_b32 vcc_lo, exec_lo, s41
	s_cbranch_vccz .LBB58_27
	s_branch .LBB58_29
.LBB58_26:                              ;   in Loop: Header=BB58_13 Depth=1
	s_mov_b64 s[36:37], 0
	s_and_not1_b32 vcc_lo, exec_lo, s41
	s_cbranch_vccnz .LBB58_29
.LBB58_27:                              ;   in Loop: Header=BB58_13 Depth=1
	s_lshl_b32 s36, s36, 2
	s_delay_alu instid0(SALU_CYCLE_1)
	v_add_nc_u32_e32 v25, s36, v22
	v_add_nc_u32_e32 v26, s36, v23
	s_mov_b64 s[36:37], s[18:19]
.LBB58_28:                              ;   Parent Loop BB58_13 Depth=1
                                        ; =>  This Inner Loop Header: Depth=2
	ds_load_b32 v27, v26
	ds_load_b32 v28, v25
	v_add_nc_u32_e32 v25, 4, v25
	v_add_nc_u32_e32 v26, 4, v26
	s_add_u32 s36, s36, -1
	s_addc_u32 s37, s37, -1
	s_delay_alu instid0(SALU_CYCLE_1)
	s_cmp_lg_u64 s[36:37], 0
	s_waitcnt lgkmcnt(0)
	v_fma_f32 v4, v27, v28, v4
	s_cbranch_scc1 .LBB58_28
.LBB58_29:                              ;   in Loop: Header=BB58_13 Depth=1
	s_or_b32 exec_lo, exec_lo, s43
	s_and_saveexec_b32 s43, s39
	s_cbranch_execz .LBB58_11
; %bb.30:                               ;   in Loop: Header=BB58_13 Depth=1
	s_and_not1_b32 vcc_lo, exec_lo, s40
	s_cbranch_vccnz .LBB58_34
; %bb.31:                               ;   in Loop: Header=BB58_13 Depth=1
	v_dual_mov_b32 v25, v23 :: v_dual_mov_b32 v26, v24
	s_mov_b64 s[36:37], 0
	.p2align	6
.LBB58_32:                              ;   Parent Loop BB58_13 Depth=1
                                        ; =>  This Inner Loop Header: Depth=2
	ds_load_b128 v[27:30], v26
	ds_load_b128 v[31:34], v25
	ds_load_b128 v[35:38], v25 offset:16
	ds_load_b128 v[39:42], v26 offset:16
	s_add_u32 s36, s36, 8
	v_add_nc_u32_e32 v25, 32, v25
	s_addc_u32 s37, s37, 0
	v_add_nc_u32_e32 v26, 32, v26
	s_cmp_lg_u64 s[34:35], s[36:37]
	s_waitcnt lgkmcnt(2)
	v_fma_f32 v5, v31, v27, v5
	s_delay_alu instid0(VALU_DEP_1) | instskip(NEXT) | instid1(VALU_DEP_1)
	v_fmac_f32_e32 v5, v32, v28
	v_fmac_f32_e32 v5, v33, v29
	s_delay_alu instid0(VALU_DEP_1) | instskip(SKIP_1) | instid1(VALU_DEP_1)
	v_fmac_f32_e32 v5, v34, v30
	s_waitcnt lgkmcnt(0)
	v_fmac_f32_e32 v5, v35, v39
	s_delay_alu instid0(VALU_DEP_1) | instskip(NEXT) | instid1(VALU_DEP_1)
	v_fmac_f32_e32 v5, v36, v40
	v_fmac_f32_e32 v5, v37, v41
	s_delay_alu instid0(VALU_DEP_1)
	v_fmac_f32_e32 v5, v38, v42
	s_cbranch_scc1 .LBB58_32
; %bb.33:                               ;   in Loop: Header=BB58_13 Depth=1
	s_mov_b64 s[36:37], s[34:35]
	s_and_not1_b32 vcc_lo, exec_lo, s41
	s_cbranch_vccz .LBB58_35
	s_branch .LBB58_11
.LBB58_34:                              ;   in Loop: Header=BB58_13 Depth=1
	s_mov_b64 s[36:37], 0
	s_and_not1_b32 vcc_lo, exec_lo, s41
	s_cbranch_vccnz .LBB58_11
.LBB58_35:                              ;   in Loop: Header=BB58_13 Depth=1
	s_lshl_b32 s36, s36, 2
	s_delay_alu instid0(SALU_CYCLE_1)
	v_add_nc_u32_e32 v25, s36, v24
	v_add_nc_u32_e32 v26, s36, v23
	s_mov_b64 s[36:37], s[18:19]
.LBB58_36:                              ;   Parent Loop BB58_13 Depth=1
                                        ; =>  This Inner Loop Header: Depth=2
	ds_load_b32 v27, v26
	ds_load_b32 v28, v25
	v_add_nc_u32_e32 v25, 4, v25
	v_add_nc_u32_e32 v26, 4, v26
	s_add_u32 s36, s36, -1
	s_addc_u32 s37, s37, -1
	s_delay_alu instid0(SALU_CYCLE_1)
	s_cmp_lg_u64 s[36:37], 0
	s_waitcnt lgkmcnt(0)
	v_fma_f32 v5, v27, v28, v5
	s_cbranch_scc1 .LBB58_36
	s_branch .LBB58_11
.LBB58_37:
	s_delay_alu instid0(VALU_DEP_1) | instskip(NEXT) | instid1(SALU_CYCLE_1)
	s_and_b32 s2, s13, s2
	s_and_saveexec_b32 s3, s2
	s_cbranch_execz .LBB58_57
; %bb.38:
	v_mad_u64_u32 v[8:9], null, s14, s30, v[6:7]
	s_load_b64 s[2:3], s[0:1], 0x78
	v_cmp_neq_f32_e64 s4, s24, 0
	s_cmp_lg_u32 s8, 1
	s_cselect_b32 s1, -1, 0
	s_delay_alu instid0(VALU_DEP_2) | instskip(NEXT) | instid1(VALU_DEP_1)
	v_mov_b32_e32 v6, v9
	v_mad_u64_u32 v[9:10], null, s14, s31, v[6:7]
	s_waitcnt lgkmcnt(0)
	v_mul_lo_u32 v10, v8, s3
	v_mad_u64_u32 v[6:7], null, v8, s2, 0
	s_delay_alu instid0(VALU_DEP_3) | instskip(NEXT) | instid1(VALU_DEP_1)
	v_mul_lo_u32 v11, v9, s2
	v_add3_u32 v7, v7, v10, v11
	v_lshlrev_b64 v[10:11], 2, v[8:9]
	s_delay_alu instid0(VALU_DEP_2) | instskip(NEXT) | instid1(VALU_DEP_1)
	v_lshlrev_b64 v[6:7], 2, v[6:7]
	v_add_co_u32 v8, s0, s10, v6
	s_delay_alu instid0(VALU_DEP_1) | instskip(NEXT) | instid1(VALU_DEP_4)
	v_add_co_ci_u32_e64 v9, s0, s11, v7, s0
	v_add_co_u32 v6, s0, s10, v10
	s_delay_alu instid0(VALU_DEP_1)
	v_add_co_ci_u32_e64 v7, s0, s11, v11, s0
	s_mov_b32 s0, exec_lo
	v_cmpx_gt_i64_e64 s[6:7], v[2:3]
	s_cbranch_execz .LBB58_50
; %bb.39:
	s_and_b32 vcc_lo, exec_lo, s4
	s_cbranch_vccz .LBB58_45
; %bb.40:
	s_and_b32 vcc_lo, exec_lo, s1
	s_mov_b32 s5, -1
	s_cbranch_vccz .LBB58_42
; %bb.41:
	v_lshlrev_b64 v[10:11], 2, v[2:3]
	v_mul_f32_e32 v13, s12, v4
	s_mov_b32 s5, 0
	s_delay_alu instid0(VALU_DEP_2) | instskip(NEXT) | instid1(VALU_DEP_3)
	v_add_co_u32 v10, vcc_lo, v8, v10
	v_add_co_ci_u32_e32 v11, vcc_lo, v9, v11, vcc_lo
	global_load_b32 v12, v[10:11], off
	s_waitcnt vmcnt(0)
	v_fmac_f32_e32 v13, s24, v12
	global_store_b32 v[10:11], v13, off
.LBB58_42:
	s_and_not1_b32 vcc_lo, exec_lo, s5
	s_cbranch_vccnz .LBB58_44
; %bb.43:
	v_mad_u64_u32 v[10:11], null, v2, s2, 0
	s_delay_alu instid0(VALU_DEP_1) | instskip(SKIP_1) | instid1(VALU_DEP_2)
	v_mad_u64_u32 v[12:13], null, v2, s3, v[11:12]
	v_mul_f32_e32 v13, s12, v4
	v_mov_b32_e32 v11, v12
	s_delay_alu instid0(VALU_DEP_1) | instskip(NEXT) | instid1(VALU_DEP_1)
	v_lshlrev_b64 v[10:11], 2, v[10:11]
	v_add_co_u32 v10, vcc_lo, v6, v10
	s_delay_alu instid0(VALU_DEP_2)
	v_add_co_ci_u32_e32 v11, vcc_lo, v7, v11, vcc_lo
	global_load_b32 v12, v[10:11], off
	s_waitcnt vmcnt(0)
	v_fmac_f32_e32 v13, s24, v12
	global_store_b32 v[10:11], v13, off
.LBB58_44:
	s_cbranch_execz .LBB58_46
	s_branch .LBB58_50
.LBB58_45:
.LBB58_46:
	v_mul_f32_e32 v4, s12, v4
	s_and_b32 vcc_lo, exec_lo, s1
	s_mov_b32 s5, -1
	s_cbranch_vccz .LBB58_48
; %bb.47:
	v_lshlrev_b64 v[10:11], 2, v[2:3]
	s_mov_b32 s5, 0
	s_delay_alu instid0(VALU_DEP_1) | instskip(NEXT) | instid1(VALU_DEP_2)
	v_add_co_u32 v10, vcc_lo, v8, v10
	v_add_co_ci_u32_e32 v11, vcc_lo, v9, v11, vcc_lo
	global_store_b32 v[10:11], v4, off
.LBB58_48:
	s_and_not1_b32 vcc_lo, exec_lo, s5
	s_cbranch_vccnz .LBB58_50
; %bb.49:
	v_mad_u64_u32 v[10:11], null, v2, s2, 0
	s_delay_alu instid0(VALU_DEP_1) | instskip(NEXT) | instid1(VALU_DEP_1)
	v_mov_b32_e32 v3, v11
	v_mad_u64_u32 v[11:12], null, v2, s3, v[3:4]
	s_delay_alu instid0(VALU_DEP_1) | instskip(NEXT) | instid1(VALU_DEP_1)
	v_lshlrev_b64 v[2:3], 2, v[10:11]
	v_add_co_u32 v2, vcc_lo, v6, v2
	s_delay_alu instid0(VALU_DEP_2)
	v_add_co_ci_u32_e32 v3, vcc_lo, v7, v3, vcc_lo
	global_store_b32 v[2:3], v4, off
.LBB58_50:
	s_or_b32 exec_lo, exec_lo, s0
	v_cmp_gt_i64_e32 vcc_lo, s[6:7], v[0:1]
	s_and_b32 exec_lo, exec_lo, vcc_lo
	s_cbranch_execz .LBB58_57
; %bb.51:
	v_cndmask_b32_e64 v2, 0, 1, s1
	s_and_not1_b32 vcc_lo, exec_lo, s4
	s_delay_alu instid0(VALU_DEP_1)
	v_cmp_ne_u32_e64 s0, 1, v2
	s_cbranch_vccnz .LBB58_58
; %bb.52:
	s_delay_alu instid0(VALU_DEP_1)
	s_and_b32 vcc_lo, exec_lo, s0
	s_mov_b32 s0, -1
	s_cbranch_vccnz .LBB58_54
; %bb.53:
	v_lshlrev_b64 v[2:3], 2, v[0:1]
	v_mul_f32_e32 v10, s12, v5
	s_mov_b32 s0, 0
	s_delay_alu instid0(VALU_DEP_2) | instskip(NEXT) | instid1(VALU_DEP_3)
	v_add_co_u32 v2, vcc_lo, v8, v2
	v_add_co_ci_u32_e32 v3, vcc_lo, v9, v3, vcc_lo
	global_load_b32 v4, v[2:3], off
	s_waitcnt vmcnt(0)
	v_fmac_f32_e32 v10, s24, v4
	global_store_b32 v[2:3], v10, off
.LBB58_54:
	s_and_not1_b32 vcc_lo, exec_lo, s0
	s_cbranch_vccnz .LBB58_56
; %bb.55:
	v_mad_u64_u32 v[2:3], null, v0, s2, 0
	s_delay_alu instid0(VALU_DEP_1) | instskip(NEXT) | instid1(VALU_DEP_1)
	v_mad_u64_u32 v[10:11], null, v0, s3, v[3:4]
	v_dual_mov_b32 v3, v10 :: v_dual_mul_f32 v10, s12, v5
	s_delay_alu instid0(VALU_DEP_1) | instskip(NEXT) | instid1(VALU_DEP_1)
	v_lshlrev_b64 v[2:3], 2, v[2:3]
	v_add_co_u32 v2, vcc_lo, v6, v2
	s_delay_alu instid0(VALU_DEP_2)
	v_add_co_ci_u32_e32 v3, vcc_lo, v7, v3, vcc_lo
	global_load_b32 v4, v[2:3], off
	s_waitcnt vmcnt(0)
	v_fmac_f32_e32 v10, s24, v4
	global_store_b32 v[2:3], v10, off
.LBB58_56:
	s_cbranch_execz .LBB58_59
.LBB58_57:
	s_nop 0
	s_sendmsg sendmsg(MSG_DEALLOC_VGPRS)
	s_endpgm
.LBB58_58:
.LBB58_59:
	v_mul_f32_e32 v2, s12, v5
	s_and_not1_b32 vcc_lo, exec_lo, s1
	s_mov_b32 s0, -1
	s_cbranch_vccnz .LBB58_61
; %bb.60:
	v_lshlrev_b64 v[3:4], 2, v[0:1]
	s_mov_b32 s0, 0
	s_delay_alu instid0(VALU_DEP_1) | instskip(NEXT) | instid1(VALU_DEP_2)
	v_add_co_u32 v3, vcc_lo, v8, v3
	v_add_co_ci_u32_e32 v4, vcc_lo, v9, v4, vcc_lo
	global_store_b32 v[3:4], v2, off
.LBB58_61:
	s_and_not1_b32 vcc_lo, exec_lo, s0
	s_cbranch_vccnz .LBB58_57
; %bb.62:
	v_mad_u64_u32 v[3:4], null, v0, s2, 0
	s_delay_alu instid0(VALU_DEP_1) | instskip(NEXT) | instid1(VALU_DEP_1)
	v_mov_b32_e32 v1, v4
	v_mad_u64_u32 v[4:5], null, v0, s3, v[1:2]
	s_delay_alu instid0(VALU_DEP_1) | instskip(NEXT) | instid1(VALU_DEP_1)
	v_lshlrev_b64 v[0:1], 2, v[3:4]
	v_add_co_u32 v0, vcc_lo, v6, v0
	s_delay_alu instid0(VALU_DEP_2)
	v_add_co_ci_u32_e32 v1, vcc_lo, v7, v1, vcc_lo
	global_store_b32 v[0:1], v2, off
	s_nop 0
	s_sendmsg sendmsg(MSG_DEALLOC_VGPRS)
	s_endpgm
	.section	.rodata,"a",@progbits
	.p2align	6, 0x0
	.amdhsa_kernel _ZN9rocsparseL31bsrmm_large_blockdim_kernel_extILj16ELj16ELj2EllDF16_DF16_ffEEvb20rocsparse_direction_T3_S2_llNS_24const_host_device_scalarIT7_EEPKT2_PKS2_PKT4_S2_PKT5_llS5_PT6_ll16rocsparse_order_21rocsparse_index_base_b
		.amdhsa_group_segment_fixed_size 3072
		.amdhsa_private_segment_fixed_size 0
		.amdhsa_kernarg_size 148
		.amdhsa_user_sgpr_count 14
		.amdhsa_user_sgpr_dispatch_ptr 0
		.amdhsa_user_sgpr_queue_ptr 0
		.amdhsa_user_sgpr_kernarg_segment_ptr 1
		.amdhsa_user_sgpr_dispatch_id 0
		.amdhsa_user_sgpr_private_segment_size 0
		.amdhsa_wavefront_size32 1
		.amdhsa_uses_dynamic_stack 0
		.amdhsa_enable_private_segment 0
		.amdhsa_system_sgpr_workgroup_id_x 1
		.amdhsa_system_sgpr_workgroup_id_y 1
		.amdhsa_system_sgpr_workgroup_id_z 0
		.amdhsa_system_sgpr_workgroup_info 0
		.amdhsa_system_vgpr_workitem_id 1
		.amdhsa_next_free_vgpr 43
		.amdhsa_next_free_sgpr 46
		.amdhsa_reserve_vcc 1
		.amdhsa_float_round_mode_32 0
		.amdhsa_float_round_mode_16_64 0
		.amdhsa_float_denorm_mode_32 3
		.amdhsa_float_denorm_mode_16_64 3
		.amdhsa_dx10_clamp 1
		.amdhsa_ieee_mode 1
		.amdhsa_fp16_overflow 0
		.amdhsa_workgroup_processor_mode 1
		.amdhsa_memory_ordered 1
		.amdhsa_forward_progress 0
		.amdhsa_shared_vgpr_count 0
		.amdhsa_exception_fp_ieee_invalid_op 0
		.amdhsa_exception_fp_denorm_src 0
		.amdhsa_exception_fp_ieee_div_zero 0
		.amdhsa_exception_fp_ieee_overflow 0
		.amdhsa_exception_fp_ieee_underflow 0
		.amdhsa_exception_fp_ieee_inexact 0
		.amdhsa_exception_int_div_zero 0
	.end_amdhsa_kernel
	.section	.text._ZN9rocsparseL31bsrmm_large_blockdim_kernel_extILj16ELj16ELj2EllDF16_DF16_ffEEvb20rocsparse_direction_T3_S2_llNS_24const_host_device_scalarIT7_EEPKT2_PKS2_PKT4_S2_PKT5_llS5_PT6_ll16rocsparse_order_21rocsparse_index_base_b,"axG",@progbits,_ZN9rocsparseL31bsrmm_large_blockdim_kernel_extILj16ELj16ELj2EllDF16_DF16_ffEEvb20rocsparse_direction_T3_S2_llNS_24const_host_device_scalarIT7_EEPKT2_PKS2_PKT4_S2_PKT5_llS5_PT6_ll16rocsparse_order_21rocsparse_index_base_b,comdat
.Lfunc_end58:
	.size	_ZN9rocsparseL31bsrmm_large_blockdim_kernel_extILj16ELj16ELj2EllDF16_DF16_ffEEvb20rocsparse_direction_T3_S2_llNS_24const_host_device_scalarIT7_EEPKT2_PKS2_PKT4_S2_PKT5_llS5_PT6_ll16rocsparse_order_21rocsparse_index_base_b, .Lfunc_end58-_ZN9rocsparseL31bsrmm_large_blockdim_kernel_extILj16ELj16ELj2EllDF16_DF16_ffEEvb20rocsparse_direction_T3_S2_llNS_24const_host_device_scalarIT7_EEPKT2_PKS2_PKT4_S2_PKT5_llS5_PT6_ll16rocsparse_order_21rocsparse_index_base_b
                                        ; -- End function
	.section	.AMDGPU.csdata,"",@progbits
; Kernel info:
; codeLenInByte = 2652
; NumSgprs: 48
; NumVgprs: 43
; ScratchSize: 0
; MemoryBound: 0
; FloatMode: 240
; IeeeMode: 1
; LDSByteSize: 3072 bytes/workgroup (compile time only)
; SGPRBlocks: 5
; VGPRBlocks: 5
; NumSGPRsForWavesPerEU: 48
; NumVGPRsForWavesPerEU: 43
; Occupancy: 16
; WaveLimiterHint : 1
; COMPUTE_PGM_RSRC2:SCRATCH_EN: 0
; COMPUTE_PGM_RSRC2:USER_SGPR: 14
; COMPUTE_PGM_RSRC2:TRAP_HANDLER: 0
; COMPUTE_PGM_RSRC2:TGID_X_EN: 1
; COMPUTE_PGM_RSRC2:TGID_Y_EN: 1
; COMPUTE_PGM_RSRC2:TGID_Z_EN: 0
; COMPUTE_PGM_RSRC2:TIDIG_COMP_CNT: 1
	.section	.text._ZN9rocsparseL31bsrmm_large_blockdim_kernel_extILj32ELj32ELj2EllDF16_DF16_ffEEvb20rocsparse_direction_T3_S2_llNS_24const_host_device_scalarIT7_EEPKT2_PKS2_PKT4_S2_PKT5_llS5_PT6_ll16rocsparse_order_21rocsparse_index_base_b,"axG",@progbits,_ZN9rocsparseL31bsrmm_large_blockdim_kernel_extILj32ELj32ELj2EllDF16_DF16_ffEEvb20rocsparse_direction_T3_S2_llNS_24const_host_device_scalarIT7_EEPKT2_PKS2_PKT4_S2_PKT5_llS5_PT6_ll16rocsparse_order_21rocsparse_index_base_b,comdat
	.globl	_ZN9rocsparseL31bsrmm_large_blockdim_kernel_extILj32ELj32ELj2EllDF16_DF16_ffEEvb20rocsparse_direction_T3_S2_llNS_24const_host_device_scalarIT7_EEPKT2_PKS2_PKT4_S2_PKT5_llS5_PT6_ll16rocsparse_order_21rocsparse_index_base_b ; -- Begin function _ZN9rocsparseL31bsrmm_large_blockdim_kernel_extILj32ELj32ELj2EllDF16_DF16_ffEEvb20rocsparse_direction_T3_S2_llNS_24const_host_device_scalarIT7_EEPKT2_PKS2_PKT4_S2_PKT5_llS5_PT6_ll16rocsparse_order_21rocsparse_index_base_b
	.p2align	8
	.type	_ZN9rocsparseL31bsrmm_large_blockdim_kernel_extILj32ELj32ELj2EllDF16_DF16_ffEEvb20rocsparse_direction_T3_S2_llNS_24const_host_device_scalarIT7_EEPKT2_PKS2_PKT4_S2_PKT5_llS5_PT6_ll16rocsparse_order_21rocsparse_index_base_b,@function
_ZN9rocsparseL31bsrmm_large_blockdim_kernel_extILj32ELj32ELj2EllDF16_DF16_ffEEvb20rocsparse_direction_T3_S2_llNS_24const_host_device_scalarIT7_EEPKT2_PKS2_PKT4_S2_PKT5_llS5_PT6_ll16rocsparse_order_21rocsparse_index_base_b: ; @_ZN9rocsparseL31bsrmm_large_blockdim_kernel_extILj32ELj32ELj2EllDF16_DF16_ffEEvb20rocsparse_direction_T3_S2_llNS_24const_host_device_scalarIT7_EEPKT2_PKS2_PKT4_S2_PKT5_llS5_PT6_ll16rocsparse_order_21rocsparse_index_base_b
; %bb.0:
	s_clause 0x2
	s_load_b128 s[8:11], s[0:1], 0x88
	s_load_b64 s[12:13], s[0:1], 0x28
	s_load_b64 s[24:25], s[0:1], 0x68
	s_mov_b32 s2, s15
	s_waitcnt lgkmcnt(0)
	s_bitcmp1_b32 s10, 0
	s_cselect_b32 s3, -1, 0
	s_delay_alu instid0(SALU_CYCLE_1)
	s_and_b32 vcc_lo, exec_lo, s3
	s_xor_b32 s3, s3, -1
	s_cbranch_vccnz .LBB59_2
; %bb.1:
	s_load_b32 s12, s[12:13], 0x0
.LBB59_2:
	s_and_not1_b32 vcc_lo, exec_lo, s3
	s_cbranch_vccnz .LBB59_4
; %bb.3:
	s_load_b32 s24, s[24:25], 0x0
.LBB59_4:
	s_waitcnt lgkmcnt(0)
	v_cmp_eq_f32_e64 s3, s12, 0
	v_cmp_eq_f32_e64 s4, s24, 1.0
	s_delay_alu instid0(VALU_DEP_1) | instskip(NEXT) | instid1(SALU_CYCLE_1)
	s_and_b32 s3, s3, s4
	s_and_b32 vcc_lo, exec_lo, s3
	s_cbranch_vccnz .LBB59_57
; %bb.5:
	s_clause 0x1
	s_load_b128 s[4:7], s[0:1], 0x8
	s_load_b64 s[10:11], s[0:1], 0x30
	s_ashr_i32 s15, s14, 31
	s_mov_b64 s[26:27], 0
	s_mov_b64 s[28:29], 0
	s_waitcnt lgkmcnt(0)
	v_cmp_ge_i64_e64 s3, s[14:15], s[4:5]
	v_cmp_lt_i64_e64 s13, s[14:15], s[4:5]
	s_delay_alu instid0(VALU_DEP_2)
	s_and_b32 vcc_lo, exec_lo, s3
	s_cbranch_vccnz .LBB59_7
; %bb.6:
	s_lshl_b64 s[4:5], s[14:15], 3
	s_delay_alu instid0(SALU_CYCLE_1)
	s_add_u32 s4, s10, s4
	s_addc_u32 s5, s11, s5
	s_load_b64 s[4:5], s[4:5], 0x0
	s_waitcnt lgkmcnt(0)
	s_sub_u32 s28, s4, s9
	s_subb_u32 s29, s5, 0
.LBB59_7:
	s_delay_alu instid0(VALU_DEP_1)
	s_and_not1_b32 vcc_lo, exec_lo, s13
	s_cbranch_vccnz .LBB59_9
; %bb.8:
	s_lshl_b64 s[4:5], s[14:15], 3
	s_delay_alu instid0(SALU_CYCLE_1)
	s_add_u32 s4, s10, s4
	s_addc_u32 s5, s11, s5
	s_load_b64 s[4:5], s[4:5], 0x8
	s_waitcnt lgkmcnt(0)
	s_sub_u32 s26, s4, s9
	s_subb_u32 s27, s5, 0
.LBB59_9:
	s_clause 0x1
	s_load_b64 s[30:31], s[0:1], 0x48
	s_load_b64 s[10:11], s[0:1], 0x70
	v_bfe_u32 v8, v0, 10, 10
	v_dual_mov_b32 v3, 0 :: v_dual_and_b32 v6, 0x3ff, v0
	s_mov_b32 s36, 0
	s_delay_alu instid0(VALU_DEP_2) | instskip(SKIP_1) | instid1(VALU_DEP_3)
	v_lshl_add_u32 v2, s2, 6, v8
	v_cmp_ge_i64_e64 s2, s[28:29], s[26:27]
	v_mov_b32_e32 v1, v3
	s_mov_b32 s37, s36
	v_dual_mov_b32 v7, v3 :: v_dual_mov_b32 v4, s36
	v_add_nc_u32_e32 v0, 32, v2
	s_delay_alu instid0(VALU_DEP_4) | instskip(SKIP_2) | instid1(VALU_DEP_3)
	s_and_b32 vcc_lo, exec_lo, s2
	v_cmp_gt_i64_e64 s3, s[6:7], v[2:3]
	v_mov_b32_e32 v5, s37
	v_cmp_gt_i64_e64 s4, s[6:7], v[0:1]
	s_waitcnt lgkmcnt(0)
	v_cmp_gt_i64_e64 s2, s[30:31], v[6:7]
	s_cbranch_vccnz .LBB59_37
; %bb.10:
	v_mad_u64_u32 v[4:5], null, v8, s30, 0
	s_clause 0x2
	s_load_b64 s[34:35], s[0:1], 0x0
	s_load_b128 s[16:19], s[0:1], 0x38
	s_load_b128 s[20:23], s[0:1], 0x50
	v_mad_u64_u32 v[10:11], null, v6, s30, 0
	v_dual_mov_b32 v9, v3 :: v_dual_lshlrev_b32 v14, 1, v6
	v_lshl_add_u32 v20, v6, 5, v8
	v_mad_u64_u32 v[12:13], null, v8, s31, v[5:6]
	s_delay_alu instid0(VALU_DEP_3)
	v_cmp_gt_i64_e32 vcc_lo, s[30:31], v[8:9]
	v_mov_b32_e32 v9, v11
	s_mul_i32 s5, s30, s31
	s_mul_hi_u32 s25, s30, s30
	v_lshl_add_u32 v23, v6, 7, 0x2000
	s_add_i32 s25, s25, s5
	s_delay_alu instid0(VALU_DEP_4) | instskip(SKIP_2) | instid1(VALU_DEP_2)
	v_dual_mov_b32 v5, v12 :: v_dual_lshlrev_b32 v22, 1, v8
	v_mad_u64_u32 v[11:12], null, v6, s31, v[9:10]
	s_and_b32 s33, s2, vcc_lo
	v_lshlrev_b64 v[4:5], 1, v[4:5]
	s_waitcnt lgkmcnt(0)
	v_mad_u64_u32 v[12:13], null, v0, s22, 0
	s_add_i32 s25, s25, s5
	s_bitcmp1_b32 s34, 0
	v_add_co_u32 v16, s34, s20, v14
	v_add_co_u32 v15, vcc_lo, s18, v4
	v_add_co_ci_u32_e32 v18, vcc_lo, s19, v5, vcc_lo
	v_lshlrev_b64 v[4:5], 1, v[10:11]
	s_delay_alu instid0(VALU_DEP_3) | instskip(SKIP_1) | instid1(VALU_DEP_4)
	v_add_co_u32 v11, vcc_lo, v15, v14
	v_mad_u64_u32 v[9:10], null, v2, s22, 0
	v_add_co_ci_u32_e32 v21, vcc_lo, 0, v18, vcc_lo
	v_lshl_add_u32 v18, v20, 2, 0x2000
	v_add_co_u32 v20, vcc_lo, s18, v4
	v_add_co_ci_u32_e32 v5, vcc_lo, s19, v5, vcc_lo
	v_mov_b32_e32 v4, v13
	v_mad_u64_u32 v[13:14], null, v2, s23, v[10:11]
	v_cmp_gt_i64_e64 s18, s[30:31], 0
	s_cselect_b32 s5, -1, 0
	s_delay_alu instid0(VALU_DEP_3)
	v_mad_u64_u32 v[14:15], null, v0, s23, v[4:5]
	v_add_co_u32 v4, vcc_lo, v20, v22
	s_cmp_eq_u32 s35, 0
	v_add_co_ci_u32_e32 v5, vcc_lo, 0, v5, vcc_lo
	v_dual_mov_b32 v10, v13 :: v_dual_lshlrev_b32 v19, 5, v8
	s_cselect_b32 vcc_lo, -1, 0
	s_delay_alu instid0(VALU_DEP_2)
	v_dual_mov_b32 v13, v14 :: v_dual_cndmask_b32 v20, v21, v5
	s_and_b32 s38, s3, s18
	s_and_b32 s39, s4, s18
	v_lshlrev_b32_e32 v22, 7, v8
	s_add_u32 s40, s30, -1
	s_addc_u32 s41, s31, -1
	v_cndmask_b32_e32 v21, v11, v4, vcc_lo
	s_and_b32 s18, s30, 7
	s_mov_b32 s19, s36
	v_mov_b32_e32 v4, s36
	v_lshlrev_b64 v[8:9], 1, v[9:10]
	v_lshlrev_b64 v[10:11], 1, v[2:3]
	;; [unrolled: 1-line block ×4, first 2 shown]
	v_cmp_gt_u64_e64 s40, s[40:41], 6
	v_add_co_ci_u32_e64 v17, null, s21, 0, s34
	v_add_lshl_u32 v19, v19, v6, 2
	s_and_b32 s35, s31, 0x7fffffff
	s_and_b32 s34, s30, -8
	v_dual_mov_b32 v5, s37 :: v_dual_add_nc_u32 v24, 0x1000, v22
	s_cmp_lg_u64 s[18:19], 0
	s_mul_i32 s15, s30, s30
	s_cselect_b32 s41, -1, 0
	s_branch .LBB59_13
.LBB59_11:                              ;   in Loop: Header=BB59_13 Depth=1
	s_or_b32 exec_lo, exec_lo, s43
.LBB59_12:                              ;   in Loop: Header=BB59_13 Depth=1
	s_delay_alu instid0(SALU_CYCLE_1) | instskip(SKIP_2) | instid1(SALU_CYCLE_1)
	s_or_b32 exec_lo, exec_lo, s42
	s_add_u32 s28, s28, 1
	s_addc_u32 s29, s29, 0
	v_cmp_ge_i64_e64 s36, s[28:29], s[26:27]
	s_barrier
	buffer_gl0_inv
	s_and_b32 vcc_lo, exec_lo, s36
	s_cbranch_vccnz .LBB59_37
.LBB59_13:                              ; =>This Loop Header: Depth=1
                                        ;     Child Loop BB59_24 Depth 2
                                        ;     Child Loop BB59_28 Depth 2
	;; [unrolled: 1-line block ×4, first 2 shown]
	s_and_saveexec_b32 s36, s2
	s_cbranch_execz .LBB59_18
; %bb.14:                               ;   in Loop: Header=BB59_13 Depth=1
	s_lshl_b64 s[42:43], s[28:29], 3
	s_delay_alu instid0(SALU_CYCLE_1)
	s_add_u32 s42, s16, s42
	s_addc_u32 s43, s17, s43
	s_load_b64 s[42:43], s[42:43], 0x0
	s_waitcnt lgkmcnt(0)
	s_sub_u32 s37, s42, s9
	s_subb_u32 s42, s43, 0
	s_mul_i32 s43, s37, s31
	s_mul_hi_u32 s44, s37, s30
	s_mul_i32 s45, s42, s30
	s_add_i32 s43, s44, s43
	s_mul_i32 s42, s37, s30
	s_add_i32 s43, s43, s45
	v_add_co_u32 v27, s37, s42, v6
	s_delay_alu instid0(VALU_DEP_1) | instskip(SKIP_1) | instid1(VALU_DEP_2)
	v_add_co_ci_u32_e64 v28, null, s43, 0, s37
	s_lshl_b64 s[42:43], s[42:43], 1
	v_mul_lo_u32 v29, v27, s23
	v_mad_u64_u32 v[25:26], null, v27, s22, 0
	s_delay_alu instid0(VALU_DEP_3) | instskip(NEXT) | instid1(VALU_DEP_1)
	v_mul_lo_u32 v27, v28, s22
	v_add3_u32 v26, v26, v29, v27
	s_delay_alu instid0(VALU_DEP_1) | instskip(NEXT) | instid1(VALU_DEP_1)
	v_lshlrev_b64 v[25:26], 1, v[25:26]
	v_add_co_u32 v25, vcc_lo, s20, v25
	s_delay_alu instid0(VALU_DEP_2)
	v_add_co_ci_u32_e32 v26, vcc_lo, s21, v26, vcc_lo
	v_add_co_u32 v27, vcc_lo, v16, s42
	v_add_co_ci_u32_e32 v28, vcc_lo, s43, v17, vcc_lo
	s_and_saveexec_b32 s37, s3
	s_cbranch_execz .LBB59_16
; %bb.15:                               ;   in Loop: Header=BB59_13 Depth=1
	s_delay_alu instid0(VALU_DEP_2) | instskip(NEXT) | instid1(VALU_DEP_2)
	v_add_co_u32 v29, vcc_lo, v27, v8
	v_add_co_ci_u32_e32 v30, vcc_lo, v28, v9, vcc_lo
	v_add_co_u32 v31, vcc_lo, v25, v10
	v_add_co_ci_u32_e32 v32, vcc_lo, v26, v11, vcc_lo
	s_delay_alu instid0(VALU_DEP_2) | instskip(NEXT) | instid1(VALU_DEP_2)
	v_cndmask_b32_e64 v29, v31, v29, s5
	v_cndmask_b32_e64 v30, v32, v30, s5
	global_load_u16 v29, v[29:30], off
	s_waitcnt vmcnt(0)
	v_cvt_f32_f16_e32 v29, v29
	ds_store_b32 v19, v29
.LBB59_16:                              ;   in Loop: Header=BB59_13 Depth=1
	s_or_b32 exec_lo, exec_lo, s37
	s_delay_alu instid0(SALU_CYCLE_1)
	s_and_b32 exec_lo, exec_lo, s4
	s_cbranch_execz .LBB59_18
; %bb.17:                               ;   in Loop: Header=BB59_13 Depth=1
	v_add_co_u32 v27, vcc_lo, v27, v12
	v_add_co_ci_u32_e32 v28, vcc_lo, v28, v13, vcc_lo
	v_add_co_u32 v25, vcc_lo, v25, v14
	v_add_co_ci_u32_e32 v26, vcc_lo, v26, v15, vcc_lo
	s_delay_alu instid0(VALU_DEP_2) | instskip(NEXT) | instid1(VALU_DEP_2)
	v_cndmask_b32_e64 v25, v25, v27, s5
	v_cndmask_b32_e64 v26, v26, v28, s5
	global_load_u16 v25, v[25:26], off
	s_waitcnt vmcnt(0)
	v_cvt_f32_f16_e32 v25, v25
	ds_store_b32 v19, v25 offset:4096
.LBB59_18:                              ;   in Loop: Header=BB59_13 Depth=1
	s_or_b32 exec_lo, exec_lo, s36
	s_and_saveexec_b32 s36, s33
	s_cbranch_execz .LBB59_20
; %bb.19:                               ;   in Loop: Header=BB59_13 Depth=1
	s_mul_i32 s37, s15, s29
	s_mul_hi_u32 s42, s15, s28
	s_mul_i32 s43, s25, s28
	s_add_i32 s37, s42, s37
	s_mul_i32 s42, s15, s28
	s_add_i32 s43, s37, s43
	s_delay_alu instid0(SALU_CYCLE_1) | instskip(NEXT) | instid1(SALU_CYCLE_1)
	s_lshl_b64 s[42:43], s[42:43], 1
	v_add_co_u32 v25, vcc_lo, v21, s42
	v_add_co_ci_u32_e32 v26, vcc_lo, s43, v20, vcc_lo
	global_load_u16 v25, v[25:26], off
	s_waitcnt vmcnt(0)
	v_cvt_f32_f16_e32 v25, v25
	ds_store_b32 v18, v25
.LBB59_20:                              ;   in Loop: Header=BB59_13 Depth=1
	s_or_b32 exec_lo, exec_lo, s36
	s_waitcnt lgkmcnt(0)
	s_barrier
	buffer_gl0_inv
	s_and_saveexec_b32 s42, s2
	s_cbranch_execz .LBB59_12
; %bb.21:                               ;   in Loop: Header=BB59_13 Depth=1
	s_and_saveexec_b32 s43, s38
	s_cbranch_execz .LBB59_29
; %bb.22:                               ;   in Loop: Header=BB59_13 Depth=1
	s_and_not1_b32 vcc_lo, exec_lo, s40
	s_cbranch_vccnz .LBB59_26
; %bb.23:                               ;   in Loop: Header=BB59_13 Depth=1
	v_dual_mov_b32 v25, v23 :: v_dual_mov_b32 v26, v22
	s_mov_b64 s[36:37], 0
	.p2align	6
.LBB59_24:                              ;   Parent Loop BB59_13 Depth=1
                                        ; =>  This Inner Loop Header: Depth=2
	ds_load_b128 v[27:30], v26
	ds_load_b128 v[31:34], v25
	ds_load_b128 v[35:38], v25 offset:16
	ds_load_b128 v[39:42], v26 offset:16
	s_add_u32 s36, s36, 8
	v_add_nc_u32_e32 v26, 32, v26
	s_addc_u32 s37, s37, 0
	v_add_nc_u32_e32 v25, 32, v25
	s_cmp_lg_u64 s[34:35], s[36:37]
	s_waitcnt lgkmcnt(2)
	v_fma_f32 v4, v31, v27, v4
	s_delay_alu instid0(VALU_DEP_1) | instskip(NEXT) | instid1(VALU_DEP_1)
	v_fmac_f32_e32 v4, v32, v28
	v_fmac_f32_e32 v4, v33, v29
	s_delay_alu instid0(VALU_DEP_1) | instskip(SKIP_1) | instid1(VALU_DEP_1)
	v_fmac_f32_e32 v4, v34, v30
	s_waitcnt lgkmcnt(0)
	v_fmac_f32_e32 v4, v35, v39
	s_delay_alu instid0(VALU_DEP_1) | instskip(NEXT) | instid1(VALU_DEP_1)
	v_fmac_f32_e32 v4, v36, v40
	v_fmac_f32_e32 v4, v37, v41
	s_delay_alu instid0(VALU_DEP_1)
	v_fmac_f32_e32 v4, v38, v42
	s_cbranch_scc1 .LBB59_24
; %bb.25:                               ;   in Loop: Header=BB59_13 Depth=1
	s_mov_b64 s[36:37], s[34:35]
	s_and_not1_b32 vcc_lo, exec_lo, s41
	s_cbranch_vccz .LBB59_27
	s_branch .LBB59_29
.LBB59_26:                              ;   in Loop: Header=BB59_13 Depth=1
	s_mov_b64 s[36:37], 0
	s_and_not1_b32 vcc_lo, exec_lo, s41
	s_cbranch_vccnz .LBB59_29
.LBB59_27:                              ;   in Loop: Header=BB59_13 Depth=1
	s_lshl_b32 s36, s36, 2
	s_delay_alu instid0(SALU_CYCLE_1)
	v_add_nc_u32_e32 v25, s36, v22
	v_add_nc_u32_e32 v26, s36, v23
	s_mov_b64 s[36:37], s[18:19]
.LBB59_28:                              ;   Parent Loop BB59_13 Depth=1
                                        ; =>  This Inner Loop Header: Depth=2
	ds_load_b32 v27, v26
	ds_load_b32 v28, v25
	v_add_nc_u32_e32 v25, 4, v25
	v_add_nc_u32_e32 v26, 4, v26
	s_add_u32 s36, s36, -1
	s_addc_u32 s37, s37, -1
	s_delay_alu instid0(SALU_CYCLE_1)
	s_cmp_lg_u64 s[36:37], 0
	s_waitcnt lgkmcnt(0)
	v_fma_f32 v4, v27, v28, v4
	s_cbranch_scc1 .LBB59_28
.LBB59_29:                              ;   in Loop: Header=BB59_13 Depth=1
	s_or_b32 exec_lo, exec_lo, s43
	s_and_saveexec_b32 s43, s39
	s_cbranch_execz .LBB59_11
; %bb.30:                               ;   in Loop: Header=BB59_13 Depth=1
	s_and_not1_b32 vcc_lo, exec_lo, s40
	s_cbranch_vccnz .LBB59_34
; %bb.31:                               ;   in Loop: Header=BB59_13 Depth=1
	v_dual_mov_b32 v25, v23 :: v_dual_mov_b32 v26, v24
	s_mov_b64 s[36:37], 0
	.p2align	6
.LBB59_32:                              ;   Parent Loop BB59_13 Depth=1
                                        ; =>  This Inner Loop Header: Depth=2
	ds_load_b128 v[27:30], v26
	ds_load_b128 v[31:34], v25
	ds_load_b128 v[35:38], v25 offset:16
	ds_load_b128 v[39:42], v26 offset:16
	s_add_u32 s36, s36, 8
	v_add_nc_u32_e32 v25, 32, v25
	s_addc_u32 s37, s37, 0
	v_add_nc_u32_e32 v26, 32, v26
	s_cmp_lg_u64 s[34:35], s[36:37]
	s_waitcnt lgkmcnt(2)
	v_fma_f32 v5, v31, v27, v5
	s_delay_alu instid0(VALU_DEP_1) | instskip(NEXT) | instid1(VALU_DEP_1)
	v_fmac_f32_e32 v5, v32, v28
	v_fmac_f32_e32 v5, v33, v29
	s_delay_alu instid0(VALU_DEP_1) | instskip(SKIP_1) | instid1(VALU_DEP_1)
	v_fmac_f32_e32 v5, v34, v30
	s_waitcnt lgkmcnt(0)
	v_fmac_f32_e32 v5, v35, v39
	s_delay_alu instid0(VALU_DEP_1) | instskip(NEXT) | instid1(VALU_DEP_1)
	v_fmac_f32_e32 v5, v36, v40
	v_fmac_f32_e32 v5, v37, v41
	s_delay_alu instid0(VALU_DEP_1)
	v_fmac_f32_e32 v5, v38, v42
	s_cbranch_scc1 .LBB59_32
; %bb.33:                               ;   in Loop: Header=BB59_13 Depth=1
	s_mov_b64 s[36:37], s[34:35]
	s_and_not1_b32 vcc_lo, exec_lo, s41
	s_cbranch_vccz .LBB59_35
	s_branch .LBB59_11
.LBB59_34:                              ;   in Loop: Header=BB59_13 Depth=1
	s_mov_b64 s[36:37], 0
	s_and_not1_b32 vcc_lo, exec_lo, s41
	s_cbranch_vccnz .LBB59_11
.LBB59_35:                              ;   in Loop: Header=BB59_13 Depth=1
	s_lshl_b32 s36, s36, 2
	s_delay_alu instid0(SALU_CYCLE_1)
	v_add_nc_u32_e32 v25, s36, v24
	v_add_nc_u32_e32 v26, s36, v23
	s_mov_b64 s[36:37], s[18:19]
.LBB59_36:                              ;   Parent Loop BB59_13 Depth=1
                                        ; =>  This Inner Loop Header: Depth=2
	ds_load_b32 v27, v26
	ds_load_b32 v28, v25
	v_add_nc_u32_e32 v25, 4, v25
	v_add_nc_u32_e32 v26, 4, v26
	s_add_u32 s36, s36, -1
	s_addc_u32 s37, s37, -1
	s_delay_alu instid0(SALU_CYCLE_1)
	s_cmp_lg_u64 s[36:37], 0
	s_waitcnt lgkmcnt(0)
	v_fma_f32 v5, v27, v28, v5
	s_cbranch_scc1 .LBB59_36
	s_branch .LBB59_11
.LBB59_37:
	s_delay_alu instid0(VALU_DEP_1) | instskip(NEXT) | instid1(SALU_CYCLE_1)
	s_and_b32 s2, s13, s2
	s_and_saveexec_b32 s3, s2
	s_cbranch_execz .LBB59_57
; %bb.38:
	v_mad_u64_u32 v[8:9], null, s14, s30, v[6:7]
	s_load_b64 s[2:3], s[0:1], 0x78
	v_cmp_neq_f32_e64 s4, s24, 0
	s_cmp_lg_u32 s8, 1
	s_cselect_b32 s1, -1, 0
	s_delay_alu instid0(VALU_DEP_2) | instskip(NEXT) | instid1(VALU_DEP_1)
	v_mov_b32_e32 v6, v9
	v_mad_u64_u32 v[9:10], null, s14, s31, v[6:7]
	s_waitcnt lgkmcnt(0)
	v_mul_lo_u32 v10, v8, s3
	v_mad_u64_u32 v[6:7], null, v8, s2, 0
	s_delay_alu instid0(VALU_DEP_3) | instskip(NEXT) | instid1(VALU_DEP_1)
	v_mul_lo_u32 v11, v9, s2
	v_add3_u32 v7, v7, v10, v11
	v_lshlrev_b64 v[10:11], 2, v[8:9]
	s_delay_alu instid0(VALU_DEP_2) | instskip(NEXT) | instid1(VALU_DEP_1)
	v_lshlrev_b64 v[6:7], 2, v[6:7]
	v_add_co_u32 v8, s0, s10, v6
	s_delay_alu instid0(VALU_DEP_1) | instskip(NEXT) | instid1(VALU_DEP_4)
	v_add_co_ci_u32_e64 v9, s0, s11, v7, s0
	v_add_co_u32 v6, s0, s10, v10
	s_delay_alu instid0(VALU_DEP_1)
	v_add_co_ci_u32_e64 v7, s0, s11, v11, s0
	s_mov_b32 s0, exec_lo
	v_cmpx_gt_i64_e64 s[6:7], v[2:3]
	s_cbranch_execz .LBB59_50
; %bb.39:
	s_and_b32 vcc_lo, exec_lo, s4
	s_cbranch_vccz .LBB59_45
; %bb.40:
	s_and_b32 vcc_lo, exec_lo, s1
	s_mov_b32 s5, -1
	s_cbranch_vccz .LBB59_42
; %bb.41:
	v_lshlrev_b64 v[10:11], 2, v[2:3]
	v_mul_f32_e32 v13, s12, v4
	s_mov_b32 s5, 0
	s_delay_alu instid0(VALU_DEP_2) | instskip(NEXT) | instid1(VALU_DEP_3)
	v_add_co_u32 v10, vcc_lo, v8, v10
	v_add_co_ci_u32_e32 v11, vcc_lo, v9, v11, vcc_lo
	global_load_b32 v12, v[10:11], off
	s_waitcnt vmcnt(0)
	v_fmac_f32_e32 v13, s24, v12
	global_store_b32 v[10:11], v13, off
.LBB59_42:
	s_and_not1_b32 vcc_lo, exec_lo, s5
	s_cbranch_vccnz .LBB59_44
; %bb.43:
	v_mad_u64_u32 v[10:11], null, v2, s2, 0
	s_delay_alu instid0(VALU_DEP_1) | instskip(SKIP_1) | instid1(VALU_DEP_2)
	v_mad_u64_u32 v[12:13], null, v2, s3, v[11:12]
	v_mul_f32_e32 v13, s12, v4
	v_mov_b32_e32 v11, v12
	s_delay_alu instid0(VALU_DEP_1) | instskip(NEXT) | instid1(VALU_DEP_1)
	v_lshlrev_b64 v[10:11], 2, v[10:11]
	v_add_co_u32 v10, vcc_lo, v6, v10
	s_delay_alu instid0(VALU_DEP_2)
	v_add_co_ci_u32_e32 v11, vcc_lo, v7, v11, vcc_lo
	global_load_b32 v12, v[10:11], off
	s_waitcnt vmcnt(0)
	v_fmac_f32_e32 v13, s24, v12
	global_store_b32 v[10:11], v13, off
.LBB59_44:
	s_cbranch_execz .LBB59_46
	s_branch .LBB59_50
.LBB59_45:
.LBB59_46:
	v_mul_f32_e32 v4, s12, v4
	s_and_b32 vcc_lo, exec_lo, s1
	s_mov_b32 s5, -1
	s_cbranch_vccz .LBB59_48
; %bb.47:
	v_lshlrev_b64 v[10:11], 2, v[2:3]
	s_mov_b32 s5, 0
	s_delay_alu instid0(VALU_DEP_1) | instskip(NEXT) | instid1(VALU_DEP_2)
	v_add_co_u32 v10, vcc_lo, v8, v10
	v_add_co_ci_u32_e32 v11, vcc_lo, v9, v11, vcc_lo
	global_store_b32 v[10:11], v4, off
.LBB59_48:
	s_and_not1_b32 vcc_lo, exec_lo, s5
	s_cbranch_vccnz .LBB59_50
; %bb.49:
	v_mad_u64_u32 v[10:11], null, v2, s2, 0
	s_delay_alu instid0(VALU_DEP_1) | instskip(NEXT) | instid1(VALU_DEP_1)
	v_mov_b32_e32 v3, v11
	v_mad_u64_u32 v[11:12], null, v2, s3, v[3:4]
	s_delay_alu instid0(VALU_DEP_1) | instskip(NEXT) | instid1(VALU_DEP_1)
	v_lshlrev_b64 v[2:3], 2, v[10:11]
	v_add_co_u32 v2, vcc_lo, v6, v2
	s_delay_alu instid0(VALU_DEP_2)
	v_add_co_ci_u32_e32 v3, vcc_lo, v7, v3, vcc_lo
	global_store_b32 v[2:3], v4, off
.LBB59_50:
	s_or_b32 exec_lo, exec_lo, s0
	v_cmp_gt_i64_e32 vcc_lo, s[6:7], v[0:1]
	s_and_b32 exec_lo, exec_lo, vcc_lo
	s_cbranch_execz .LBB59_57
; %bb.51:
	v_cndmask_b32_e64 v2, 0, 1, s1
	s_and_not1_b32 vcc_lo, exec_lo, s4
	s_delay_alu instid0(VALU_DEP_1)
	v_cmp_ne_u32_e64 s0, 1, v2
	s_cbranch_vccnz .LBB59_58
; %bb.52:
	s_delay_alu instid0(VALU_DEP_1)
	s_and_b32 vcc_lo, exec_lo, s0
	s_mov_b32 s0, -1
	s_cbranch_vccnz .LBB59_54
; %bb.53:
	v_lshlrev_b64 v[2:3], 2, v[0:1]
	v_mul_f32_e32 v10, s12, v5
	s_mov_b32 s0, 0
	s_delay_alu instid0(VALU_DEP_2) | instskip(NEXT) | instid1(VALU_DEP_3)
	v_add_co_u32 v2, vcc_lo, v8, v2
	v_add_co_ci_u32_e32 v3, vcc_lo, v9, v3, vcc_lo
	global_load_b32 v4, v[2:3], off
	s_waitcnt vmcnt(0)
	v_fmac_f32_e32 v10, s24, v4
	global_store_b32 v[2:3], v10, off
.LBB59_54:
	s_and_not1_b32 vcc_lo, exec_lo, s0
	s_cbranch_vccnz .LBB59_56
; %bb.55:
	v_mad_u64_u32 v[2:3], null, v0, s2, 0
	s_delay_alu instid0(VALU_DEP_1) | instskip(NEXT) | instid1(VALU_DEP_1)
	v_mad_u64_u32 v[10:11], null, v0, s3, v[3:4]
	v_dual_mov_b32 v3, v10 :: v_dual_mul_f32 v10, s12, v5
	s_delay_alu instid0(VALU_DEP_1) | instskip(NEXT) | instid1(VALU_DEP_1)
	v_lshlrev_b64 v[2:3], 2, v[2:3]
	v_add_co_u32 v2, vcc_lo, v6, v2
	s_delay_alu instid0(VALU_DEP_2)
	v_add_co_ci_u32_e32 v3, vcc_lo, v7, v3, vcc_lo
	global_load_b32 v4, v[2:3], off
	s_waitcnt vmcnt(0)
	v_fmac_f32_e32 v10, s24, v4
	global_store_b32 v[2:3], v10, off
.LBB59_56:
	s_cbranch_execz .LBB59_59
.LBB59_57:
	s_nop 0
	s_sendmsg sendmsg(MSG_DEALLOC_VGPRS)
	s_endpgm
.LBB59_58:
.LBB59_59:
	v_mul_f32_e32 v2, s12, v5
	s_and_not1_b32 vcc_lo, exec_lo, s1
	s_mov_b32 s0, -1
	s_cbranch_vccnz .LBB59_61
; %bb.60:
	v_lshlrev_b64 v[3:4], 2, v[0:1]
	s_mov_b32 s0, 0
	s_delay_alu instid0(VALU_DEP_1) | instskip(NEXT) | instid1(VALU_DEP_2)
	v_add_co_u32 v3, vcc_lo, v8, v3
	v_add_co_ci_u32_e32 v4, vcc_lo, v9, v4, vcc_lo
	global_store_b32 v[3:4], v2, off
.LBB59_61:
	s_and_not1_b32 vcc_lo, exec_lo, s0
	s_cbranch_vccnz .LBB59_57
; %bb.62:
	v_mad_u64_u32 v[3:4], null, v0, s2, 0
	s_delay_alu instid0(VALU_DEP_1) | instskip(NEXT) | instid1(VALU_DEP_1)
	v_mov_b32_e32 v1, v4
	v_mad_u64_u32 v[4:5], null, v0, s3, v[1:2]
	s_delay_alu instid0(VALU_DEP_1) | instskip(NEXT) | instid1(VALU_DEP_1)
	v_lshlrev_b64 v[0:1], 2, v[3:4]
	v_add_co_u32 v0, vcc_lo, v6, v0
	s_delay_alu instid0(VALU_DEP_2)
	v_add_co_ci_u32_e32 v1, vcc_lo, v7, v1, vcc_lo
	global_store_b32 v[0:1], v2, off
	s_nop 0
	s_sendmsg sendmsg(MSG_DEALLOC_VGPRS)
	s_endpgm
	.section	.rodata,"a",@progbits
	.p2align	6, 0x0
	.amdhsa_kernel _ZN9rocsparseL31bsrmm_large_blockdim_kernel_extILj32ELj32ELj2EllDF16_DF16_ffEEvb20rocsparse_direction_T3_S2_llNS_24const_host_device_scalarIT7_EEPKT2_PKS2_PKT4_S2_PKT5_llS5_PT6_ll16rocsparse_order_21rocsparse_index_base_b
		.amdhsa_group_segment_fixed_size 12288
		.amdhsa_private_segment_fixed_size 0
		.amdhsa_kernarg_size 148
		.amdhsa_user_sgpr_count 14
		.amdhsa_user_sgpr_dispatch_ptr 0
		.amdhsa_user_sgpr_queue_ptr 0
		.amdhsa_user_sgpr_kernarg_segment_ptr 1
		.amdhsa_user_sgpr_dispatch_id 0
		.amdhsa_user_sgpr_private_segment_size 0
		.amdhsa_wavefront_size32 1
		.amdhsa_uses_dynamic_stack 0
		.amdhsa_enable_private_segment 0
		.amdhsa_system_sgpr_workgroup_id_x 1
		.amdhsa_system_sgpr_workgroup_id_y 1
		.amdhsa_system_sgpr_workgroup_id_z 0
		.amdhsa_system_sgpr_workgroup_info 0
		.amdhsa_system_vgpr_workitem_id 1
		.amdhsa_next_free_vgpr 43
		.amdhsa_next_free_sgpr 46
		.amdhsa_reserve_vcc 1
		.amdhsa_float_round_mode_32 0
		.amdhsa_float_round_mode_16_64 0
		.amdhsa_float_denorm_mode_32 3
		.amdhsa_float_denorm_mode_16_64 3
		.amdhsa_dx10_clamp 1
		.amdhsa_ieee_mode 1
		.amdhsa_fp16_overflow 0
		.amdhsa_workgroup_processor_mode 1
		.amdhsa_memory_ordered 1
		.amdhsa_forward_progress 0
		.amdhsa_shared_vgpr_count 0
		.amdhsa_exception_fp_ieee_invalid_op 0
		.amdhsa_exception_fp_denorm_src 0
		.amdhsa_exception_fp_ieee_div_zero 0
		.amdhsa_exception_fp_ieee_overflow 0
		.amdhsa_exception_fp_ieee_underflow 0
		.amdhsa_exception_fp_ieee_inexact 0
		.amdhsa_exception_int_div_zero 0
	.end_amdhsa_kernel
	.section	.text._ZN9rocsparseL31bsrmm_large_blockdim_kernel_extILj32ELj32ELj2EllDF16_DF16_ffEEvb20rocsparse_direction_T3_S2_llNS_24const_host_device_scalarIT7_EEPKT2_PKS2_PKT4_S2_PKT5_llS5_PT6_ll16rocsparse_order_21rocsparse_index_base_b,"axG",@progbits,_ZN9rocsparseL31bsrmm_large_blockdim_kernel_extILj32ELj32ELj2EllDF16_DF16_ffEEvb20rocsparse_direction_T3_S2_llNS_24const_host_device_scalarIT7_EEPKT2_PKS2_PKT4_S2_PKT5_llS5_PT6_ll16rocsparse_order_21rocsparse_index_base_b,comdat
.Lfunc_end59:
	.size	_ZN9rocsparseL31bsrmm_large_blockdim_kernel_extILj32ELj32ELj2EllDF16_DF16_ffEEvb20rocsparse_direction_T3_S2_llNS_24const_host_device_scalarIT7_EEPKT2_PKS2_PKT4_S2_PKT5_llS5_PT6_ll16rocsparse_order_21rocsparse_index_base_b, .Lfunc_end59-_ZN9rocsparseL31bsrmm_large_blockdim_kernel_extILj32ELj32ELj2EllDF16_DF16_ffEEvb20rocsparse_direction_T3_S2_llNS_24const_host_device_scalarIT7_EEPKT2_PKS2_PKT4_S2_PKT5_llS5_PT6_ll16rocsparse_order_21rocsparse_index_base_b
                                        ; -- End function
	.section	.AMDGPU.csdata,"",@progbits
; Kernel info:
; codeLenInByte = 2652
; NumSgprs: 48
; NumVgprs: 43
; ScratchSize: 0
; MemoryBound: 0
; FloatMode: 240
; IeeeMode: 1
; LDSByteSize: 12288 bytes/workgroup (compile time only)
; SGPRBlocks: 5
; VGPRBlocks: 5
; NumSGPRsForWavesPerEU: 48
; NumVGPRsForWavesPerEU: 43
; Occupancy: 16
; WaveLimiterHint : 1
; COMPUTE_PGM_RSRC2:SCRATCH_EN: 0
; COMPUTE_PGM_RSRC2:USER_SGPR: 14
; COMPUTE_PGM_RSRC2:TRAP_HANDLER: 0
; COMPUTE_PGM_RSRC2:TGID_X_EN: 1
; COMPUTE_PGM_RSRC2:TGID_Y_EN: 1
; COMPUTE_PGM_RSRC2:TGID_Z_EN: 0
; COMPUTE_PGM_RSRC2:TIDIG_COMP_CNT: 1
	.section	.text._ZN9rocsparseL31bsrmm_large_blockdim_kernel_extILj8ELj8ELj2EiiaaiiEEvb20rocsparse_direction_T3_S2_llNS_24const_host_device_scalarIT7_EEPKT2_PKS2_PKT4_S2_PKT5_llS5_PT6_ll16rocsparse_order_21rocsparse_index_base_b,"axG",@progbits,_ZN9rocsparseL31bsrmm_large_blockdim_kernel_extILj8ELj8ELj2EiiaaiiEEvb20rocsparse_direction_T3_S2_llNS_24const_host_device_scalarIT7_EEPKT2_PKS2_PKT4_S2_PKT5_llS5_PT6_ll16rocsparse_order_21rocsparse_index_base_b,comdat
	.globl	_ZN9rocsparseL31bsrmm_large_blockdim_kernel_extILj8ELj8ELj2EiiaaiiEEvb20rocsparse_direction_T3_S2_llNS_24const_host_device_scalarIT7_EEPKT2_PKS2_PKT4_S2_PKT5_llS5_PT6_ll16rocsparse_order_21rocsparse_index_base_b ; -- Begin function _ZN9rocsparseL31bsrmm_large_blockdim_kernel_extILj8ELj8ELj2EiiaaiiEEvb20rocsparse_direction_T3_S2_llNS_24const_host_device_scalarIT7_EEPKT2_PKS2_PKT4_S2_PKT5_llS5_PT6_ll16rocsparse_order_21rocsparse_index_base_b
	.p2align	8
	.type	_ZN9rocsparseL31bsrmm_large_blockdim_kernel_extILj8ELj8ELj2EiiaaiiEEvb20rocsparse_direction_T3_S2_llNS_24const_host_device_scalarIT7_EEPKT2_PKS2_PKT4_S2_PKT5_llS5_PT6_ll16rocsparse_order_21rocsparse_index_base_b,@function
_ZN9rocsparseL31bsrmm_large_blockdim_kernel_extILj8ELj8ELj2EiiaaiiEEvb20rocsparse_direction_T3_S2_llNS_24const_host_device_scalarIT7_EEPKT2_PKS2_PKT4_S2_PKT5_llS5_PT6_ll16rocsparse_order_21rocsparse_index_base_b: ; @_ZN9rocsparseL31bsrmm_large_blockdim_kernel_extILj8ELj8ELj2EiiaaiiEEvb20rocsparse_direction_T3_S2_llNS_24const_host_device_scalarIT7_EEPKT2_PKS2_PKT4_S2_PKT5_llS5_PT6_ll16rocsparse_order_21rocsparse_index_base_b
; %bb.0:
	s_clause 0x1
	s_load_b128 s[16:19], s[0:1], 0x80
	s_load_b64 s[6:7], s[0:1], 0x20
	s_mov_b32 s2, s15
	s_mov_b32 s8, -1
                                        ; implicit-def: $sgpr28
	s_waitcnt lgkmcnt(0)
	s_bitcmp1_b32 s18, 0
	s_cselect_b32 s3, -1, 0
	s_delay_alu instid0(SALU_CYCLE_1) | instskip(NEXT) | instid1(SALU_CYCLE_1)
	s_xor_b32 s3, s3, -1
	s_and_b32 vcc_lo, exec_lo, s3
	s_cbranch_vccnz .LBB60_4
; %bb.1:
	s_load_b64 s[4:5], s[0:1], 0x60
	s_and_not1_b32 vcc_lo, exec_lo, s8
	s_cbranch_vccz .LBB60_5
.LBB60_2:
	s_and_b32 vcc_lo, exec_lo, s3
	s_cbranch_vccz .LBB60_6
.LBB60_3:
	s_waitcnt lgkmcnt(0)
	s_load_b32 s29, s[4:5], 0x0
	s_cbranch_execz .LBB60_7
	s_branch .LBB60_8
.LBB60_4:
	s_load_b32 s28, s[6:7], 0x0
	s_load_b64 s[4:5], s[0:1], 0x60
	s_cbranch_execnz .LBB60_2
.LBB60_5:
	s_waitcnt lgkmcnt(0)
	s_mov_b32 s28, s6
	s_and_b32 vcc_lo, exec_lo, s3
	s_cbranch_vccnz .LBB60_3
.LBB60_6:
                                        ; implicit-def: $sgpr29
.LBB60_7:
	s_waitcnt lgkmcnt(0)
	s_mov_b32 s29, s4
.LBB60_8:
	s_waitcnt lgkmcnt(0)
	s_cmp_eq_u32 s28, 0
	s_mov_b32 s6, 0
	s_cselect_b32 s3, -1, 0
	s_cmp_eq_u32 s29, 1
	s_cselect_b32 s4, -1, 0
	s_delay_alu instid0(SALU_CYCLE_1) | instskip(NEXT) | instid1(SALU_CYCLE_1)
	s_and_b32 s3, s3, s4
	s_and_b32 vcc_lo, exec_lo, s3
	s_cbranch_vccnz .LBB60_62
; %bb.9:
	s_clause 0x1
	s_load_b128 s[8:11], s[0:1], 0x0
	s_load_b64 s[4:5], s[0:1], 0x28
	s_waitcnt lgkmcnt(0)
	s_cmp_lt_i32 s14, s10
	s_cselect_b32 s30, -1, 0
	s_cmp_ge_i32 s14, s10
	s_cbranch_scc1 .LBB60_11
; %bb.10:
	s_ashr_i32 s15, s14, 31
	s_delay_alu instid0(SALU_CYCLE_1) | instskip(NEXT) | instid1(SALU_CYCLE_1)
	s_lshl_b64 s[6:7], s[14:15], 2
	s_add_u32 s6, s4, s6
	s_addc_u32 s7, s5, s7
	s_load_b32 s3, s[6:7], 0x0
	s_waitcnt lgkmcnt(0)
	s_sub_i32 s6, s3, s17
.LBB60_11:
	s_mov_b32 s18, 0
	s_and_not1_b32 vcc_lo, exec_lo, s30
	s_mov_b32 s15, 0
	s_cbranch_vccnz .LBB60_13
; %bb.12:
	s_ashr_i32 s15, s14, 31
	s_delay_alu instid0(SALU_CYCLE_1) | instskip(NEXT) | instid1(SALU_CYCLE_1)
	s_lshl_b64 s[12:13], s[14:15], 2
	s_add_u32 s4, s4, s12
	s_addc_u32 s5, s5, s13
	s_load_b32 s3, s[4:5], 0x4
	s_waitcnt lgkmcnt(0)
	s_sub_i32 s15, s3, s17
.LBB60_13:
	s_clause 0x1
	s_load_b32 s10, s[0:1], 0x40
	s_load_b64 s[12:13], s[0:1], 0x68
	v_bfe_u32 v10, v0, 10, 10
	s_mov_b32 s19, s18
	v_dual_mov_b32 v1, s18 :: v_dual_and_b32 v4, 0x3ff, v0
	v_mov_b32_e32 v2, s19
	s_delay_alu instid0(VALU_DEP_3) | instskip(SKIP_1) | instid1(VALU_DEP_1)
	v_lshl_add_u32 v3, s2, 4, v10
	s_cmp_ge_i32 s6, s15
	v_add_nc_u32_e32 v0, 8, v3
	v_cmp_gt_i32_e64 s3, s11, v3
	s_delay_alu instid0(VALU_DEP_2)
	v_cmp_gt_i32_e64 s4, s11, v0
	s_waitcnt lgkmcnt(0)
	v_cmp_gt_i32_e64 s2, s10, v4
	s_cbranch_scc1 .LBB60_42
; %bb.14:
	s_clause 0x1
	s_load_b128 s[20:23], s[0:1], 0x48
	s_load_b128 s[24:27], s[0:1], 0x30
	v_cmp_gt_i32_e32 vcc_lo, s10, v10
	v_mad_u64_u32 v[1:2], null, v10, s10, v[4:5]
	v_mad_u64_u32 v[16:17], null, v4, s10, v[10:11]
	v_ashrrev_i32_e32 v13, 31, v0
	s_mov_b32 s34, 0
	v_ashrrev_i32_e32 v12, 31, v3
	s_and_b32 s18, s2, vcc_lo
	s_bitcmp1_b32 s8, 0
	s_mov_b32 s35, s34
	v_lshlrev_b32_e32 v9, 3, v10
	s_cselect_b32 s5, -1, 0
	s_cmp_eq_u32 s9, 0
	v_lshl_add_u32 v2, v4, 3, v10
	s_cselect_b32 vcc_lo, -1, 0
	v_add_lshl_u32 v15, v9, v4, 2
	v_dual_cndmask_b32 v9, v1, v16 :: v_dual_lshlrev_b32 v16, 5, v10
	s_waitcnt lgkmcnt(0)
	v_mul_lo_u32 v18, v0, s23
	v_mul_lo_u32 v19, v13, s22
	v_mad_u64_u32 v[7:8], null, v0, s22, 0
	v_mul_lo_u32 v11, v3, s23
	v_mul_lo_u32 v17, v12, s22
	v_mad_u64_u32 v[5:6], null, v3, s22, 0
	s_add_i32 s7, s10, -1
	s_and_b32 s8, s10, 7
	s_cmp_gt_u32 s7, 6
	v_lshl_add_u32 v14, v2, 2, 0x200
	v_add3_u32 v8, v8, v18, v19
	v_dual_mov_b32 v1, s34 :: v_dual_add_nc_u32 v18, 0x100, v16
	s_delay_alu instid0(VALU_DEP_4)
	v_add3_u32 v6, v6, v11, v17
	s_cselect_b32 s9, -1, 0
	s_and_b32 s19, s10, -8
	v_lshl_add_u32 v17, v4, 5, 0x200
	v_mov_b32_e32 v2, s35
	s_cmp_lg_u32 s8, 0
	s_mul_i32 s33, s10, s10
	s_cselect_b32 s31, -1, 0
	s_branch .LBB60_17
.LBB60_15:                              ;   in Loop: Header=BB60_17 Depth=1
	s_or_b32 exec_lo, exec_lo, s34
.LBB60_16:                              ;   in Loop: Header=BB60_17 Depth=1
	s_delay_alu instid0(SALU_CYCLE_1) | instskip(SKIP_1) | instid1(SALU_CYCLE_1)
	s_or_b32 exec_lo, exec_lo, s7
	s_add_i32 s6, s6, 1
	s_cmp_ge_i32 s6, s15
	s_barrier
	buffer_gl0_inv
	s_cbranch_scc1 .LBB60_42
.LBB60_17:                              ; =>This Loop Header: Depth=1
                                        ;     Child Loop BB60_28 Depth 2
                                        ;     Child Loop BB60_32 Depth 2
                                        ;     Child Loop BB60_37 Depth 2
                                        ;     Child Loop BB60_41 Depth 2
	s_and_saveexec_b32 s34, s2
	s_cbranch_execz .LBB60_22
; %bb.18:                               ;   in Loop: Header=BB60_17 Depth=1
	s_ashr_i32 s7, s6, 31
	s_delay_alu instid0(SALU_CYCLE_1) | instskip(NEXT) | instid1(SALU_CYCLE_1)
	s_lshl_b64 s[36:37], s[6:7], 2
	s_add_u32 s36, s24, s36
	s_addc_u32 s37, s25, s37
	s_load_b32 s7, s[36:37], 0x0
	s_waitcnt lgkmcnt(0)
	s_sub_i32 s7, s7, s17
	s_delay_alu instid0(SALU_CYCLE_1) | instskip(NEXT) | instid1(VALU_DEP_1)
	v_mad_u64_u32 v[19:20], null, s7, s10, v[4:5]
	v_ashrrev_i32_e32 v20, 31, v19
	v_mul_lo_u32 v21, v19, s23
	v_mad_u64_u32 v[10:11], null, v19, s22, s[20:21]
	v_add_co_u32 v19, vcc_lo, s20, v19
	s_delay_alu instid0(VALU_DEP_4) | instskip(SKIP_1) | instid1(VALU_DEP_2)
	v_mul_lo_u32 v22, v20, s22
	v_add_co_ci_u32_e32 v20, vcc_lo, s21, v20, vcc_lo
	v_add3_u32 v11, v22, v11, v21
	s_and_saveexec_b32 s7, s3
	s_cbranch_execz .LBB60_20
; %bb.19:                               ;   in Loop: Header=BB60_17 Depth=1
	v_add_co_u32 v21, vcc_lo, v19, v5
	v_add_co_ci_u32_e32 v22, vcc_lo, v20, v6, vcc_lo
	v_add_co_u32 v23, vcc_lo, v10, v3
	v_add_co_ci_u32_e32 v24, vcc_lo, v11, v12, vcc_lo
	s_delay_alu instid0(VALU_DEP_2) | instskip(NEXT) | instid1(VALU_DEP_2)
	v_cndmask_b32_e64 v21, v23, v21, s5
	v_cndmask_b32_e64 v22, v24, v22, s5
	global_load_i8 v21, v[21:22], off
	s_waitcnt vmcnt(0)
	ds_store_b32 v15, v21
.LBB60_20:                              ;   in Loop: Header=BB60_17 Depth=1
	s_or_b32 exec_lo, exec_lo, s7
	s_delay_alu instid0(SALU_CYCLE_1)
	s_and_b32 exec_lo, exec_lo, s4
	s_cbranch_execz .LBB60_22
; %bb.21:                               ;   in Loop: Header=BB60_17 Depth=1
	v_add_co_u32 v19, vcc_lo, v19, v7
	v_add_co_ci_u32_e32 v20, vcc_lo, v20, v8, vcc_lo
	v_add_co_u32 v10, vcc_lo, v10, v0
	v_add_co_ci_u32_e32 v11, vcc_lo, v11, v13, vcc_lo
	s_delay_alu instid0(VALU_DEP_2) | instskip(NEXT) | instid1(VALU_DEP_2)
	v_cndmask_b32_e64 v10, v10, v19, s5
	v_cndmask_b32_e64 v11, v11, v20, s5
	global_load_i8 v10, v[10:11], off
	s_waitcnt vmcnt(0)
	ds_store_b32 v15, v10 offset:256
.LBB60_22:                              ;   in Loop: Header=BB60_17 Depth=1
	s_or_b32 exec_lo, exec_lo, s34
	s_and_saveexec_b32 s7, s18
	s_cbranch_execz .LBB60_24
; %bb.23:                               ;   in Loop: Header=BB60_17 Depth=1
	v_mad_u64_u32 v[10:11], null, s33, s6, v[9:10]
	s_delay_alu instid0(VALU_DEP_1) | instskip(SKIP_1) | instid1(VALU_DEP_2)
	v_ashrrev_i32_e32 v11, 31, v10
	v_add_co_u32 v10, vcc_lo, s26, v10
	v_add_co_ci_u32_e32 v11, vcc_lo, s27, v11, vcc_lo
	global_load_i8 v10, v[10:11], off
	s_waitcnt vmcnt(0)
	ds_store_b32 v14, v10
.LBB60_24:                              ;   in Loop: Header=BB60_17 Depth=1
	s_or_b32 exec_lo, exec_lo, s7
	s_waitcnt lgkmcnt(0)
	s_barrier
	buffer_gl0_inv
	s_and_saveexec_b32 s7, s2
	s_cbranch_execz .LBB60_16
; %bb.25:                               ;   in Loop: Header=BB60_17 Depth=1
	s_and_saveexec_b32 s34, s3
	s_cbranch_execz .LBB60_34
; %bb.26:                               ;   in Loop: Header=BB60_17 Depth=1
	s_and_not1_b32 vcc_lo, exec_lo, s9
	s_cbranch_vccnz .LBB60_30
; %bb.27:                               ;   in Loop: Header=BB60_17 Depth=1
	v_dual_mov_b32 v10, v17 :: v_dual_mov_b32 v11, v16
	s_mov_b32 s35, 0
	s_set_inst_prefetch_distance 0x1
	.p2align	6
.LBB60_28:                              ;   Parent Loop BB60_17 Depth=1
                                        ; =>  This Inner Loop Header: Depth=2
	ds_load_b128 v[19:22], v11
	ds_load_b128 v[23:26], v10
	ds_load_b128 v[27:30], v10 offset:16
	ds_load_b128 v[31:34], v11 offset:16
	v_add_nc_u32_e32 v11, 32, v11
	v_add_nc_u32_e32 v10, 32, v10
	s_add_i32 s35, s35, 8
	s_delay_alu instid0(SALU_CYCLE_1)
	s_cmp_lg_u32 s19, s35
	s_waitcnt lgkmcnt(2)
	v_mul_lo_u32 v19, v19, v23
	v_mul_lo_u32 v20, v20, v24
	;; [unrolled: 1-line block ×4, first 2 shown]
	s_delay_alu instid0(VALU_DEP_3) | instskip(SKIP_3) | instid1(VALU_DEP_3)
	v_add3_u32 v1, v19, v1, v20
	s_waitcnt lgkmcnt(0)
	v_mul_lo_u32 v19, v31, v27
	v_mul_lo_u32 v20, v32, v28
	v_add3_u32 v1, v21, v1, v22
	v_mul_lo_u32 v21, v33, v29
	v_mul_lo_u32 v22, v34, v30
	s_delay_alu instid0(VALU_DEP_3) | instskip(NEXT) | instid1(VALU_DEP_1)
	v_add3_u32 v1, v19, v1, v20
	v_add3_u32 v1, v21, v1, v22
	s_cbranch_scc1 .LBB60_28
; %bb.29:                               ;   in Loop: Header=BB60_17 Depth=1
	s_set_inst_prefetch_distance 0x2
	s_mov_b32 s35, s19
	s_and_not1_b32 vcc_lo, exec_lo, s31
	s_cbranch_vccz .LBB60_31
	s_branch .LBB60_34
.LBB60_30:                              ;   in Loop: Header=BB60_17 Depth=1
	s_mov_b32 s35, 0
	s_and_not1_b32 vcc_lo, exec_lo, s31
	s_cbranch_vccnz .LBB60_34
.LBB60_31:                              ;   in Loop: Header=BB60_17 Depth=1
	s_lshl_b32 s35, s35, 2
	s_delay_alu instid0(SALU_CYCLE_1)
	v_add_nc_u32_e32 v19, s35, v16
	v_add_nc_u32_e32 v20, s35, v17
	s_mov_b32 s35, s8
.LBB60_32:                              ;   Parent Loop BB60_17 Depth=1
                                        ; =>  This Inner Loop Header: Depth=2
	ds_load_b32 v21, v20
	ds_load_b32 v22, v19
	s_add_i32 s35, s35, -1
	v_add_nc_u32_e32 v20, 4, v20
	s_cmp_lg_u32 s35, 0
	s_waitcnt lgkmcnt(0)
	v_mad_u64_u32 v[10:11], null, v22, v21, v[1:2]
	v_mov_b32_e32 v11, v2
	v_add_nc_u32_e32 v19, 4, v19
	s_delay_alu instid0(VALU_DEP_2)
	v_dual_mov_b32 v1, v10 :: v_dual_mov_b32 v2, v11
	s_cbranch_scc1 .LBB60_32
; %bb.33:                               ;   in Loop: Header=BB60_17 Depth=1
	v_dual_mov_b32 v1, v10 :: v_dual_mov_b32 v2, v11
.LBB60_34:                              ;   in Loop: Header=BB60_17 Depth=1
	s_or_b32 exec_lo, exec_lo, s34
	s_and_saveexec_b32 s34, s4
	s_cbranch_execz .LBB60_15
; %bb.35:                               ;   in Loop: Header=BB60_17 Depth=1
	s_and_not1_b32 vcc_lo, exec_lo, s9
	s_cbranch_vccnz .LBB60_39
; %bb.36:                               ;   in Loop: Header=BB60_17 Depth=1
	v_dual_mov_b32 v10, v17 :: v_dual_mov_b32 v11, v18
	s_mov_b32 s35, 0
	s_set_inst_prefetch_distance 0x1
	.p2align	6
.LBB60_37:                              ;   Parent Loop BB60_17 Depth=1
                                        ; =>  This Inner Loop Header: Depth=2
	ds_load_b128 v[19:22], v11
	ds_load_b128 v[23:26], v10
	ds_load_b128 v[27:30], v10 offset:16
	ds_load_b128 v[31:34], v11 offset:16
	v_add_nc_u32_e32 v11, 32, v11
	v_add_nc_u32_e32 v10, 32, v10
	s_add_i32 s35, s35, 8
	s_delay_alu instid0(SALU_CYCLE_1)
	s_cmp_lg_u32 s19, s35
	s_waitcnt lgkmcnt(2)
	v_mul_lo_u32 v19, v19, v23
	v_mul_lo_u32 v20, v20, v24
	;; [unrolled: 1-line block ×4, first 2 shown]
	s_delay_alu instid0(VALU_DEP_3) | instskip(SKIP_3) | instid1(VALU_DEP_3)
	v_add3_u32 v2, v19, v2, v20
	s_waitcnt lgkmcnt(0)
	v_mul_lo_u32 v19, v31, v27
	v_mul_lo_u32 v20, v32, v28
	v_add3_u32 v2, v21, v2, v22
	v_mul_lo_u32 v21, v33, v29
	v_mul_lo_u32 v22, v34, v30
	s_delay_alu instid0(VALU_DEP_3) | instskip(NEXT) | instid1(VALU_DEP_1)
	v_add3_u32 v2, v19, v2, v20
	v_add3_u32 v2, v21, v2, v22
	s_cbranch_scc1 .LBB60_37
; %bb.38:                               ;   in Loop: Header=BB60_17 Depth=1
	s_set_inst_prefetch_distance 0x2
	s_mov_b32 s35, s19
	s_and_not1_b32 vcc_lo, exec_lo, s31
	s_cbranch_vccz .LBB60_40
	s_branch .LBB60_15
.LBB60_39:                              ;   in Loop: Header=BB60_17 Depth=1
	s_mov_b32 s35, 0
	s_and_not1_b32 vcc_lo, exec_lo, s31
	s_cbranch_vccnz .LBB60_15
.LBB60_40:                              ;   in Loop: Header=BB60_17 Depth=1
	s_lshl_b32 s35, s35, 2
	s_delay_alu instid0(SALU_CYCLE_1)
	v_add_nc_u32_e32 v10, s35, v18
	v_add_nc_u32_e32 v11, s35, v17
	s_mov_b32 s35, s8
.LBB60_41:                              ;   Parent Loop BB60_17 Depth=1
                                        ; =>  This Inner Loop Header: Depth=2
	ds_load_b32 v21, v11
	ds_load_b32 v22, v10
	v_add_nc_u32_e32 v10, 4, v10
	s_add_i32 s35, s35, -1
	s_delay_alu instid0(SALU_CYCLE_1) | instskip(SKIP_2) | instid1(VALU_DEP_1)
	s_cmp_lg_u32 s35, 0
	s_waitcnt lgkmcnt(0)
	v_mad_u64_u32 v[19:20], null, v22, v21, v[2:3]
	v_dual_mov_b32 v2, v19 :: v_dual_add_nc_u32 v11, 4, v11
	s_cbranch_scc1 .LBB60_41
	s_branch .LBB60_15
.LBB60_42:
	s_delay_alu instid0(VALU_DEP_1) | instskip(NEXT) | instid1(SALU_CYCLE_1)
	s_and_b32 s2, s30, s2
	s_and_saveexec_b32 s3, s2
	s_cbranch_execz .LBB60_62
; %bb.43:
	s_load_b64 s[2:3], s[0:1], 0x70
	v_mad_u64_u32 v[5:6], null, s14, s10, v[4:5]
	s_cmp_lg_u32 s29, 0
	s_mov_b32 s0, exec_lo
	s_cselect_b32 s4, -1, 0
	s_cmp_lg_u32 s16, 1
	s_cselect_b32 s1, -1, 0
	s_delay_alu instid0(VALU_DEP_1) | instskip(SKIP_1) | instid1(VALU_DEP_1)
	v_ashrrev_i32_e32 v6, 31, v5
	s_waitcnt lgkmcnt(0)
	v_mul_lo_u32 v4, v6, s2
	v_mul_lo_u32 v9, v5, s3
	v_mad_u64_u32 v[7:8], null, v5, s2, 0
	v_lshlrev_b64 v[5:6], 2, v[5:6]
	s_delay_alu instid0(VALU_DEP_1) | instskip(NEXT) | instid1(VALU_DEP_3)
	v_add_co_u32 v5, vcc_lo, s12, v5
	v_add3_u32 v8, v8, v9, v4
	s_delay_alu instid0(VALU_DEP_3) | instskip(NEXT) | instid1(VALU_DEP_2)
	v_add_co_ci_u32_e32 v6, vcc_lo, s13, v6, vcc_lo
	v_lshlrev_b64 v[7:8], 2, v[7:8]
	s_delay_alu instid0(VALU_DEP_1) | instskip(NEXT) | instid1(VALU_DEP_2)
	v_add_co_u32 v7, vcc_lo, s12, v7
	v_add_co_ci_u32_e32 v8, vcc_lo, s13, v8, vcc_lo
	v_cmpx_gt_i32_e64 s11, v3
	s_cbranch_execz .LBB60_55
; %bb.44:
	v_ashrrev_i32_e32 v4, 31, v3
	s_and_b32 vcc_lo, exec_lo, s4
	s_cbranch_vccz .LBB60_50
; %bb.45:
	s_and_b32 vcc_lo, exec_lo, s1
	s_mov_b32 s5, -1
	s_cbranch_vccz .LBB60_47
; %bb.46:
	v_lshlrev_b64 v[9:10], 2, v[3:4]
	v_mul_lo_u32 v11, v1, s28
	s_mov_b32 s5, 0
	s_delay_alu instid0(VALU_DEP_2) | instskip(NEXT) | instid1(VALU_DEP_3)
	v_add_co_u32 v9, vcc_lo, v7, v9
	v_add_co_ci_u32_e32 v10, vcc_lo, v8, v10, vcc_lo
	global_load_b32 v14, v[9:10], off
	s_waitcnt vmcnt(0)
	v_mad_u64_u32 v[12:13], null, v14, s29, v[11:12]
	global_store_b32 v[9:10], v12, off
.LBB60_47:
	s_and_not1_b32 vcc_lo, exec_lo, s5
	s_cbranch_vccnz .LBB60_49
; %bb.48:
	v_mul_lo_u32 v11, v4, s2
	v_mul_lo_u32 v12, v3, s3
	v_mad_u64_u32 v[9:10], null, v3, s2, 0
	s_delay_alu instid0(VALU_DEP_1) | instskip(SKIP_1) | instid1(VALU_DEP_2)
	v_add3_u32 v10, v10, v12, v11
	v_mul_lo_u32 v11, v1, s28
	v_lshlrev_b64 v[9:10], 2, v[9:10]
	s_delay_alu instid0(VALU_DEP_1) | instskip(NEXT) | instid1(VALU_DEP_2)
	v_add_co_u32 v9, vcc_lo, v5, v9
	v_add_co_ci_u32_e32 v10, vcc_lo, v6, v10, vcc_lo
	global_load_b32 v14, v[9:10], off
	s_waitcnt vmcnt(0)
	v_mad_u64_u32 v[12:13], null, v14, s29, v[11:12]
	global_store_b32 v[9:10], v12, off
.LBB60_49:
	s_cbranch_execz .LBB60_51
	s_branch .LBB60_55
.LBB60_50:
.LBB60_51:
	v_mul_lo_u32 v1, v1, s28
	s_and_b32 vcc_lo, exec_lo, s1
	s_mov_b32 s5, -1
	s_cbranch_vccz .LBB60_53
; %bb.52:
	v_lshlrev_b64 v[9:10], 2, v[3:4]
	s_mov_b32 s5, 0
	s_delay_alu instid0(VALU_DEP_1) | instskip(NEXT) | instid1(VALU_DEP_2)
	v_add_co_u32 v9, vcc_lo, v7, v9
	v_add_co_ci_u32_e32 v10, vcc_lo, v8, v10, vcc_lo
	global_store_b32 v[9:10], v1, off
.LBB60_53:
	s_and_not1_b32 vcc_lo, exec_lo, s5
	s_cbranch_vccnz .LBB60_55
; %bb.54:
	v_mul_lo_u32 v4, v4, s2
	v_mul_lo_u32 v11, v3, s3
	v_mad_u64_u32 v[9:10], null, v3, s2, 0
	s_delay_alu instid0(VALU_DEP_1) | instskip(NEXT) | instid1(VALU_DEP_1)
	v_add3_u32 v10, v10, v11, v4
	v_lshlrev_b64 v[3:4], 2, v[9:10]
	s_delay_alu instid0(VALU_DEP_1) | instskip(NEXT) | instid1(VALU_DEP_2)
	v_add_co_u32 v3, vcc_lo, v5, v3
	v_add_co_ci_u32_e32 v4, vcc_lo, v6, v4, vcc_lo
	global_store_b32 v[3:4], v1, off
.LBB60_55:
	s_or_b32 exec_lo, exec_lo, s0
	v_cmp_gt_i32_e32 vcc_lo, s11, v0
	s_and_b32 exec_lo, exec_lo, vcc_lo
	s_cbranch_execz .LBB60_62
; %bb.56:
	v_cndmask_b32_e64 v3, 0, 1, s1
	v_ashrrev_i32_e32 v1, 31, v0
	s_and_not1_b32 vcc_lo, exec_lo, s4
	s_delay_alu instid0(VALU_DEP_2)
	v_cmp_ne_u32_e64 s0, 1, v3
	s_cbranch_vccnz .LBB60_63
; %bb.57:
	s_delay_alu instid0(VALU_DEP_1)
	s_and_b32 vcc_lo, exec_lo, s0
	s_mov_b32 s0, -1
	s_cbranch_vccnz .LBB60_59
; %bb.58:
	v_lshlrev_b64 v[3:4], 2, v[0:1]
	v_mul_lo_u32 v9, v2, s28
	s_mov_b32 s0, 0
	s_delay_alu instid0(VALU_DEP_2) | instskip(NEXT) | instid1(VALU_DEP_3)
	v_add_co_u32 v3, vcc_lo, v7, v3
	v_add_co_ci_u32_e32 v4, vcc_lo, v8, v4, vcc_lo
	global_load_b32 v12, v[3:4], off
	s_waitcnt vmcnt(0)
	v_mad_u64_u32 v[10:11], null, v12, s29, v[9:10]
	global_store_b32 v[3:4], v10, off
.LBB60_59:
	s_and_not1_b32 vcc_lo, exec_lo, s0
	s_cbranch_vccnz .LBB60_61
; %bb.60:
	v_mul_lo_u32 v9, v1, s2
	v_mul_lo_u32 v10, v0, s3
	v_mad_u64_u32 v[3:4], null, v0, s2, 0
	s_delay_alu instid0(VALU_DEP_1) | instskip(SKIP_1) | instid1(VALU_DEP_2)
	v_add3_u32 v4, v4, v10, v9
	v_mul_lo_u32 v9, v2, s28
	v_lshlrev_b64 v[3:4], 2, v[3:4]
	s_delay_alu instid0(VALU_DEP_1) | instskip(NEXT) | instid1(VALU_DEP_2)
	v_add_co_u32 v3, vcc_lo, v5, v3
	v_add_co_ci_u32_e32 v4, vcc_lo, v6, v4, vcc_lo
	global_load_b32 v12, v[3:4], off
	s_waitcnt vmcnt(0)
	v_mad_u64_u32 v[10:11], null, v12, s29, v[9:10]
	global_store_b32 v[3:4], v10, off
.LBB60_61:
	s_cbranch_execz .LBB60_64
.LBB60_62:
	s_nop 0
	s_sendmsg sendmsg(MSG_DEALLOC_VGPRS)
	s_endpgm
.LBB60_63:
.LBB60_64:
	v_mul_lo_u32 v2, v2, s28
	s_and_not1_b32 vcc_lo, exec_lo, s1
	s_mov_b32 s0, -1
	s_cbranch_vccnz .LBB60_66
; %bb.65:
	v_lshlrev_b64 v[3:4], 2, v[0:1]
	s_mov_b32 s0, 0
	s_delay_alu instid0(VALU_DEP_1) | instskip(NEXT) | instid1(VALU_DEP_2)
	v_add_co_u32 v3, vcc_lo, v7, v3
	v_add_co_ci_u32_e32 v4, vcc_lo, v8, v4, vcc_lo
	global_store_b32 v[3:4], v2, off
.LBB60_66:
	s_and_not1_b32 vcc_lo, exec_lo, s0
	s_cbranch_vccnz .LBB60_62
; %bb.67:
	v_mul_lo_u32 v1, v1, s2
	v_mul_lo_u32 v7, v0, s3
	v_mad_u64_u32 v[3:4], null, v0, s2, 0
	s_delay_alu instid0(VALU_DEP_1) | instskip(NEXT) | instid1(VALU_DEP_1)
	v_add3_u32 v4, v4, v7, v1
	v_lshlrev_b64 v[0:1], 2, v[3:4]
	s_delay_alu instid0(VALU_DEP_1) | instskip(NEXT) | instid1(VALU_DEP_2)
	v_add_co_u32 v0, vcc_lo, v5, v0
	v_add_co_ci_u32_e32 v1, vcc_lo, v6, v1, vcc_lo
	global_store_b32 v[0:1], v2, off
	s_nop 0
	s_sendmsg sendmsg(MSG_DEALLOC_VGPRS)
	s_endpgm
	.section	.rodata,"a",@progbits
	.p2align	6, 0x0
	.amdhsa_kernel _ZN9rocsparseL31bsrmm_large_blockdim_kernel_extILj8ELj8ELj2EiiaaiiEEvb20rocsparse_direction_T3_S2_llNS_24const_host_device_scalarIT7_EEPKT2_PKS2_PKT4_S2_PKT5_llS5_PT6_ll16rocsparse_order_21rocsparse_index_base_b
		.amdhsa_group_segment_fixed_size 768
		.amdhsa_private_segment_fixed_size 0
		.amdhsa_kernarg_size 140
		.amdhsa_user_sgpr_count 14
		.amdhsa_user_sgpr_dispatch_ptr 0
		.amdhsa_user_sgpr_queue_ptr 0
		.amdhsa_user_sgpr_kernarg_segment_ptr 1
		.amdhsa_user_sgpr_dispatch_id 0
		.amdhsa_user_sgpr_private_segment_size 0
		.amdhsa_wavefront_size32 1
		.amdhsa_uses_dynamic_stack 0
		.amdhsa_enable_private_segment 0
		.amdhsa_system_sgpr_workgroup_id_x 1
		.amdhsa_system_sgpr_workgroup_id_y 1
		.amdhsa_system_sgpr_workgroup_id_z 0
		.amdhsa_system_sgpr_workgroup_info 0
		.amdhsa_system_vgpr_workitem_id 1
		.amdhsa_next_free_vgpr 35
		.amdhsa_next_free_sgpr 38
		.amdhsa_reserve_vcc 1
		.amdhsa_float_round_mode_32 0
		.amdhsa_float_round_mode_16_64 0
		.amdhsa_float_denorm_mode_32 3
		.amdhsa_float_denorm_mode_16_64 3
		.amdhsa_dx10_clamp 1
		.amdhsa_ieee_mode 1
		.amdhsa_fp16_overflow 0
		.amdhsa_workgroup_processor_mode 1
		.amdhsa_memory_ordered 1
		.amdhsa_forward_progress 0
		.amdhsa_shared_vgpr_count 0
		.amdhsa_exception_fp_ieee_invalid_op 0
		.amdhsa_exception_fp_denorm_src 0
		.amdhsa_exception_fp_ieee_div_zero 0
		.amdhsa_exception_fp_ieee_overflow 0
		.amdhsa_exception_fp_ieee_underflow 0
		.amdhsa_exception_fp_ieee_inexact 0
		.amdhsa_exception_int_div_zero 0
	.end_amdhsa_kernel
	.section	.text._ZN9rocsparseL31bsrmm_large_blockdim_kernel_extILj8ELj8ELj2EiiaaiiEEvb20rocsparse_direction_T3_S2_llNS_24const_host_device_scalarIT7_EEPKT2_PKS2_PKT4_S2_PKT5_llS5_PT6_ll16rocsparse_order_21rocsparse_index_base_b,"axG",@progbits,_ZN9rocsparseL31bsrmm_large_blockdim_kernel_extILj8ELj8ELj2EiiaaiiEEvb20rocsparse_direction_T3_S2_llNS_24const_host_device_scalarIT7_EEPKT2_PKS2_PKT4_S2_PKT5_llS5_PT6_ll16rocsparse_order_21rocsparse_index_base_b,comdat
.Lfunc_end60:
	.size	_ZN9rocsparseL31bsrmm_large_blockdim_kernel_extILj8ELj8ELj2EiiaaiiEEvb20rocsparse_direction_T3_S2_llNS_24const_host_device_scalarIT7_EEPKT2_PKS2_PKT4_S2_PKT5_llS5_PT6_ll16rocsparse_order_21rocsparse_index_base_b, .Lfunc_end60-_ZN9rocsparseL31bsrmm_large_blockdim_kernel_extILj8ELj8ELj2EiiaaiiEEvb20rocsparse_direction_T3_S2_llNS_24const_host_device_scalarIT7_EEPKT2_PKS2_PKT4_S2_PKT5_llS5_PT6_ll16rocsparse_order_21rocsparse_index_base_b
                                        ; -- End function
	.section	.AMDGPU.csdata,"",@progbits
; Kernel info:
; codeLenInByte = 2576
; NumSgprs: 40
; NumVgprs: 35
; ScratchSize: 0
; MemoryBound: 0
; FloatMode: 240
; IeeeMode: 1
; LDSByteSize: 768 bytes/workgroup (compile time only)
; SGPRBlocks: 4
; VGPRBlocks: 4
; NumSGPRsForWavesPerEU: 40
; NumVGPRsForWavesPerEU: 35
; Occupancy: 16
; WaveLimiterHint : 1
; COMPUTE_PGM_RSRC2:SCRATCH_EN: 0
; COMPUTE_PGM_RSRC2:USER_SGPR: 14
; COMPUTE_PGM_RSRC2:TRAP_HANDLER: 0
; COMPUTE_PGM_RSRC2:TGID_X_EN: 1
; COMPUTE_PGM_RSRC2:TGID_Y_EN: 1
; COMPUTE_PGM_RSRC2:TGID_Z_EN: 0
; COMPUTE_PGM_RSRC2:TIDIG_COMP_CNT: 1
	.section	.text._ZN9rocsparseL31bsrmm_large_blockdim_kernel_extILj4ELj16ELj2EiiaaiiEEvb20rocsparse_direction_T3_S2_llNS_24const_host_device_scalarIT7_EEPKT2_PKS2_PKT4_S2_PKT5_llS5_PT6_ll16rocsparse_order_21rocsparse_index_base_b,"axG",@progbits,_ZN9rocsparseL31bsrmm_large_blockdim_kernel_extILj4ELj16ELj2EiiaaiiEEvb20rocsparse_direction_T3_S2_llNS_24const_host_device_scalarIT7_EEPKT2_PKS2_PKT4_S2_PKT5_llS5_PT6_ll16rocsparse_order_21rocsparse_index_base_b,comdat
	.globl	_ZN9rocsparseL31bsrmm_large_blockdim_kernel_extILj4ELj16ELj2EiiaaiiEEvb20rocsparse_direction_T3_S2_llNS_24const_host_device_scalarIT7_EEPKT2_PKS2_PKT4_S2_PKT5_llS5_PT6_ll16rocsparse_order_21rocsparse_index_base_b ; -- Begin function _ZN9rocsparseL31bsrmm_large_blockdim_kernel_extILj4ELj16ELj2EiiaaiiEEvb20rocsparse_direction_T3_S2_llNS_24const_host_device_scalarIT7_EEPKT2_PKS2_PKT4_S2_PKT5_llS5_PT6_ll16rocsparse_order_21rocsparse_index_base_b
	.p2align	8
	.type	_ZN9rocsparseL31bsrmm_large_blockdim_kernel_extILj4ELj16ELj2EiiaaiiEEvb20rocsparse_direction_T3_S2_llNS_24const_host_device_scalarIT7_EEPKT2_PKS2_PKT4_S2_PKT5_llS5_PT6_ll16rocsparse_order_21rocsparse_index_base_b,@function
_ZN9rocsparseL31bsrmm_large_blockdim_kernel_extILj4ELj16ELj2EiiaaiiEEvb20rocsparse_direction_T3_S2_llNS_24const_host_device_scalarIT7_EEPKT2_PKS2_PKT4_S2_PKT5_llS5_PT6_ll16rocsparse_order_21rocsparse_index_base_b: ; @_ZN9rocsparseL31bsrmm_large_blockdim_kernel_extILj4ELj16ELj2EiiaaiiEEvb20rocsparse_direction_T3_S2_llNS_24const_host_device_scalarIT7_EEPKT2_PKS2_PKT4_S2_PKT5_llS5_PT6_ll16rocsparse_order_21rocsparse_index_base_b
; %bb.0:
	s_clause 0x1
	s_load_b128 s[16:19], s[0:1], 0x80
	s_load_b64 s[6:7], s[0:1], 0x20
	s_mov_b32 s2, s15
	s_mov_b32 s8, -1
                                        ; implicit-def: $sgpr28
	s_waitcnt lgkmcnt(0)
	s_bitcmp1_b32 s18, 0
	s_cselect_b32 s3, -1, 0
	s_delay_alu instid0(SALU_CYCLE_1) | instskip(NEXT) | instid1(SALU_CYCLE_1)
	s_xor_b32 s3, s3, -1
	s_and_b32 vcc_lo, exec_lo, s3
	s_cbranch_vccnz .LBB61_4
; %bb.1:
	s_load_b64 s[4:5], s[0:1], 0x60
	s_and_not1_b32 vcc_lo, exec_lo, s8
	s_cbranch_vccz .LBB61_5
.LBB61_2:
	s_and_b32 vcc_lo, exec_lo, s3
	s_cbranch_vccz .LBB61_6
.LBB61_3:
	s_waitcnt lgkmcnt(0)
	s_load_b32 s29, s[4:5], 0x0
	s_cbranch_execz .LBB61_7
	s_branch .LBB61_8
.LBB61_4:
	s_load_b32 s28, s[6:7], 0x0
	s_load_b64 s[4:5], s[0:1], 0x60
	s_cbranch_execnz .LBB61_2
.LBB61_5:
	s_waitcnt lgkmcnt(0)
	s_mov_b32 s28, s6
	s_and_b32 vcc_lo, exec_lo, s3
	s_cbranch_vccnz .LBB61_3
.LBB61_6:
                                        ; implicit-def: $sgpr29
.LBB61_7:
	s_waitcnt lgkmcnt(0)
	s_mov_b32 s29, s4
.LBB61_8:
	s_waitcnt lgkmcnt(0)
	s_cmp_eq_u32 s28, 0
	s_mov_b32 s6, 0
	s_cselect_b32 s3, -1, 0
	s_cmp_eq_u32 s29, 1
	s_cselect_b32 s4, -1, 0
	s_delay_alu instid0(SALU_CYCLE_1) | instskip(NEXT) | instid1(SALU_CYCLE_1)
	s_and_b32 s3, s3, s4
	s_and_b32 vcc_lo, exec_lo, s3
	s_cbranch_vccnz .LBB61_62
; %bb.9:
	s_clause 0x1
	s_load_b128 s[8:11], s[0:1], 0x0
	s_load_b64 s[4:5], s[0:1], 0x28
	s_waitcnt lgkmcnt(0)
	s_cmp_lt_i32 s14, s10
	s_cselect_b32 s30, -1, 0
	s_cmp_ge_i32 s14, s10
	s_cbranch_scc1 .LBB61_11
; %bb.10:
	s_ashr_i32 s15, s14, 31
	s_delay_alu instid0(SALU_CYCLE_1) | instskip(NEXT) | instid1(SALU_CYCLE_1)
	s_lshl_b64 s[6:7], s[14:15], 2
	s_add_u32 s6, s4, s6
	s_addc_u32 s7, s5, s7
	s_load_b32 s3, s[6:7], 0x0
	s_waitcnt lgkmcnt(0)
	s_sub_i32 s6, s3, s17
.LBB61_11:
	s_mov_b32 s18, 0
	s_and_not1_b32 vcc_lo, exec_lo, s30
	s_mov_b32 s15, 0
	s_cbranch_vccnz .LBB61_13
; %bb.12:
	s_ashr_i32 s15, s14, 31
	s_delay_alu instid0(SALU_CYCLE_1) | instskip(NEXT) | instid1(SALU_CYCLE_1)
	s_lshl_b64 s[12:13], s[14:15], 2
	s_add_u32 s4, s4, s12
	s_addc_u32 s5, s5, s13
	s_load_b32 s3, s[4:5], 0x4
	s_waitcnt lgkmcnt(0)
	s_sub_i32 s15, s3, s17
.LBB61_13:
	s_clause 0x1
	s_load_b32 s10, s[0:1], 0x40
	s_load_b64 s[12:13], s[0:1], 0x68
	v_bfe_u32 v10, v0, 10, 10
	s_mov_b32 s19, s18
	v_dual_mov_b32 v1, s18 :: v_dual_and_b32 v4, 0x3ff, v0
	v_mov_b32_e32 v2, s19
	s_delay_alu instid0(VALU_DEP_3) | instskip(SKIP_1) | instid1(VALU_DEP_1)
	v_lshl_add_u32 v3, s2, 5, v10
	s_cmp_ge_i32 s6, s15
	v_add_nc_u32_e32 v0, 16, v3
	v_cmp_gt_i32_e64 s3, s11, v3
	s_delay_alu instid0(VALU_DEP_2)
	v_cmp_gt_i32_e64 s4, s11, v0
	s_waitcnt lgkmcnt(0)
	v_cmp_gt_i32_e64 s2, s10, v4
	s_cbranch_scc1 .LBB61_42
; %bb.14:
	s_clause 0x1
	s_load_b128 s[20:23], s[0:1], 0x48
	s_load_b128 s[24:27], s[0:1], 0x30
	v_cmp_gt_i32_e32 vcc_lo, s10, v10
	v_mad_u64_u32 v[1:2], null, v10, s10, v[4:5]
	v_mad_u64_u32 v[16:17], null, v4, s10, v[10:11]
	v_ashrrev_i32_e32 v13, 31, v0
	s_mov_b32 s34, 0
	v_ashrrev_i32_e32 v12, 31, v3
	s_and_b32 s18, s2, vcc_lo
	s_bitcmp1_b32 s8, 0
	s_mov_b32 s35, s34
	v_lshlrev_b32_e32 v9, 2, v10
	s_cselect_b32 s5, -1, 0
	s_cmp_eq_u32 s9, 0
	v_lshl_add_u32 v2, v4, 2, v10
	s_cselect_b32 vcc_lo, -1, 0
	v_add_lshl_u32 v15, v9, v4, 2
	v_dual_cndmask_b32 v9, v1, v16 :: v_dual_lshlrev_b32 v16, 4, v10
	s_waitcnt lgkmcnt(0)
	v_mul_lo_u32 v18, v0, s23
	v_mul_lo_u32 v19, v13, s22
	v_mad_u64_u32 v[7:8], null, v0, s22, 0
	v_mul_lo_u32 v11, v3, s23
	v_mul_lo_u32 v17, v12, s22
	v_mad_u64_u32 v[5:6], null, v3, s22, 0
	s_add_i32 s7, s10, -1
	s_and_b32 s8, s10, 7
	s_cmp_gt_u32 s7, 6
	v_lshl_add_u32 v14, v2, 2, 0x200
	v_add3_u32 v8, v8, v18, v19
	v_dual_mov_b32 v1, s34 :: v_dual_add_nc_u32 v18, 0x100, v16
	s_delay_alu instid0(VALU_DEP_4)
	v_add3_u32 v6, v6, v11, v17
	s_cselect_b32 s9, -1, 0
	s_and_b32 s19, s10, -8
	v_lshl_add_u32 v17, v4, 4, 0x200
	v_mov_b32_e32 v2, s35
	s_cmp_lg_u32 s8, 0
	s_mul_i32 s33, s10, s10
	s_cselect_b32 s31, -1, 0
	s_branch .LBB61_17
.LBB61_15:                              ;   in Loop: Header=BB61_17 Depth=1
	s_or_b32 exec_lo, exec_lo, s34
.LBB61_16:                              ;   in Loop: Header=BB61_17 Depth=1
	s_delay_alu instid0(SALU_CYCLE_1) | instskip(SKIP_1) | instid1(SALU_CYCLE_1)
	s_or_b32 exec_lo, exec_lo, s7
	s_add_i32 s6, s6, 1
	s_cmp_ge_i32 s6, s15
	s_barrier
	buffer_gl0_inv
	s_cbranch_scc1 .LBB61_42
.LBB61_17:                              ; =>This Loop Header: Depth=1
                                        ;     Child Loop BB61_28 Depth 2
                                        ;     Child Loop BB61_32 Depth 2
	;; [unrolled: 1-line block ×4, first 2 shown]
	s_and_saveexec_b32 s34, s2
	s_cbranch_execz .LBB61_22
; %bb.18:                               ;   in Loop: Header=BB61_17 Depth=1
	s_ashr_i32 s7, s6, 31
	s_delay_alu instid0(SALU_CYCLE_1) | instskip(NEXT) | instid1(SALU_CYCLE_1)
	s_lshl_b64 s[36:37], s[6:7], 2
	s_add_u32 s36, s24, s36
	s_addc_u32 s37, s25, s37
	s_load_b32 s7, s[36:37], 0x0
	s_waitcnt lgkmcnt(0)
	s_sub_i32 s7, s7, s17
	s_delay_alu instid0(SALU_CYCLE_1) | instskip(NEXT) | instid1(VALU_DEP_1)
	v_mad_u64_u32 v[19:20], null, s7, s10, v[4:5]
	v_ashrrev_i32_e32 v20, 31, v19
	v_mul_lo_u32 v21, v19, s23
	v_mad_u64_u32 v[10:11], null, v19, s22, s[20:21]
	v_add_co_u32 v19, vcc_lo, s20, v19
	s_delay_alu instid0(VALU_DEP_4) | instskip(SKIP_1) | instid1(VALU_DEP_2)
	v_mul_lo_u32 v22, v20, s22
	v_add_co_ci_u32_e32 v20, vcc_lo, s21, v20, vcc_lo
	v_add3_u32 v11, v22, v11, v21
	s_and_saveexec_b32 s7, s3
	s_cbranch_execz .LBB61_20
; %bb.19:                               ;   in Loop: Header=BB61_17 Depth=1
	v_add_co_u32 v21, vcc_lo, v19, v5
	v_add_co_ci_u32_e32 v22, vcc_lo, v20, v6, vcc_lo
	v_add_co_u32 v23, vcc_lo, v10, v3
	v_add_co_ci_u32_e32 v24, vcc_lo, v11, v12, vcc_lo
	s_delay_alu instid0(VALU_DEP_2) | instskip(NEXT) | instid1(VALU_DEP_2)
	v_cndmask_b32_e64 v21, v23, v21, s5
	v_cndmask_b32_e64 v22, v24, v22, s5
	global_load_i8 v21, v[21:22], off
	s_waitcnt vmcnt(0)
	ds_store_b32 v15, v21
.LBB61_20:                              ;   in Loop: Header=BB61_17 Depth=1
	s_or_b32 exec_lo, exec_lo, s7
	s_delay_alu instid0(SALU_CYCLE_1)
	s_and_b32 exec_lo, exec_lo, s4
	s_cbranch_execz .LBB61_22
; %bb.21:                               ;   in Loop: Header=BB61_17 Depth=1
	v_add_co_u32 v19, vcc_lo, v19, v7
	v_add_co_ci_u32_e32 v20, vcc_lo, v20, v8, vcc_lo
	v_add_co_u32 v10, vcc_lo, v10, v0
	v_add_co_ci_u32_e32 v11, vcc_lo, v11, v13, vcc_lo
	s_delay_alu instid0(VALU_DEP_2) | instskip(NEXT) | instid1(VALU_DEP_2)
	v_cndmask_b32_e64 v10, v10, v19, s5
	v_cndmask_b32_e64 v11, v11, v20, s5
	global_load_i8 v10, v[10:11], off
	s_waitcnt vmcnt(0)
	ds_store_b32 v15, v10 offset:256
.LBB61_22:                              ;   in Loop: Header=BB61_17 Depth=1
	s_or_b32 exec_lo, exec_lo, s34
	s_and_saveexec_b32 s7, s18
	s_cbranch_execz .LBB61_24
; %bb.23:                               ;   in Loop: Header=BB61_17 Depth=1
	v_mad_u64_u32 v[10:11], null, s33, s6, v[9:10]
	s_delay_alu instid0(VALU_DEP_1) | instskip(SKIP_1) | instid1(VALU_DEP_2)
	v_ashrrev_i32_e32 v11, 31, v10
	v_add_co_u32 v10, vcc_lo, s26, v10
	v_add_co_ci_u32_e32 v11, vcc_lo, s27, v11, vcc_lo
	global_load_i8 v10, v[10:11], off
	s_waitcnt vmcnt(0)
	ds_store_b32 v14, v10
.LBB61_24:                              ;   in Loop: Header=BB61_17 Depth=1
	s_or_b32 exec_lo, exec_lo, s7
	s_waitcnt lgkmcnt(0)
	s_barrier
	buffer_gl0_inv
	s_and_saveexec_b32 s7, s2
	s_cbranch_execz .LBB61_16
; %bb.25:                               ;   in Loop: Header=BB61_17 Depth=1
	s_and_saveexec_b32 s34, s3
	s_cbranch_execz .LBB61_34
; %bb.26:                               ;   in Loop: Header=BB61_17 Depth=1
	s_and_not1_b32 vcc_lo, exec_lo, s9
	s_cbranch_vccnz .LBB61_30
; %bb.27:                               ;   in Loop: Header=BB61_17 Depth=1
	v_dual_mov_b32 v10, v17 :: v_dual_mov_b32 v11, v16
	s_mov_b32 s35, 0
	s_set_inst_prefetch_distance 0x1
	.p2align	6
.LBB61_28:                              ;   Parent Loop BB61_17 Depth=1
                                        ; =>  This Inner Loop Header: Depth=2
	ds_load_b128 v[19:22], v11
	ds_load_b128 v[23:26], v10
	ds_load_b128 v[27:30], v10 offset:16
	ds_load_b128 v[31:34], v11 offset:16
	v_add_nc_u32_e32 v11, 32, v11
	v_add_nc_u32_e32 v10, 32, v10
	s_add_i32 s35, s35, 8
	s_delay_alu instid0(SALU_CYCLE_1)
	s_cmp_lg_u32 s19, s35
	s_waitcnt lgkmcnt(2)
	v_mul_lo_u32 v19, v19, v23
	v_mul_lo_u32 v20, v20, v24
	v_mul_lo_u32 v21, v21, v25
	v_mul_lo_u32 v22, v22, v26
	s_delay_alu instid0(VALU_DEP_3) | instskip(SKIP_3) | instid1(VALU_DEP_3)
	v_add3_u32 v1, v19, v1, v20
	s_waitcnt lgkmcnt(0)
	v_mul_lo_u32 v19, v31, v27
	v_mul_lo_u32 v20, v32, v28
	v_add3_u32 v1, v21, v1, v22
	v_mul_lo_u32 v21, v33, v29
	v_mul_lo_u32 v22, v34, v30
	s_delay_alu instid0(VALU_DEP_3) | instskip(NEXT) | instid1(VALU_DEP_1)
	v_add3_u32 v1, v19, v1, v20
	v_add3_u32 v1, v21, v1, v22
	s_cbranch_scc1 .LBB61_28
; %bb.29:                               ;   in Loop: Header=BB61_17 Depth=1
	s_set_inst_prefetch_distance 0x2
	s_mov_b32 s35, s19
	s_and_not1_b32 vcc_lo, exec_lo, s31
	s_cbranch_vccz .LBB61_31
	s_branch .LBB61_34
.LBB61_30:                              ;   in Loop: Header=BB61_17 Depth=1
	s_mov_b32 s35, 0
	s_and_not1_b32 vcc_lo, exec_lo, s31
	s_cbranch_vccnz .LBB61_34
.LBB61_31:                              ;   in Loop: Header=BB61_17 Depth=1
	s_lshl_b32 s35, s35, 2
	s_delay_alu instid0(SALU_CYCLE_1)
	v_add_nc_u32_e32 v19, s35, v16
	v_add_nc_u32_e32 v20, s35, v17
	s_mov_b32 s35, s8
.LBB61_32:                              ;   Parent Loop BB61_17 Depth=1
                                        ; =>  This Inner Loop Header: Depth=2
	ds_load_b32 v21, v20
	ds_load_b32 v22, v19
	s_add_i32 s35, s35, -1
	v_add_nc_u32_e32 v20, 4, v20
	s_cmp_lg_u32 s35, 0
	s_waitcnt lgkmcnt(0)
	v_mad_u64_u32 v[10:11], null, v22, v21, v[1:2]
	v_mov_b32_e32 v11, v2
	v_add_nc_u32_e32 v19, 4, v19
	s_delay_alu instid0(VALU_DEP_2)
	v_dual_mov_b32 v1, v10 :: v_dual_mov_b32 v2, v11
	s_cbranch_scc1 .LBB61_32
; %bb.33:                               ;   in Loop: Header=BB61_17 Depth=1
	v_dual_mov_b32 v1, v10 :: v_dual_mov_b32 v2, v11
.LBB61_34:                              ;   in Loop: Header=BB61_17 Depth=1
	s_or_b32 exec_lo, exec_lo, s34
	s_and_saveexec_b32 s34, s4
	s_cbranch_execz .LBB61_15
; %bb.35:                               ;   in Loop: Header=BB61_17 Depth=1
	s_and_not1_b32 vcc_lo, exec_lo, s9
	s_cbranch_vccnz .LBB61_39
; %bb.36:                               ;   in Loop: Header=BB61_17 Depth=1
	v_dual_mov_b32 v10, v17 :: v_dual_mov_b32 v11, v18
	s_mov_b32 s35, 0
	s_set_inst_prefetch_distance 0x1
	.p2align	6
.LBB61_37:                              ;   Parent Loop BB61_17 Depth=1
                                        ; =>  This Inner Loop Header: Depth=2
	ds_load_b128 v[19:22], v11
	ds_load_b128 v[23:26], v10
	ds_load_b128 v[27:30], v10 offset:16
	ds_load_b128 v[31:34], v11 offset:16
	v_add_nc_u32_e32 v11, 32, v11
	v_add_nc_u32_e32 v10, 32, v10
	s_add_i32 s35, s35, 8
	s_delay_alu instid0(SALU_CYCLE_1)
	s_cmp_lg_u32 s19, s35
	s_waitcnt lgkmcnt(2)
	v_mul_lo_u32 v19, v19, v23
	v_mul_lo_u32 v20, v20, v24
	;; [unrolled: 1-line block ×4, first 2 shown]
	s_delay_alu instid0(VALU_DEP_3) | instskip(SKIP_3) | instid1(VALU_DEP_3)
	v_add3_u32 v2, v19, v2, v20
	s_waitcnt lgkmcnt(0)
	v_mul_lo_u32 v19, v31, v27
	v_mul_lo_u32 v20, v32, v28
	v_add3_u32 v2, v21, v2, v22
	v_mul_lo_u32 v21, v33, v29
	v_mul_lo_u32 v22, v34, v30
	s_delay_alu instid0(VALU_DEP_3) | instskip(NEXT) | instid1(VALU_DEP_1)
	v_add3_u32 v2, v19, v2, v20
	v_add3_u32 v2, v21, v2, v22
	s_cbranch_scc1 .LBB61_37
; %bb.38:                               ;   in Loop: Header=BB61_17 Depth=1
	s_set_inst_prefetch_distance 0x2
	s_mov_b32 s35, s19
	s_and_not1_b32 vcc_lo, exec_lo, s31
	s_cbranch_vccz .LBB61_40
	s_branch .LBB61_15
.LBB61_39:                              ;   in Loop: Header=BB61_17 Depth=1
	s_mov_b32 s35, 0
	s_and_not1_b32 vcc_lo, exec_lo, s31
	s_cbranch_vccnz .LBB61_15
.LBB61_40:                              ;   in Loop: Header=BB61_17 Depth=1
	s_lshl_b32 s35, s35, 2
	s_delay_alu instid0(SALU_CYCLE_1)
	v_add_nc_u32_e32 v10, s35, v18
	v_add_nc_u32_e32 v11, s35, v17
	s_mov_b32 s35, s8
.LBB61_41:                              ;   Parent Loop BB61_17 Depth=1
                                        ; =>  This Inner Loop Header: Depth=2
	ds_load_b32 v21, v11
	ds_load_b32 v22, v10
	v_add_nc_u32_e32 v10, 4, v10
	s_add_i32 s35, s35, -1
	s_delay_alu instid0(SALU_CYCLE_1) | instskip(SKIP_2) | instid1(VALU_DEP_1)
	s_cmp_lg_u32 s35, 0
	s_waitcnt lgkmcnt(0)
	v_mad_u64_u32 v[19:20], null, v22, v21, v[2:3]
	v_dual_mov_b32 v2, v19 :: v_dual_add_nc_u32 v11, 4, v11
	s_cbranch_scc1 .LBB61_41
	s_branch .LBB61_15
.LBB61_42:
	s_delay_alu instid0(VALU_DEP_1) | instskip(NEXT) | instid1(SALU_CYCLE_1)
	s_and_b32 s2, s30, s2
	s_and_saveexec_b32 s3, s2
	s_cbranch_execz .LBB61_62
; %bb.43:
	s_load_b64 s[2:3], s[0:1], 0x70
	v_mad_u64_u32 v[5:6], null, s14, s10, v[4:5]
	s_cmp_lg_u32 s29, 0
	s_mov_b32 s0, exec_lo
	s_cselect_b32 s4, -1, 0
	s_cmp_lg_u32 s16, 1
	s_cselect_b32 s1, -1, 0
	s_delay_alu instid0(VALU_DEP_1) | instskip(SKIP_1) | instid1(VALU_DEP_1)
	v_ashrrev_i32_e32 v6, 31, v5
	s_waitcnt lgkmcnt(0)
	v_mul_lo_u32 v4, v6, s2
	v_mul_lo_u32 v9, v5, s3
	v_mad_u64_u32 v[7:8], null, v5, s2, 0
	v_lshlrev_b64 v[5:6], 2, v[5:6]
	s_delay_alu instid0(VALU_DEP_1) | instskip(NEXT) | instid1(VALU_DEP_3)
	v_add_co_u32 v5, vcc_lo, s12, v5
	v_add3_u32 v8, v8, v9, v4
	s_delay_alu instid0(VALU_DEP_3) | instskip(NEXT) | instid1(VALU_DEP_2)
	v_add_co_ci_u32_e32 v6, vcc_lo, s13, v6, vcc_lo
	v_lshlrev_b64 v[7:8], 2, v[7:8]
	s_delay_alu instid0(VALU_DEP_1) | instskip(NEXT) | instid1(VALU_DEP_2)
	v_add_co_u32 v7, vcc_lo, s12, v7
	v_add_co_ci_u32_e32 v8, vcc_lo, s13, v8, vcc_lo
	v_cmpx_gt_i32_e64 s11, v3
	s_cbranch_execz .LBB61_55
; %bb.44:
	v_ashrrev_i32_e32 v4, 31, v3
	s_and_b32 vcc_lo, exec_lo, s4
	s_cbranch_vccz .LBB61_50
; %bb.45:
	s_and_b32 vcc_lo, exec_lo, s1
	s_mov_b32 s5, -1
	s_cbranch_vccz .LBB61_47
; %bb.46:
	v_lshlrev_b64 v[9:10], 2, v[3:4]
	v_mul_lo_u32 v11, v1, s28
	s_mov_b32 s5, 0
	s_delay_alu instid0(VALU_DEP_2) | instskip(NEXT) | instid1(VALU_DEP_3)
	v_add_co_u32 v9, vcc_lo, v7, v9
	v_add_co_ci_u32_e32 v10, vcc_lo, v8, v10, vcc_lo
	global_load_b32 v14, v[9:10], off
	s_waitcnt vmcnt(0)
	v_mad_u64_u32 v[12:13], null, v14, s29, v[11:12]
	global_store_b32 v[9:10], v12, off
.LBB61_47:
	s_and_not1_b32 vcc_lo, exec_lo, s5
	s_cbranch_vccnz .LBB61_49
; %bb.48:
	v_mul_lo_u32 v11, v4, s2
	v_mul_lo_u32 v12, v3, s3
	v_mad_u64_u32 v[9:10], null, v3, s2, 0
	s_delay_alu instid0(VALU_DEP_1) | instskip(SKIP_1) | instid1(VALU_DEP_2)
	v_add3_u32 v10, v10, v12, v11
	v_mul_lo_u32 v11, v1, s28
	v_lshlrev_b64 v[9:10], 2, v[9:10]
	s_delay_alu instid0(VALU_DEP_1) | instskip(NEXT) | instid1(VALU_DEP_2)
	v_add_co_u32 v9, vcc_lo, v5, v9
	v_add_co_ci_u32_e32 v10, vcc_lo, v6, v10, vcc_lo
	global_load_b32 v14, v[9:10], off
	s_waitcnt vmcnt(0)
	v_mad_u64_u32 v[12:13], null, v14, s29, v[11:12]
	global_store_b32 v[9:10], v12, off
.LBB61_49:
	s_cbranch_execz .LBB61_51
	s_branch .LBB61_55
.LBB61_50:
.LBB61_51:
	v_mul_lo_u32 v1, v1, s28
	s_and_b32 vcc_lo, exec_lo, s1
	s_mov_b32 s5, -1
	s_cbranch_vccz .LBB61_53
; %bb.52:
	v_lshlrev_b64 v[9:10], 2, v[3:4]
	s_mov_b32 s5, 0
	s_delay_alu instid0(VALU_DEP_1) | instskip(NEXT) | instid1(VALU_DEP_2)
	v_add_co_u32 v9, vcc_lo, v7, v9
	v_add_co_ci_u32_e32 v10, vcc_lo, v8, v10, vcc_lo
	global_store_b32 v[9:10], v1, off
.LBB61_53:
	s_and_not1_b32 vcc_lo, exec_lo, s5
	s_cbranch_vccnz .LBB61_55
; %bb.54:
	v_mul_lo_u32 v4, v4, s2
	v_mul_lo_u32 v11, v3, s3
	v_mad_u64_u32 v[9:10], null, v3, s2, 0
	s_delay_alu instid0(VALU_DEP_1) | instskip(NEXT) | instid1(VALU_DEP_1)
	v_add3_u32 v10, v10, v11, v4
	v_lshlrev_b64 v[3:4], 2, v[9:10]
	s_delay_alu instid0(VALU_DEP_1) | instskip(NEXT) | instid1(VALU_DEP_2)
	v_add_co_u32 v3, vcc_lo, v5, v3
	v_add_co_ci_u32_e32 v4, vcc_lo, v6, v4, vcc_lo
	global_store_b32 v[3:4], v1, off
.LBB61_55:
	s_or_b32 exec_lo, exec_lo, s0
	v_cmp_gt_i32_e32 vcc_lo, s11, v0
	s_and_b32 exec_lo, exec_lo, vcc_lo
	s_cbranch_execz .LBB61_62
; %bb.56:
	v_cndmask_b32_e64 v3, 0, 1, s1
	v_ashrrev_i32_e32 v1, 31, v0
	s_and_not1_b32 vcc_lo, exec_lo, s4
	s_delay_alu instid0(VALU_DEP_2)
	v_cmp_ne_u32_e64 s0, 1, v3
	s_cbranch_vccnz .LBB61_63
; %bb.57:
	s_delay_alu instid0(VALU_DEP_1)
	s_and_b32 vcc_lo, exec_lo, s0
	s_mov_b32 s0, -1
	s_cbranch_vccnz .LBB61_59
; %bb.58:
	v_lshlrev_b64 v[3:4], 2, v[0:1]
	v_mul_lo_u32 v9, v2, s28
	s_mov_b32 s0, 0
	s_delay_alu instid0(VALU_DEP_2) | instskip(NEXT) | instid1(VALU_DEP_3)
	v_add_co_u32 v3, vcc_lo, v7, v3
	v_add_co_ci_u32_e32 v4, vcc_lo, v8, v4, vcc_lo
	global_load_b32 v12, v[3:4], off
	s_waitcnt vmcnt(0)
	v_mad_u64_u32 v[10:11], null, v12, s29, v[9:10]
	global_store_b32 v[3:4], v10, off
.LBB61_59:
	s_and_not1_b32 vcc_lo, exec_lo, s0
	s_cbranch_vccnz .LBB61_61
; %bb.60:
	v_mul_lo_u32 v9, v1, s2
	v_mul_lo_u32 v10, v0, s3
	v_mad_u64_u32 v[3:4], null, v0, s2, 0
	s_delay_alu instid0(VALU_DEP_1) | instskip(SKIP_1) | instid1(VALU_DEP_2)
	v_add3_u32 v4, v4, v10, v9
	v_mul_lo_u32 v9, v2, s28
	v_lshlrev_b64 v[3:4], 2, v[3:4]
	s_delay_alu instid0(VALU_DEP_1) | instskip(NEXT) | instid1(VALU_DEP_2)
	v_add_co_u32 v3, vcc_lo, v5, v3
	v_add_co_ci_u32_e32 v4, vcc_lo, v6, v4, vcc_lo
	global_load_b32 v12, v[3:4], off
	s_waitcnt vmcnt(0)
	v_mad_u64_u32 v[10:11], null, v12, s29, v[9:10]
	global_store_b32 v[3:4], v10, off
.LBB61_61:
	s_cbranch_execz .LBB61_64
.LBB61_62:
	s_nop 0
	s_sendmsg sendmsg(MSG_DEALLOC_VGPRS)
	s_endpgm
.LBB61_63:
.LBB61_64:
	v_mul_lo_u32 v2, v2, s28
	s_and_not1_b32 vcc_lo, exec_lo, s1
	s_mov_b32 s0, -1
	s_cbranch_vccnz .LBB61_66
; %bb.65:
	v_lshlrev_b64 v[3:4], 2, v[0:1]
	s_mov_b32 s0, 0
	s_delay_alu instid0(VALU_DEP_1) | instskip(NEXT) | instid1(VALU_DEP_2)
	v_add_co_u32 v3, vcc_lo, v7, v3
	v_add_co_ci_u32_e32 v4, vcc_lo, v8, v4, vcc_lo
	global_store_b32 v[3:4], v2, off
.LBB61_66:
	s_and_not1_b32 vcc_lo, exec_lo, s0
	s_cbranch_vccnz .LBB61_62
; %bb.67:
	v_mul_lo_u32 v1, v1, s2
	v_mul_lo_u32 v7, v0, s3
	v_mad_u64_u32 v[3:4], null, v0, s2, 0
	s_delay_alu instid0(VALU_DEP_1) | instskip(NEXT) | instid1(VALU_DEP_1)
	v_add3_u32 v4, v4, v7, v1
	v_lshlrev_b64 v[0:1], 2, v[3:4]
	s_delay_alu instid0(VALU_DEP_1) | instskip(NEXT) | instid1(VALU_DEP_2)
	v_add_co_u32 v0, vcc_lo, v5, v0
	v_add_co_ci_u32_e32 v1, vcc_lo, v6, v1, vcc_lo
	global_store_b32 v[0:1], v2, off
	s_nop 0
	s_sendmsg sendmsg(MSG_DEALLOC_VGPRS)
	s_endpgm
	.section	.rodata,"a",@progbits
	.p2align	6, 0x0
	.amdhsa_kernel _ZN9rocsparseL31bsrmm_large_blockdim_kernel_extILj4ELj16ELj2EiiaaiiEEvb20rocsparse_direction_T3_S2_llNS_24const_host_device_scalarIT7_EEPKT2_PKS2_PKT4_S2_PKT5_llS5_PT6_ll16rocsparse_order_21rocsparse_index_base_b
		.amdhsa_group_segment_fixed_size 576
		.amdhsa_private_segment_fixed_size 0
		.amdhsa_kernarg_size 140
		.amdhsa_user_sgpr_count 14
		.amdhsa_user_sgpr_dispatch_ptr 0
		.amdhsa_user_sgpr_queue_ptr 0
		.amdhsa_user_sgpr_kernarg_segment_ptr 1
		.amdhsa_user_sgpr_dispatch_id 0
		.amdhsa_user_sgpr_private_segment_size 0
		.amdhsa_wavefront_size32 1
		.amdhsa_uses_dynamic_stack 0
		.amdhsa_enable_private_segment 0
		.amdhsa_system_sgpr_workgroup_id_x 1
		.amdhsa_system_sgpr_workgroup_id_y 1
		.amdhsa_system_sgpr_workgroup_id_z 0
		.amdhsa_system_sgpr_workgroup_info 0
		.amdhsa_system_vgpr_workitem_id 1
		.amdhsa_next_free_vgpr 35
		.amdhsa_next_free_sgpr 38
		.amdhsa_reserve_vcc 1
		.amdhsa_float_round_mode_32 0
		.amdhsa_float_round_mode_16_64 0
		.amdhsa_float_denorm_mode_32 3
		.amdhsa_float_denorm_mode_16_64 3
		.amdhsa_dx10_clamp 1
		.amdhsa_ieee_mode 1
		.amdhsa_fp16_overflow 0
		.amdhsa_workgroup_processor_mode 1
		.amdhsa_memory_ordered 1
		.amdhsa_forward_progress 0
		.amdhsa_shared_vgpr_count 0
		.amdhsa_exception_fp_ieee_invalid_op 0
		.amdhsa_exception_fp_denorm_src 0
		.amdhsa_exception_fp_ieee_div_zero 0
		.amdhsa_exception_fp_ieee_overflow 0
		.amdhsa_exception_fp_ieee_underflow 0
		.amdhsa_exception_fp_ieee_inexact 0
		.amdhsa_exception_int_div_zero 0
	.end_amdhsa_kernel
	.section	.text._ZN9rocsparseL31bsrmm_large_blockdim_kernel_extILj4ELj16ELj2EiiaaiiEEvb20rocsparse_direction_T3_S2_llNS_24const_host_device_scalarIT7_EEPKT2_PKS2_PKT4_S2_PKT5_llS5_PT6_ll16rocsparse_order_21rocsparse_index_base_b,"axG",@progbits,_ZN9rocsparseL31bsrmm_large_blockdim_kernel_extILj4ELj16ELj2EiiaaiiEEvb20rocsparse_direction_T3_S2_llNS_24const_host_device_scalarIT7_EEPKT2_PKS2_PKT4_S2_PKT5_llS5_PT6_ll16rocsparse_order_21rocsparse_index_base_b,comdat
.Lfunc_end61:
	.size	_ZN9rocsparseL31bsrmm_large_blockdim_kernel_extILj4ELj16ELj2EiiaaiiEEvb20rocsparse_direction_T3_S2_llNS_24const_host_device_scalarIT7_EEPKT2_PKS2_PKT4_S2_PKT5_llS5_PT6_ll16rocsparse_order_21rocsparse_index_base_b, .Lfunc_end61-_ZN9rocsparseL31bsrmm_large_blockdim_kernel_extILj4ELj16ELj2EiiaaiiEEvb20rocsparse_direction_T3_S2_llNS_24const_host_device_scalarIT7_EEPKT2_PKS2_PKT4_S2_PKT5_llS5_PT6_ll16rocsparse_order_21rocsparse_index_base_b
                                        ; -- End function
	.section	.AMDGPU.csdata,"",@progbits
; Kernel info:
; codeLenInByte = 2576
; NumSgprs: 40
; NumVgprs: 35
; ScratchSize: 0
; MemoryBound: 0
; FloatMode: 240
; IeeeMode: 1
; LDSByteSize: 576 bytes/workgroup (compile time only)
; SGPRBlocks: 4
; VGPRBlocks: 4
; NumSGPRsForWavesPerEU: 40
; NumVGPRsForWavesPerEU: 35
; Occupancy: 16
; WaveLimiterHint : 1
; COMPUTE_PGM_RSRC2:SCRATCH_EN: 0
; COMPUTE_PGM_RSRC2:USER_SGPR: 14
; COMPUTE_PGM_RSRC2:TRAP_HANDLER: 0
; COMPUTE_PGM_RSRC2:TGID_X_EN: 1
; COMPUTE_PGM_RSRC2:TGID_Y_EN: 1
; COMPUTE_PGM_RSRC2:TGID_Z_EN: 0
; COMPUTE_PGM_RSRC2:TIDIG_COMP_CNT: 1
	.section	.text._ZN9rocsparseL31bsrmm_large_blockdim_kernel_extILj16ELj16ELj2EiiaaiiEEvb20rocsparse_direction_T3_S2_llNS_24const_host_device_scalarIT7_EEPKT2_PKS2_PKT4_S2_PKT5_llS5_PT6_ll16rocsparse_order_21rocsparse_index_base_b,"axG",@progbits,_ZN9rocsparseL31bsrmm_large_blockdim_kernel_extILj16ELj16ELj2EiiaaiiEEvb20rocsparse_direction_T3_S2_llNS_24const_host_device_scalarIT7_EEPKT2_PKS2_PKT4_S2_PKT5_llS5_PT6_ll16rocsparse_order_21rocsparse_index_base_b,comdat
	.globl	_ZN9rocsparseL31bsrmm_large_blockdim_kernel_extILj16ELj16ELj2EiiaaiiEEvb20rocsparse_direction_T3_S2_llNS_24const_host_device_scalarIT7_EEPKT2_PKS2_PKT4_S2_PKT5_llS5_PT6_ll16rocsparse_order_21rocsparse_index_base_b ; -- Begin function _ZN9rocsparseL31bsrmm_large_blockdim_kernel_extILj16ELj16ELj2EiiaaiiEEvb20rocsparse_direction_T3_S2_llNS_24const_host_device_scalarIT7_EEPKT2_PKS2_PKT4_S2_PKT5_llS5_PT6_ll16rocsparse_order_21rocsparse_index_base_b
	.p2align	8
	.type	_ZN9rocsparseL31bsrmm_large_blockdim_kernel_extILj16ELj16ELj2EiiaaiiEEvb20rocsparse_direction_T3_S2_llNS_24const_host_device_scalarIT7_EEPKT2_PKS2_PKT4_S2_PKT5_llS5_PT6_ll16rocsparse_order_21rocsparse_index_base_b,@function
_ZN9rocsparseL31bsrmm_large_blockdim_kernel_extILj16ELj16ELj2EiiaaiiEEvb20rocsparse_direction_T3_S2_llNS_24const_host_device_scalarIT7_EEPKT2_PKS2_PKT4_S2_PKT5_llS5_PT6_ll16rocsparse_order_21rocsparse_index_base_b: ; @_ZN9rocsparseL31bsrmm_large_blockdim_kernel_extILj16ELj16ELj2EiiaaiiEEvb20rocsparse_direction_T3_S2_llNS_24const_host_device_scalarIT7_EEPKT2_PKS2_PKT4_S2_PKT5_llS5_PT6_ll16rocsparse_order_21rocsparse_index_base_b
; %bb.0:
	s_clause 0x1
	s_load_b128 s[16:19], s[0:1], 0x80
	s_load_b64 s[6:7], s[0:1], 0x20
	s_mov_b32 s2, s15
	s_mov_b32 s8, -1
                                        ; implicit-def: $sgpr28
	s_waitcnt lgkmcnt(0)
	s_bitcmp1_b32 s18, 0
	s_cselect_b32 s3, -1, 0
	s_delay_alu instid0(SALU_CYCLE_1) | instskip(NEXT) | instid1(SALU_CYCLE_1)
	s_xor_b32 s3, s3, -1
	s_and_b32 vcc_lo, exec_lo, s3
	s_cbranch_vccnz .LBB62_4
; %bb.1:
	s_load_b64 s[4:5], s[0:1], 0x60
	s_and_not1_b32 vcc_lo, exec_lo, s8
	s_cbranch_vccz .LBB62_5
.LBB62_2:
	s_and_b32 vcc_lo, exec_lo, s3
	s_cbranch_vccz .LBB62_6
.LBB62_3:
	s_waitcnt lgkmcnt(0)
	s_load_b32 s29, s[4:5], 0x0
	s_cbranch_execz .LBB62_7
	s_branch .LBB62_8
.LBB62_4:
	s_load_b32 s28, s[6:7], 0x0
	s_load_b64 s[4:5], s[0:1], 0x60
	s_cbranch_execnz .LBB62_2
.LBB62_5:
	s_waitcnt lgkmcnt(0)
	s_mov_b32 s28, s6
	s_and_b32 vcc_lo, exec_lo, s3
	s_cbranch_vccnz .LBB62_3
.LBB62_6:
                                        ; implicit-def: $sgpr29
.LBB62_7:
	s_waitcnt lgkmcnt(0)
	s_mov_b32 s29, s4
.LBB62_8:
	s_waitcnt lgkmcnt(0)
	s_cmp_eq_u32 s28, 0
	s_mov_b32 s6, 0
	s_cselect_b32 s3, -1, 0
	s_cmp_eq_u32 s29, 1
	s_cselect_b32 s4, -1, 0
	s_delay_alu instid0(SALU_CYCLE_1) | instskip(NEXT) | instid1(SALU_CYCLE_1)
	s_and_b32 s3, s3, s4
	s_and_b32 vcc_lo, exec_lo, s3
	s_cbranch_vccnz .LBB62_62
; %bb.9:
	s_clause 0x1
	s_load_b128 s[8:11], s[0:1], 0x0
	s_load_b64 s[4:5], s[0:1], 0x28
	s_waitcnt lgkmcnt(0)
	s_cmp_lt_i32 s14, s10
	s_cselect_b32 s30, -1, 0
	s_cmp_ge_i32 s14, s10
	s_cbranch_scc1 .LBB62_11
; %bb.10:
	s_ashr_i32 s15, s14, 31
	s_delay_alu instid0(SALU_CYCLE_1) | instskip(NEXT) | instid1(SALU_CYCLE_1)
	s_lshl_b64 s[6:7], s[14:15], 2
	s_add_u32 s6, s4, s6
	s_addc_u32 s7, s5, s7
	s_load_b32 s3, s[6:7], 0x0
	s_waitcnt lgkmcnt(0)
	s_sub_i32 s6, s3, s17
.LBB62_11:
	s_mov_b32 s18, 0
	s_and_not1_b32 vcc_lo, exec_lo, s30
	s_mov_b32 s15, 0
	s_cbranch_vccnz .LBB62_13
; %bb.12:
	s_ashr_i32 s15, s14, 31
	s_delay_alu instid0(SALU_CYCLE_1) | instskip(NEXT) | instid1(SALU_CYCLE_1)
	s_lshl_b64 s[12:13], s[14:15], 2
	s_add_u32 s4, s4, s12
	s_addc_u32 s5, s5, s13
	s_load_b32 s3, s[4:5], 0x4
	s_waitcnt lgkmcnt(0)
	s_sub_i32 s15, s3, s17
.LBB62_13:
	s_clause 0x1
	s_load_b32 s10, s[0:1], 0x40
	s_load_b64 s[12:13], s[0:1], 0x68
	v_bfe_u32 v10, v0, 10, 10
	s_mov_b32 s19, s18
	v_dual_mov_b32 v1, s18 :: v_dual_and_b32 v4, 0x3ff, v0
	v_mov_b32_e32 v2, s19
	s_delay_alu instid0(VALU_DEP_3) | instskip(SKIP_1) | instid1(VALU_DEP_1)
	v_lshl_add_u32 v3, s2, 5, v10
	s_cmp_ge_i32 s6, s15
	v_add_nc_u32_e32 v0, 16, v3
	v_cmp_gt_i32_e64 s3, s11, v3
	s_delay_alu instid0(VALU_DEP_2)
	v_cmp_gt_i32_e64 s4, s11, v0
	s_waitcnt lgkmcnt(0)
	v_cmp_gt_i32_e64 s2, s10, v4
	s_cbranch_scc1 .LBB62_42
; %bb.14:
	s_clause 0x1
	s_load_b128 s[20:23], s[0:1], 0x48
	s_load_b128 s[24:27], s[0:1], 0x30
	v_cmp_gt_i32_e32 vcc_lo, s10, v10
	v_mad_u64_u32 v[1:2], null, v10, s10, v[4:5]
	v_mad_u64_u32 v[16:17], null, v4, s10, v[10:11]
	v_ashrrev_i32_e32 v13, 31, v0
	s_mov_b32 s34, 0
	v_ashrrev_i32_e32 v12, 31, v3
	s_and_b32 s18, s2, vcc_lo
	s_bitcmp1_b32 s8, 0
	s_mov_b32 s35, s34
	v_lshlrev_b32_e32 v9, 4, v10
	s_cselect_b32 s5, -1, 0
	s_cmp_eq_u32 s9, 0
	v_lshl_add_u32 v2, v4, 4, v10
	s_cselect_b32 vcc_lo, -1, 0
	v_add_lshl_u32 v15, v9, v4, 2
	v_dual_cndmask_b32 v9, v1, v16 :: v_dual_lshlrev_b32 v16, 6, v10
	s_waitcnt lgkmcnt(0)
	v_mul_lo_u32 v18, v0, s23
	v_mul_lo_u32 v19, v13, s22
	v_mad_u64_u32 v[7:8], null, v0, s22, 0
	v_mul_lo_u32 v11, v3, s23
	v_mul_lo_u32 v17, v12, s22
	v_mad_u64_u32 v[5:6], null, v3, s22, 0
	s_add_i32 s7, s10, -1
	s_and_b32 s8, s10, 7
	s_cmp_gt_u32 s7, 6
	v_lshl_add_u32 v14, v2, 2, 0x800
	v_add3_u32 v8, v8, v18, v19
	v_dual_mov_b32 v1, s34 :: v_dual_add_nc_u32 v18, 0x400, v16
	s_delay_alu instid0(VALU_DEP_4)
	v_add3_u32 v6, v6, v11, v17
	s_cselect_b32 s9, -1, 0
	s_and_b32 s19, s10, -8
	v_lshl_add_u32 v17, v4, 6, 0x800
	v_mov_b32_e32 v2, s35
	s_cmp_lg_u32 s8, 0
	s_mul_i32 s33, s10, s10
	s_cselect_b32 s31, -1, 0
	s_branch .LBB62_17
.LBB62_15:                              ;   in Loop: Header=BB62_17 Depth=1
	s_or_b32 exec_lo, exec_lo, s34
.LBB62_16:                              ;   in Loop: Header=BB62_17 Depth=1
	s_delay_alu instid0(SALU_CYCLE_1) | instskip(SKIP_1) | instid1(SALU_CYCLE_1)
	s_or_b32 exec_lo, exec_lo, s7
	s_add_i32 s6, s6, 1
	s_cmp_ge_i32 s6, s15
	s_barrier
	buffer_gl0_inv
	s_cbranch_scc1 .LBB62_42
.LBB62_17:                              ; =>This Loop Header: Depth=1
                                        ;     Child Loop BB62_28 Depth 2
                                        ;     Child Loop BB62_32 Depth 2
	;; [unrolled: 1-line block ×4, first 2 shown]
	s_and_saveexec_b32 s34, s2
	s_cbranch_execz .LBB62_22
; %bb.18:                               ;   in Loop: Header=BB62_17 Depth=1
	s_ashr_i32 s7, s6, 31
	s_delay_alu instid0(SALU_CYCLE_1) | instskip(NEXT) | instid1(SALU_CYCLE_1)
	s_lshl_b64 s[36:37], s[6:7], 2
	s_add_u32 s36, s24, s36
	s_addc_u32 s37, s25, s37
	s_load_b32 s7, s[36:37], 0x0
	s_waitcnt lgkmcnt(0)
	s_sub_i32 s7, s7, s17
	s_delay_alu instid0(SALU_CYCLE_1) | instskip(NEXT) | instid1(VALU_DEP_1)
	v_mad_u64_u32 v[19:20], null, s7, s10, v[4:5]
	v_ashrrev_i32_e32 v20, 31, v19
	v_mul_lo_u32 v21, v19, s23
	v_mad_u64_u32 v[10:11], null, v19, s22, s[20:21]
	v_add_co_u32 v19, vcc_lo, s20, v19
	s_delay_alu instid0(VALU_DEP_4) | instskip(SKIP_1) | instid1(VALU_DEP_2)
	v_mul_lo_u32 v22, v20, s22
	v_add_co_ci_u32_e32 v20, vcc_lo, s21, v20, vcc_lo
	v_add3_u32 v11, v22, v11, v21
	s_and_saveexec_b32 s7, s3
	s_cbranch_execz .LBB62_20
; %bb.19:                               ;   in Loop: Header=BB62_17 Depth=1
	v_add_co_u32 v21, vcc_lo, v19, v5
	v_add_co_ci_u32_e32 v22, vcc_lo, v20, v6, vcc_lo
	v_add_co_u32 v23, vcc_lo, v10, v3
	v_add_co_ci_u32_e32 v24, vcc_lo, v11, v12, vcc_lo
	s_delay_alu instid0(VALU_DEP_2) | instskip(NEXT) | instid1(VALU_DEP_2)
	v_cndmask_b32_e64 v21, v23, v21, s5
	v_cndmask_b32_e64 v22, v24, v22, s5
	global_load_i8 v21, v[21:22], off
	s_waitcnt vmcnt(0)
	ds_store_b32 v15, v21
.LBB62_20:                              ;   in Loop: Header=BB62_17 Depth=1
	s_or_b32 exec_lo, exec_lo, s7
	s_delay_alu instid0(SALU_CYCLE_1)
	s_and_b32 exec_lo, exec_lo, s4
	s_cbranch_execz .LBB62_22
; %bb.21:                               ;   in Loop: Header=BB62_17 Depth=1
	v_add_co_u32 v19, vcc_lo, v19, v7
	v_add_co_ci_u32_e32 v20, vcc_lo, v20, v8, vcc_lo
	v_add_co_u32 v10, vcc_lo, v10, v0
	v_add_co_ci_u32_e32 v11, vcc_lo, v11, v13, vcc_lo
	s_delay_alu instid0(VALU_DEP_2) | instskip(NEXT) | instid1(VALU_DEP_2)
	v_cndmask_b32_e64 v10, v10, v19, s5
	v_cndmask_b32_e64 v11, v11, v20, s5
	global_load_i8 v10, v[10:11], off
	s_waitcnt vmcnt(0)
	ds_store_b32 v15, v10 offset:1024
.LBB62_22:                              ;   in Loop: Header=BB62_17 Depth=1
	s_or_b32 exec_lo, exec_lo, s34
	s_and_saveexec_b32 s7, s18
	s_cbranch_execz .LBB62_24
; %bb.23:                               ;   in Loop: Header=BB62_17 Depth=1
	v_mad_u64_u32 v[10:11], null, s33, s6, v[9:10]
	s_delay_alu instid0(VALU_DEP_1) | instskip(SKIP_1) | instid1(VALU_DEP_2)
	v_ashrrev_i32_e32 v11, 31, v10
	v_add_co_u32 v10, vcc_lo, s26, v10
	v_add_co_ci_u32_e32 v11, vcc_lo, s27, v11, vcc_lo
	global_load_i8 v10, v[10:11], off
	s_waitcnt vmcnt(0)
	ds_store_b32 v14, v10
.LBB62_24:                              ;   in Loop: Header=BB62_17 Depth=1
	s_or_b32 exec_lo, exec_lo, s7
	s_waitcnt lgkmcnt(0)
	s_barrier
	buffer_gl0_inv
	s_and_saveexec_b32 s7, s2
	s_cbranch_execz .LBB62_16
; %bb.25:                               ;   in Loop: Header=BB62_17 Depth=1
	s_and_saveexec_b32 s34, s3
	s_cbranch_execz .LBB62_34
; %bb.26:                               ;   in Loop: Header=BB62_17 Depth=1
	s_and_not1_b32 vcc_lo, exec_lo, s9
	s_cbranch_vccnz .LBB62_30
; %bb.27:                               ;   in Loop: Header=BB62_17 Depth=1
	v_dual_mov_b32 v10, v17 :: v_dual_mov_b32 v11, v16
	s_mov_b32 s35, 0
	s_set_inst_prefetch_distance 0x1
	.p2align	6
.LBB62_28:                              ;   Parent Loop BB62_17 Depth=1
                                        ; =>  This Inner Loop Header: Depth=2
	ds_load_b128 v[19:22], v11
	ds_load_b128 v[23:26], v10
	ds_load_b128 v[27:30], v10 offset:16
	ds_load_b128 v[31:34], v11 offset:16
	v_add_nc_u32_e32 v11, 32, v11
	v_add_nc_u32_e32 v10, 32, v10
	s_add_i32 s35, s35, 8
	s_delay_alu instid0(SALU_CYCLE_1)
	s_cmp_lg_u32 s19, s35
	s_waitcnt lgkmcnt(2)
	v_mul_lo_u32 v19, v19, v23
	v_mul_lo_u32 v20, v20, v24
	;; [unrolled: 1-line block ×4, first 2 shown]
	s_delay_alu instid0(VALU_DEP_3) | instskip(SKIP_3) | instid1(VALU_DEP_3)
	v_add3_u32 v1, v19, v1, v20
	s_waitcnt lgkmcnt(0)
	v_mul_lo_u32 v19, v31, v27
	v_mul_lo_u32 v20, v32, v28
	v_add3_u32 v1, v21, v1, v22
	v_mul_lo_u32 v21, v33, v29
	v_mul_lo_u32 v22, v34, v30
	s_delay_alu instid0(VALU_DEP_3) | instskip(NEXT) | instid1(VALU_DEP_1)
	v_add3_u32 v1, v19, v1, v20
	v_add3_u32 v1, v21, v1, v22
	s_cbranch_scc1 .LBB62_28
; %bb.29:                               ;   in Loop: Header=BB62_17 Depth=1
	s_set_inst_prefetch_distance 0x2
	s_mov_b32 s35, s19
	s_and_not1_b32 vcc_lo, exec_lo, s31
	s_cbranch_vccz .LBB62_31
	s_branch .LBB62_34
.LBB62_30:                              ;   in Loop: Header=BB62_17 Depth=1
	s_mov_b32 s35, 0
	s_and_not1_b32 vcc_lo, exec_lo, s31
	s_cbranch_vccnz .LBB62_34
.LBB62_31:                              ;   in Loop: Header=BB62_17 Depth=1
	s_lshl_b32 s35, s35, 2
	s_delay_alu instid0(SALU_CYCLE_1)
	v_add_nc_u32_e32 v19, s35, v16
	v_add_nc_u32_e32 v20, s35, v17
	s_mov_b32 s35, s8
.LBB62_32:                              ;   Parent Loop BB62_17 Depth=1
                                        ; =>  This Inner Loop Header: Depth=2
	ds_load_b32 v21, v20
	ds_load_b32 v22, v19
	s_add_i32 s35, s35, -1
	v_add_nc_u32_e32 v20, 4, v20
	s_cmp_lg_u32 s35, 0
	s_waitcnt lgkmcnt(0)
	v_mad_u64_u32 v[10:11], null, v22, v21, v[1:2]
	v_mov_b32_e32 v11, v2
	v_add_nc_u32_e32 v19, 4, v19
	s_delay_alu instid0(VALU_DEP_2)
	v_dual_mov_b32 v1, v10 :: v_dual_mov_b32 v2, v11
	s_cbranch_scc1 .LBB62_32
; %bb.33:                               ;   in Loop: Header=BB62_17 Depth=1
	v_dual_mov_b32 v1, v10 :: v_dual_mov_b32 v2, v11
.LBB62_34:                              ;   in Loop: Header=BB62_17 Depth=1
	s_or_b32 exec_lo, exec_lo, s34
	s_and_saveexec_b32 s34, s4
	s_cbranch_execz .LBB62_15
; %bb.35:                               ;   in Loop: Header=BB62_17 Depth=1
	s_and_not1_b32 vcc_lo, exec_lo, s9
	s_cbranch_vccnz .LBB62_39
; %bb.36:                               ;   in Loop: Header=BB62_17 Depth=1
	v_dual_mov_b32 v10, v17 :: v_dual_mov_b32 v11, v18
	s_mov_b32 s35, 0
	s_set_inst_prefetch_distance 0x1
	.p2align	6
.LBB62_37:                              ;   Parent Loop BB62_17 Depth=1
                                        ; =>  This Inner Loop Header: Depth=2
	ds_load_b128 v[19:22], v11
	ds_load_b128 v[23:26], v10
	ds_load_b128 v[27:30], v10 offset:16
	ds_load_b128 v[31:34], v11 offset:16
	v_add_nc_u32_e32 v11, 32, v11
	v_add_nc_u32_e32 v10, 32, v10
	s_add_i32 s35, s35, 8
	s_delay_alu instid0(SALU_CYCLE_1)
	s_cmp_lg_u32 s19, s35
	s_waitcnt lgkmcnt(2)
	v_mul_lo_u32 v19, v19, v23
	v_mul_lo_u32 v20, v20, v24
	;; [unrolled: 1-line block ×4, first 2 shown]
	s_delay_alu instid0(VALU_DEP_3) | instskip(SKIP_3) | instid1(VALU_DEP_3)
	v_add3_u32 v2, v19, v2, v20
	s_waitcnt lgkmcnt(0)
	v_mul_lo_u32 v19, v31, v27
	v_mul_lo_u32 v20, v32, v28
	v_add3_u32 v2, v21, v2, v22
	v_mul_lo_u32 v21, v33, v29
	v_mul_lo_u32 v22, v34, v30
	s_delay_alu instid0(VALU_DEP_3) | instskip(NEXT) | instid1(VALU_DEP_1)
	v_add3_u32 v2, v19, v2, v20
	v_add3_u32 v2, v21, v2, v22
	s_cbranch_scc1 .LBB62_37
; %bb.38:                               ;   in Loop: Header=BB62_17 Depth=1
	s_set_inst_prefetch_distance 0x2
	s_mov_b32 s35, s19
	s_and_not1_b32 vcc_lo, exec_lo, s31
	s_cbranch_vccz .LBB62_40
	s_branch .LBB62_15
.LBB62_39:                              ;   in Loop: Header=BB62_17 Depth=1
	s_mov_b32 s35, 0
	s_and_not1_b32 vcc_lo, exec_lo, s31
	s_cbranch_vccnz .LBB62_15
.LBB62_40:                              ;   in Loop: Header=BB62_17 Depth=1
	s_lshl_b32 s35, s35, 2
	s_delay_alu instid0(SALU_CYCLE_1)
	v_add_nc_u32_e32 v10, s35, v18
	v_add_nc_u32_e32 v11, s35, v17
	s_mov_b32 s35, s8
.LBB62_41:                              ;   Parent Loop BB62_17 Depth=1
                                        ; =>  This Inner Loop Header: Depth=2
	ds_load_b32 v21, v11
	ds_load_b32 v22, v10
	v_add_nc_u32_e32 v10, 4, v10
	s_add_i32 s35, s35, -1
	s_delay_alu instid0(SALU_CYCLE_1) | instskip(SKIP_2) | instid1(VALU_DEP_1)
	s_cmp_lg_u32 s35, 0
	s_waitcnt lgkmcnt(0)
	v_mad_u64_u32 v[19:20], null, v22, v21, v[2:3]
	v_dual_mov_b32 v2, v19 :: v_dual_add_nc_u32 v11, 4, v11
	s_cbranch_scc1 .LBB62_41
	s_branch .LBB62_15
.LBB62_42:
	s_delay_alu instid0(VALU_DEP_1) | instskip(NEXT) | instid1(SALU_CYCLE_1)
	s_and_b32 s2, s30, s2
	s_and_saveexec_b32 s3, s2
	s_cbranch_execz .LBB62_62
; %bb.43:
	s_load_b64 s[2:3], s[0:1], 0x70
	v_mad_u64_u32 v[5:6], null, s14, s10, v[4:5]
	s_cmp_lg_u32 s29, 0
	s_mov_b32 s0, exec_lo
	s_cselect_b32 s4, -1, 0
	s_cmp_lg_u32 s16, 1
	s_cselect_b32 s1, -1, 0
	s_delay_alu instid0(VALU_DEP_1) | instskip(SKIP_1) | instid1(VALU_DEP_1)
	v_ashrrev_i32_e32 v6, 31, v5
	s_waitcnt lgkmcnt(0)
	v_mul_lo_u32 v4, v6, s2
	v_mul_lo_u32 v9, v5, s3
	v_mad_u64_u32 v[7:8], null, v5, s2, 0
	v_lshlrev_b64 v[5:6], 2, v[5:6]
	s_delay_alu instid0(VALU_DEP_1) | instskip(NEXT) | instid1(VALU_DEP_3)
	v_add_co_u32 v5, vcc_lo, s12, v5
	v_add3_u32 v8, v8, v9, v4
	s_delay_alu instid0(VALU_DEP_3) | instskip(NEXT) | instid1(VALU_DEP_2)
	v_add_co_ci_u32_e32 v6, vcc_lo, s13, v6, vcc_lo
	v_lshlrev_b64 v[7:8], 2, v[7:8]
	s_delay_alu instid0(VALU_DEP_1) | instskip(NEXT) | instid1(VALU_DEP_2)
	v_add_co_u32 v7, vcc_lo, s12, v7
	v_add_co_ci_u32_e32 v8, vcc_lo, s13, v8, vcc_lo
	v_cmpx_gt_i32_e64 s11, v3
	s_cbranch_execz .LBB62_55
; %bb.44:
	v_ashrrev_i32_e32 v4, 31, v3
	s_and_b32 vcc_lo, exec_lo, s4
	s_cbranch_vccz .LBB62_50
; %bb.45:
	s_and_b32 vcc_lo, exec_lo, s1
	s_mov_b32 s5, -1
	s_cbranch_vccz .LBB62_47
; %bb.46:
	v_lshlrev_b64 v[9:10], 2, v[3:4]
	v_mul_lo_u32 v11, v1, s28
	s_mov_b32 s5, 0
	s_delay_alu instid0(VALU_DEP_2) | instskip(NEXT) | instid1(VALU_DEP_3)
	v_add_co_u32 v9, vcc_lo, v7, v9
	v_add_co_ci_u32_e32 v10, vcc_lo, v8, v10, vcc_lo
	global_load_b32 v14, v[9:10], off
	s_waitcnt vmcnt(0)
	v_mad_u64_u32 v[12:13], null, v14, s29, v[11:12]
	global_store_b32 v[9:10], v12, off
.LBB62_47:
	s_and_not1_b32 vcc_lo, exec_lo, s5
	s_cbranch_vccnz .LBB62_49
; %bb.48:
	v_mul_lo_u32 v11, v4, s2
	v_mul_lo_u32 v12, v3, s3
	v_mad_u64_u32 v[9:10], null, v3, s2, 0
	s_delay_alu instid0(VALU_DEP_1) | instskip(SKIP_1) | instid1(VALU_DEP_2)
	v_add3_u32 v10, v10, v12, v11
	v_mul_lo_u32 v11, v1, s28
	v_lshlrev_b64 v[9:10], 2, v[9:10]
	s_delay_alu instid0(VALU_DEP_1) | instskip(NEXT) | instid1(VALU_DEP_2)
	v_add_co_u32 v9, vcc_lo, v5, v9
	v_add_co_ci_u32_e32 v10, vcc_lo, v6, v10, vcc_lo
	global_load_b32 v14, v[9:10], off
	s_waitcnt vmcnt(0)
	v_mad_u64_u32 v[12:13], null, v14, s29, v[11:12]
	global_store_b32 v[9:10], v12, off
.LBB62_49:
	s_cbranch_execz .LBB62_51
	s_branch .LBB62_55
.LBB62_50:
.LBB62_51:
	v_mul_lo_u32 v1, v1, s28
	s_and_b32 vcc_lo, exec_lo, s1
	s_mov_b32 s5, -1
	s_cbranch_vccz .LBB62_53
; %bb.52:
	v_lshlrev_b64 v[9:10], 2, v[3:4]
	s_mov_b32 s5, 0
	s_delay_alu instid0(VALU_DEP_1) | instskip(NEXT) | instid1(VALU_DEP_2)
	v_add_co_u32 v9, vcc_lo, v7, v9
	v_add_co_ci_u32_e32 v10, vcc_lo, v8, v10, vcc_lo
	global_store_b32 v[9:10], v1, off
.LBB62_53:
	s_and_not1_b32 vcc_lo, exec_lo, s5
	s_cbranch_vccnz .LBB62_55
; %bb.54:
	v_mul_lo_u32 v4, v4, s2
	v_mul_lo_u32 v11, v3, s3
	v_mad_u64_u32 v[9:10], null, v3, s2, 0
	s_delay_alu instid0(VALU_DEP_1) | instskip(NEXT) | instid1(VALU_DEP_1)
	v_add3_u32 v10, v10, v11, v4
	v_lshlrev_b64 v[3:4], 2, v[9:10]
	s_delay_alu instid0(VALU_DEP_1) | instskip(NEXT) | instid1(VALU_DEP_2)
	v_add_co_u32 v3, vcc_lo, v5, v3
	v_add_co_ci_u32_e32 v4, vcc_lo, v6, v4, vcc_lo
	global_store_b32 v[3:4], v1, off
.LBB62_55:
	s_or_b32 exec_lo, exec_lo, s0
	v_cmp_gt_i32_e32 vcc_lo, s11, v0
	s_and_b32 exec_lo, exec_lo, vcc_lo
	s_cbranch_execz .LBB62_62
; %bb.56:
	v_cndmask_b32_e64 v3, 0, 1, s1
	v_ashrrev_i32_e32 v1, 31, v0
	s_and_not1_b32 vcc_lo, exec_lo, s4
	s_delay_alu instid0(VALU_DEP_2)
	v_cmp_ne_u32_e64 s0, 1, v3
	s_cbranch_vccnz .LBB62_63
; %bb.57:
	s_delay_alu instid0(VALU_DEP_1)
	s_and_b32 vcc_lo, exec_lo, s0
	s_mov_b32 s0, -1
	s_cbranch_vccnz .LBB62_59
; %bb.58:
	v_lshlrev_b64 v[3:4], 2, v[0:1]
	v_mul_lo_u32 v9, v2, s28
	s_mov_b32 s0, 0
	s_delay_alu instid0(VALU_DEP_2) | instskip(NEXT) | instid1(VALU_DEP_3)
	v_add_co_u32 v3, vcc_lo, v7, v3
	v_add_co_ci_u32_e32 v4, vcc_lo, v8, v4, vcc_lo
	global_load_b32 v12, v[3:4], off
	s_waitcnt vmcnt(0)
	v_mad_u64_u32 v[10:11], null, v12, s29, v[9:10]
	global_store_b32 v[3:4], v10, off
.LBB62_59:
	s_and_not1_b32 vcc_lo, exec_lo, s0
	s_cbranch_vccnz .LBB62_61
; %bb.60:
	v_mul_lo_u32 v9, v1, s2
	v_mul_lo_u32 v10, v0, s3
	v_mad_u64_u32 v[3:4], null, v0, s2, 0
	s_delay_alu instid0(VALU_DEP_1) | instskip(SKIP_1) | instid1(VALU_DEP_2)
	v_add3_u32 v4, v4, v10, v9
	v_mul_lo_u32 v9, v2, s28
	v_lshlrev_b64 v[3:4], 2, v[3:4]
	s_delay_alu instid0(VALU_DEP_1) | instskip(NEXT) | instid1(VALU_DEP_2)
	v_add_co_u32 v3, vcc_lo, v5, v3
	v_add_co_ci_u32_e32 v4, vcc_lo, v6, v4, vcc_lo
	global_load_b32 v12, v[3:4], off
	s_waitcnt vmcnt(0)
	v_mad_u64_u32 v[10:11], null, v12, s29, v[9:10]
	global_store_b32 v[3:4], v10, off
.LBB62_61:
	s_cbranch_execz .LBB62_64
.LBB62_62:
	s_nop 0
	s_sendmsg sendmsg(MSG_DEALLOC_VGPRS)
	s_endpgm
.LBB62_63:
.LBB62_64:
	v_mul_lo_u32 v2, v2, s28
	s_and_not1_b32 vcc_lo, exec_lo, s1
	s_mov_b32 s0, -1
	s_cbranch_vccnz .LBB62_66
; %bb.65:
	v_lshlrev_b64 v[3:4], 2, v[0:1]
	s_mov_b32 s0, 0
	s_delay_alu instid0(VALU_DEP_1) | instskip(NEXT) | instid1(VALU_DEP_2)
	v_add_co_u32 v3, vcc_lo, v7, v3
	v_add_co_ci_u32_e32 v4, vcc_lo, v8, v4, vcc_lo
	global_store_b32 v[3:4], v2, off
.LBB62_66:
	s_and_not1_b32 vcc_lo, exec_lo, s0
	s_cbranch_vccnz .LBB62_62
; %bb.67:
	v_mul_lo_u32 v1, v1, s2
	v_mul_lo_u32 v7, v0, s3
	v_mad_u64_u32 v[3:4], null, v0, s2, 0
	s_delay_alu instid0(VALU_DEP_1) | instskip(NEXT) | instid1(VALU_DEP_1)
	v_add3_u32 v4, v4, v7, v1
	v_lshlrev_b64 v[0:1], 2, v[3:4]
	s_delay_alu instid0(VALU_DEP_1) | instskip(NEXT) | instid1(VALU_DEP_2)
	v_add_co_u32 v0, vcc_lo, v5, v0
	v_add_co_ci_u32_e32 v1, vcc_lo, v6, v1, vcc_lo
	global_store_b32 v[0:1], v2, off
	s_nop 0
	s_sendmsg sendmsg(MSG_DEALLOC_VGPRS)
	s_endpgm
	.section	.rodata,"a",@progbits
	.p2align	6, 0x0
	.amdhsa_kernel _ZN9rocsparseL31bsrmm_large_blockdim_kernel_extILj16ELj16ELj2EiiaaiiEEvb20rocsparse_direction_T3_S2_llNS_24const_host_device_scalarIT7_EEPKT2_PKS2_PKT4_S2_PKT5_llS5_PT6_ll16rocsparse_order_21rocsparse_index_base_b
		.amdhsa_group_segment_fixed_size 3072
		.amdhsa_private_segment_fixed_size 0
		.amdhsa_kernarg_size 140
		.amdhsa_user_sgpr_count 14
		.amdhsa_user_sgpr_dispatch_ptr 0
		.amdhsa_user_sgpr_queue_ptr 0
		.amdhsa_user_sgpr_kernarg_segment_ptr 1
		.amdhsa_user_sgpr_dispatch_id 0
		.amdhsa_user_sgpr_private_segment_size 0
		.amdhsa_wavefront_size32 1
		.amdhsa_uses_dynamic_stack 0
		.amdhsa_enable_private_segment 0
		.amdhsa_system_sgpr_workgroup_id_x 1
		.amdhsa_system_sgpr_workgroup_id_y 1
		.amdhsa_system_sgpr_workgroup_id_z 0
		.amdhsa_system_sgpr_workgroup_info 0
		.amdhsa_system_vgpr_workitem_id 1
		.amdhsa_next_free_vgpr 35
		.amdhsa_next_free_sgpr 38
		.amdhsa_reserve_vcc 1
		.amdhsa_float_round_mode_32 0
		.amdhsa_float_round_mode_16_64 0
		.amdhsa_float_denorm_mode_32 3
		.amdhsa_float_denorm_mode_16_64 3
		.amdhsa_dx10_clamp 1
		.amdhsa_ieee_mode 1
		.amdhsa_fp16_overflow 0
		.amdhsa_workgroup_processor_mode 1
		.amdhsa_memory_ordered 1
		.amdhsa_forward_progress 0
		.amdhsa_shared_vgpr_count 0
		.amdhsa_exception_fp_ieee_invalid_op 0
		.amdhsa_exception_fp_denorm_src 0
		.amdhsa_exception_fp_ieee_div_zero 0
		.amdhsa_exception_fp_ieee_overflow 0
		.amdhsa_exception_fp_ieee_underflow 0
		.amdhsa_exception_fp_ieee_inexact 0
		.amdhsa_exception_int_div_zero 0
	.end_amdhsa_kernel
	.section	.text._ZN9rocsparseL31bsrmm_large_blockdim_kernel_extILj16ELj16ELj2EiiaaiiEEvb20rocsparse_direction_T3_S2_llNS_24const_host_device_scalarIT7_EEPKT2_PKS2_PKT4_S2_PKT5_llS5_PT6_ll16rocsparse_order_21rocsparse_index_base_b,"axG",@progbits,_ZN9rocsparseL31bsrmm_large_blockdim_kernel_extILj16ELj16ELj2EiiaaiiEEvb20rocsparse_direction_T3_S2_llNS_24const_host_device_scalarIT7_EEPKT2_PKS2_PKT4_S2_PKT5_llS5_PT6_ll16rocsparse_order_21rocsparse_index_base_b,comdat
.Lfunc_end62:
	.size	_ZN9rocsparseL31bsrmm_large_blockdim_kernel_extILj16ELj16ELj2EiiaaiiEEvb20rocsparse_direction_T3_S2_llNS_24const_host_device_scalarIT7_EEPKT2_PKS2_PKT4_S2_PKT5_llS5_PT6_ll16rocsparse_order_21rocsparse_index_base_b, .Lfunc_end62-_ZN9rocsparseL31bsrmm_large_blockdim_kernel_extILj16ELj16ELj2EiiaaiiEEvb20rocsparse_direction_T3_S2_llNS_24const_host_device_scalarIT7_EEPKT2_PKS2_PKT4_S2_PKT5_llS5_PT6_ll16rocsparse_order_21rocsparse_index_base_b
                                        ; -- End function
	.section	.AMDGPU.csdata,"",@progbits
; Kernel info:
; codeLenInByte = 2576
; NumSgprs: 40
; NumVgprs: 35
; ScratchSize: 0
; MemoryBound: 0
; FloatMode: 240
; IeeeMode: 1
; LDSByteSize: 3072 bytes/workgroup (compile time only)
; SGPRBlocks: 4
; VGPRBlocks: 4
; NumSGPRsForWavesPerEU: 40
; NumVGPRsForWavesPerEU: 35
; Occupancy: 16
; WaveLimiterHint : 1
; COMPUTE_PGM_RSRC2:SCRATCH_EN: 0
; COMPUTE_PGM_RSRC2:USER_SGPR: 14
; COMPUTE_PGM_RSRC2:TRAP_HANDLER: 0
; COMPUTE_PGM_RSRC2:TGID_X_EN: 1
; COMPUTE_PGM_RSRC2:TGID_Y_EN: 1
; COMPUTE_PGM_RSRC2:TGID_Z_EN: 0
; COMPUTE_PGM_RSRC2:TIDIG_COMP_CNT: 1
	.section	.text._ZN9rocsparseL31bsrmm_large_blockdim_kernel_extILj32ELj32ELj2EiiaaiiEEvb20rocsparse_direction_T3_S2_llNS_24const_host_device_scalarIT7_EEPKT2_PKS2_PKT4_S2_PKT5_llS5_PT6_ll16rocsparse_order_21rocsparse_index_base_b,"axG",@progbits,_ZN9rocsparseL31bsrmm_large_blockdim_kernel_extILj32ELj32ELj2EiiaaiiEEvb20rocsparse_direction_T3_S2_llNS_24const_host_device_scalarIT7_EEPKT2_PKS2_PKT4_S2_PKT5_llS5_PT6_ll16rocsparse_order_21rocsparse_index_base_b,comdat
	.globl	_ZN9rocsparseL31bsrmm_large_blockdim_kernel_extILj32ELj32ELj2EiiaaiiEEvb20rocsparse_direction_T3_S2_llNS_24const_host_device_scalarIT7_EEPKT2_PKS2_PKT4_S2_PKT5_llS5_PT6_ll16rocsparse_order_21rocsparse_index_base_b ; -- Begin function _ZN9rocsparseL31bsrmm_large_blockdim_kernel_extILj32ELj32ELj2EiiaaiiEEvb20rocsparse_direction_T3_S2_llNS_24const_host_device_scalarIT7_EEPKT2_PKS2_PKT4_S2_PKT5_llS5_PT6_ll16rocsparse_order_21rocsparse_index_base_b
	.p2align	8
	.type	_ZN9rocsparseL31bsrmm_large_blockdim_kernel_extILj32ELj32ELj2EiiaaiiEEvb20rocsparse_direction_T3_S2_llNS_24const_host_device_scalarIT7_EEPKT2_PKS2_PKT4_S2_PKT5_llS5_PT6_ll16rocsparse_order_21rocsparse_index_base_b,@function
_ZN9rocsparseL31bsrmm_large_blockdim_kernel_extILj32ELj32ELj2EiiaaiiEEvb20rocsparse_direction_T3_S2_llNS_24const_host_device_scalarIT7_EEPKT2_PKS2_PKT4_S2_PKT5_llS5_PT6_ll16rocsparse_order_21rocsparse_index_base_b: ; @_ZN9rocsparseL31bsrmm_large_blockdim_kernel_extILj32ELj32ELj2EiiaaiiEEvb20rocsparse_direction_T3_S2_llNS_24const_host_device_scalarIT7_EEPKT2_PKS2_PKT4_S2_PKT5_llS5_PT6_ll16rocsparse_order_21rocsparse_index_base_b
; %bb.0:
	s_clause 0x1
	s_load_b128 s[16:19], s[0:1], 0x80
	s_load_b64 s[6:7], s[0:1], 0x20
	s_mov_b32 s2, s15
	s_mov_b32 s8, -1
                                        ; implicit-def: $sgpr28
	s_waitcnt lgkmcnt(0)
	s_bitcmp1_b32 s18, 0
	s_cselect_b32 s3, -1, 0
	s_delay_alu instid0(SALU_CYCLE_1) | instskip(NEXT) | instid1(SALU_CYCLE_1)
	s_xor_b32 s3, s3, -1
	s_and_b32 vcc_lo, exec_lo, s3
	s_cbranch_vccnz .LBB63_4
; %bb.1:
	s_load_b64 s[4:5], s[0:1], 0x60
	s_and_not1_b32 vcc_lo, exec_lo, s8
	s_cbranch_vccz .LBB63_5
.LBB63_2:
	s_and_b32 vcc_lo, exec_lo, s3
	s_cbranch_vccz .LBB63_6
.LBB63_3:
	s_waitcnt lgkmcnt(0)
	s_load_b32 s29, s[4:5], 0x0
	s_cbranch_execz .LBB63_7
	s_branch .LBB63_8
.LBB63_4:
	s_load_b32 s28, s[6:7], 0x0
	s_load_b64 s[4:5], s[0:1], 0x60
	s_cbranch_execnz .LBB63_2
.LBB63_5:
	s_waitcnt lgkmcnt(0)
	s_mov_b32 s28, s6
	s_and_b32 vcc_lo, exec_lo, s3
	s_cbranch_vccnz .LBB63_3
.LBB63_6:
                                        ; implicit-def: $sgpr29
.LBB63_7:
	s_waitcnt lgkmcnt(0)
	s_mov_b32 s29, s4
.LBB63_8:
	s_waitcnt lgkmcnt(0)
	s_cmp_eq_u32 s28, 0
	s_mov_b32 s6, 0
	s_cselect_b32 s3, -1, 0
	s_cmp_eq_u32 s29, 1
	s_cselect_b32 s4, -1, 0
	s_delay_alu instid0(SALU_CYCLE_1) | instskip(NEXT) | instid1(SALU_CYCLE_1)
	s_and_b32 s3, s3, s4
	s_and_b32 vcc_lo, exec_lo, s3
	s_cbranch_vccnz .LBB63_62
; %bb.9:
	s_clause 0x1
	s_load_b128 s[8:11], s[0:1], 0x0
	s_load_b64 s[4:5], s[0:1], 0x28
	s_waitcnt lgkmcnt(0)
	s_cmp_lt_i32 s14, s10
	s_cselect_b32 s30, -1, 0
	s_cmp_ge_i32 s14, s10
	s_cbranch_scc1 .LBB63_11
; %bb.10:
	s_ashr_i32 s15, s14, 31
	s_delay_alu instid0(SALU_CYCLE_1) | instskip(NEXT) | instid1(SALU_CYCLE_1)
	s_lshl_b64 s[6:7], s[14:15], 2
	s_add_u32 s6, s4, s6
	s_addc_u32 s7, s5, s7
	s_load_b32 s3, s[6:7], 0x0
	s_waitcnt lgkmcnt(0)
	s_sub_i32 s6, s3, s17
.LBB63_11:
	s_mov_b32 s18, 0
	s_and_not1_b32 vcc_lo, exec_lo, s30
	s_mov_b32 s15, 0
	s_cbranch_vccnz .LBB63_13
; %bb.12:
	s_ashr_i32 s15, s14, 31
	s_delay_alu instid0(SALU_CYCLE_1) | instskip(NEXT) | instid1(SALU_CYCLE_1)
	s_lshl_b64 s[12:13], s[14:15], 2
	s_add_u32 s4, s4, s12
	s_addc_u32 s5, s5, s13
	s_load_b32 s3, s[4:5], 0x4
	s_waitcnt lgkmcnt(0)
	s_sub_i32 s15, s3, s17
.LBB63_13:
	s_clause 0x1
	s_load_b32 s10, s[0:1], 0x40
	s_load_b64 s[12:13], s[0:1], 0x68
	v_bfe_u32 v10, v0, 10, 10
	s_mov_b32 s19, s18
	v_dual_mov_b32 v1, s18 :: v_dual_and_b32 v4, 0x3ff, v0
	v_mov_b32_e32 v2, s19
	s_delay_alu instid0(VALU_DEP_3) | instskip(SKIP_1) | instid1(VALU_DEP_1)
	v_lshl_add_u32 v3, s2, 6, v10
	s_cmp_ge_i32 s6, s15
	v_add_nc_u32_e32 v0, 32, v3
	v_cmp_gt_i32_e64 s3, s11, v3
	s_delay_alu instid0(VALU_DEP_2)
	v_cmp_gt_i32_e64 s4, s11, v0
	s_waitcnt lgkmcnt(0)
	v_cmp_gt_i32_e64 s2, s10, v4
	s_cbranch_scc1 .LBB63_42
; %bb.14:
	s_clause 0x1
	s_load_b128 s[20:23], s[0:1], 0x48
	s_load_b128 s[24:27], s[0:1], 0x30
	v_cmp_gt_i32_e32 vcc_lo, s10, v10
	v_mad_u64_u32 v[1:2], null, v10, s10, v[4:5]
	v_mad_u64_u32 v[16:17], null, v4, s10, v[10:11]
	v_ashrrev_i32_e32 v13, 31, v0
	s_mov_b32 s34, 0
	v_ashrrev_i32_e32 v12, 31, v3
	s_and_b32 s18, s2, vcc_lo
	s_bitcmp1_b32 s8, 0
	s_mov_b32 s35, s34
	v_lshlrev_b32_e32 v9, 5, v10
	s_cselect_b32 s5, -1, 0
	s_cmp_eq_u32 s9, 0
	v_lshl_add_u32 v2, v4, 5, v10
	s_cselect_b32 vcc_lo, -1, 0
	v_add_lshl_u32 v15, v9, v4, 2
	v_dual_cndmask_b32 v9, v1, v16 :: v_dual_lshlrev_b32 v16, 7, v10
	s_waitcnt lgkmcnt(0)
	v_mul_lo_u32 v18, v0, s23
	v_mul_lo_u32 v19, v13, s22
	v_mad_u64_u32 v[7:8], null, v0, s22, 0
	v_mul_lo_u32 v11, v3, s23
	v_mul_lo_u32 v17, v12, s22
	v_mad_u64_u32 v[5:6], null, v3, s22, 0
	s_add_i32 s7, s10, -1
	s_and_b32 s8, s10, 7
	s_cmp_gt_u32 s7, 6
	v_lshl_add_u32 v14, v2, 2, 0x2000
	v_add3_u32 v8, v8, v18, v19
	v_dual_mov_b32 v1, s34 :: v_dual_add_nc_u32 v18, 0x1000, v16
	s_delay_alu instid0(VALU_DEP_4)
	v_add3_u32 v6, v6, v11, v17
	s_cselect_b32 s9, -1, 0
	s_and_b32 s19, s10, -8
	v_lshl_add_u32 v17, v4, 7, 0x2000
	v_mov_b32_e32 v2, s35
	s_cmp_lg_u32 s8, 0
	s_mul_i32 s33, s10, s10
	s_cselect_b32 s31, -1, 0
	s_branch .LBB63_17
.LBB63_15:                              ;   in Loop: Header=BB63_17 Depth=1
	s_or_b32 exec_lo, exec_lo, s34
.LBB63_16:                              ;   in Loop: Header=BB63_17 Depth=1
	s_delay_alu instid0(SALU_CYCLE_1) | instskip(SKIP_1) | instid1(SALU_CYCLE_1)
	s_or_b32 exec_lo, exec_lo, s7
	s_add_i32 s6, s6, 1
	s_cmp_ge_i32 s6, s15
	s_barrier
	buffer_gl0_inv
	s_cbranch_scc1 .LBB63_42
.LBB63_17:                              ; =>This Loop Header: Depth=1
                                        ;     Child Loop BB63_28 Depth 2
                                        ;     Child Loop BB63_32 Depth 2
                                        ;     Child Loop BB63_37 Depth 2
                                        ;     Child Loop BB63_41 Depth 2
	s_and_saveexec_b32 s34, s2
	s_cbranch_execz .LBB63_22
; %bb.18:                               ;   in Loop: Header=BB63_17 Depth=1
	s_ashr_i32 s7, s6, 31
	s_delay_alu instid0(SALU_CYCLE_1) | instskip(NEXT) | instid1(SALU_CYCLE_1)
	s_lshl_b64 s[36:37], s[6:7], 2
	s_add_u32 s36, s24, s36
	s_addc_u32 s37, s25, s37
	s_load_b32 s7, s[36:37], 0x0
	s_waitcnt lgkmcnt(0)
	s_sub_i32 s7, s7, s17
	s_delay_alu instid0(SALU_CYCLE_1) | instskip(NEXT) | instid1(VALU_DEP_1)
	v_mad_u64_u32 v[19:20], null, s7, s10, v[4:5]
	v_ashrrev_i32_e32 v20, 31, v19
	v_mul_lo_u32 v21, v19, s23
	v_mad_u64_u32 v[10:11], null, v19, s22, s[20:21]
	v_add_co_u32 v19, vcc_lo, s20, v19
	s_delay_alu instid0(VALU_DEP_4) | instskip(SKIP_1) | instid1(VALU_DEP_2)
	v_mul_lo_u32 v22, v20, s22
	v_add_co_ci_u32_e32 v20, vcc_lo, s21, v20, vcc_lo
	v_add3_u32 v11, v22, v11, v21
	s_and_saveexec_b32 s7, s3
	s_cbranch_execz .LBB63_20
; %bb.19:                               ;   in Loop: Header=BB63_17 Depth=1
	v_add_co_u32 v21, vcc_lo, v19, v5
	v_add_co_ci_u32_e32 v22, vcc_lo, v20, v6, vcc_lo
	v_add_co_u32 v23, vcc_lo, v10, v3
	v_add_co_ci_u32_e32 v24, vcc_lo, v11, v12, vcc_lo
	s_delay_alu instid0(VALU_DEP_2) | instskip(NEXT) | instid1(VALU_DEP_2)
	v_cndmask_b32_e64 v21, v23, v21, s5
	v_cndmask_b32_e64 v22, v24, v22, s5
	global_load_i8 v21, v[21:22], off
	s_waitcnt vmcnt(0)
	ds_store_b32 v15, v21
.LBB63_20:                              ;   in Loop: Header=BB63_17 Depth=1
	s_or_b32 exec_lo, exec_lo, s7
	s_delay_alu instid0(SALU_CYCLE_1)
	s_and_b32 exec_lo, exec_lo, s4
	s_cbranch_execz .LBB63_22
; %bb.21:                               ;   in Loop: Header=BB63_17 Depth=1
	v_add_co_u32 v19, vcc_lo, v19, v7
	v_add_co_ci_u32_e32 v20, vcc_lo, v20, v8, vcc_lo
	v_add_co_u32 v10, vcc_lo, v10, v0
	v_add_co_ci_u32_e32 v11, vcc_lo, v11, v13, vcc_lo
	s_delay_alu instid0(VALU_DEP_2) | instskip(NEXT) | instid1(VALU_DEP_2)
	v_cndmask_b32_e64 v10, v10, v19, s5
	v_cndmask_b32_e64 v11, v11, v20, s5
	global_load_i8 v10, v[10:11], off
	s_waitcnt vmcnt(0)
	ds_store_b32 v15, v10 offset:4096
.LBB63_22:                              ;   in Loop: Header=BB63_17 Depth=1
	s_or_b32 exec_lo, exec_lo, s34
	s_and_saveexec_b32 s7, s18
	s_cbranch_execz .LBB63_24
; %bb.23:                               ;   in Loop: Header=BB63_17 Depth=1
	v_mad_u64_u32 v[10:11], null, s33, s6, v[9:10]
	s_delay_alu instid0(VALU_DEP_1) | instskip(SKIP_1) | instid1(VALU_DEP_2)
	v_ashrrev_i32_e32 v11, 31, v10
	v_add_co_u32 v10, vcc_lo, s26, v10
	v_add_co_ci_u32_e32 v11, vcc_lo, s27, v11, vcc_lo
	global_load_i8 v10, v[10:11], off
	s_waitcnt vmcnt(0)
	ds_store_b32 v14, v10
.LBB63_24:                              ;   in Loop: Header=BB63_17 Depth=1
	s_or_b32 exec_lo, exec_lo, s7
	s_waitcnt lgkmcnt(0)
	s_barrier
	buffer_gl0_inv
	s_and_saveexec_b32 s7, s2
	s_cbranch_execz .LBB63_16
; %bb.25:                               ;   in Loop: Header=BB63_17 Depth=1
	s_and_saveexec_b32 s34, s3
	s_cbranch_execz .LBB63_34
; %bb.26:                               ;   in Loop: Header=BB63_17 Depth=1
	s_and_not1_b32 vcc_lo, exec_lo, s9
	s_cbranch_vccnz .LBB63_30
; %bb.27:                               ;   in Loop: Header=BB63_17 Depth=1
	v_dual_mov_b32 v10, v17 :: v_dual_mov_b32 v11, v16
	s_mov_b32 s35, 0
	s_set_inst_prefetch_distance 0x1
	.p2align	6
.LBB63_28:                              ;   Parent Loop BB63_17 Depth=1
                                        ; =>  This Inner Loop Header: Depth=2
	ds_load_b128 v[19:22], v11
	ds_load_b128 v[23:26], v10
	ds_load_b128 v[27:30], v10 offset:16
	ds_load_b128 v[31:34], v11 offset:16
	v_add_nc_u32_e32 v11, 32, v11
	v_add_nc_u32_e32 v10, 32, v10
	s_add_i32 s35, s35, 8
	s_delay_alu instid0(SALU_CYCLE_1)
	s_cmp_lg_u32 s19, s35
	s_waitcnt lgkmcnt(2)
	v_mul_lo_u32 v19, v19, v23
	v_mul_lo_u32 v20, v20, v24
	;; [unrolled: 1-line block ×4, first 2 shown]
	s_delay_alu instid0(VALU_DEP_3) | instskip(SKIP_3) | instid1(VALU_DEP_3)
	v_add3_u32 v1, v19, v1, v20
	s_waitcnt lgkmcnt(0)
	v_mul_lo_u32 v19, v31, v27
	v_mul_lo_u32 v20, v32, v28
	v_add3_u32 v1, v21, v1, v22
	v_mul_lo_u32 v21, v33, v29
	v_mul_lo_u32 v22, v34, v30
	s_delay_alu instid0(VALU_DEP_3) | instskip(NEXT) | instid1(VALU_DEP_1)
	v_add3_u32 v1, v19, v1, v20
	v_add3_u32 v1, v21, v1, v22
	s_cbranch_scc1 .LBB63_28
; %bb.29:                               ;   in Loop: Header=BB63_17 Depth=1
	s_set_inst_prefetch_distance 0x2
	s_mov_b32 s35, s19
	s_and_not1_b32 vcc_lo, exec_lo, s31
	s_cbranch_vccz .LBB63_31
	s_branch .LBB63_34
.LBB63_30:                              ;   in Loop: Header=BB63_17 Depth=1
	s_mov_b32 s35, 0
	s_and_not1_b32 vcc_lo, exec_lo, s31
	s_cbranch_vccnz .LBB63_34
.LBB63_31:                              ;   in Loop: Header=BB63_17 Depth=1
	s_lshl_b32 s35, s35, 2
	s_delay_alu instid0(SALU_CYCLE_1)
	v_add_nc_u32_e32 v19, s35, v16
	v_add_nc_u32_e32 v20, s35, v17
	s_mov_b32 s35, s8
.LBB63_32:                              ;   Parent Loop BB63_17 Depth=1
                                        ; =>  This Inner Loop Header: Depth=2
	ds_load_b32 v21, v20
	ds_load_b32 v22, v19
	s_add_i32 s35, s35, -1
	v_add_nc_u32_e32 v20, 4, v20
	s_cmp_lg_u32 s35, 0
	s_waitcnt lgkmcnt(0)
	v_mad_u64_u32 v[10:11], null, v22, v21, v[1:2]
	v_mov_b32_e32 v11, v2
	v_add_nc_u32_e32 v19, 4, v19
	s_delay_alu instid0(VALU_DEP_2)
	v_dual_mov_b32 v1, v10 :: v_dual_mov_b32 v2, v11
	s_cbranch_scc1 .LBB63_32
; %bb.33:                               ;   in Loop: Header=BB63_17 Depth=1
	v_dual_mov_b32 v1, v10 :: v_dual_mov_b32 v2, v11
.LBB63_34:                              ;   in Loop: Header=BB63_17 Depth=1
	s_or_b32 exec_lo, exec_lo, s34
	s_and_saveexec_b32 s34, s4
	s_cbranch_execz .LBB63_15
; %bb.35:                               ;   in Loop: Header=BB63_17 Depth=1
	s_and_not1_b32 vcc_lo, exec_lo, s9
	s_cbranch_vccnz .LBB63_39
; %bb.36:                               ;   in Loop: Header=BB63_17 Depth=1
	v_dual_mov_b32 v10, v17 :: v_dual_mov_b32 v11, v18
	s_mov_b32 s35, 0
	s_set_inst_prefetch_distance 0x1
	.p2align	6
.LBB63_37:                              ;   Parent Loop BB63_17 Depth=1
                                        ; =>  This Inner Loop Header: Depth=2
	ds_load_b128 v[19:22], v11
	ds_load_b128 v[23:26], v10
	ds_load_b128 v[27:30], v10 offset:16
	ds_load_b128 v[31:34], v11 offset:16
	v_add_nc_u32_e32 v11, 32, v11
	v_add_nc_u32_e32 v10, 32, v10
	s_add_i32 s35, s35, 8
	s_delay_alu instid0(SALU_CYCLE_1)
	s_cmp_lg_u32 s19, s35
	s_waitcnt lgkmcnt(2)
	v_mul_lo_u32 v19, v19, v23
	v_mul_lo_u32 v20, v20, v24
	;; [unrolled: 1-line block ×4, first 2 shown]
	s_delay_alu instid0(VALU_DEP_3) | instskip(SKIP_3) | instid1(VALU_DEP_3)
	v_add3_u32 v2, v19, v2, v20
	s_waitcnt lgkmcnt(0)
	v_mul_lo_u32 v19, v31, v27
	v_mul_lo_u32 v20, v32, v28
	v_add3_u32 v2, v21, v2, v22
	v_mul_lo_u32 v21, v33, v29
	v_mul_lo_u32 v22, v34, v30
	s_delay_alu instid0(VALU_DEP_3) | instskip(NEXT) | instid1(VALU_DEP_1)
	v_add3_u32 v2, v19, v2, v20
	v_add3_u32 v2, v21, v2, v22
	s_cbranch_scc1 .LBB63_37
; %bb.38:                               ;   in Loop: Header=BB63_17 Depth=1
	s_set_inst_prefetch_distance 0x2
	s_mov_b32 s35, s19
	s_and_not1_b32 vcc_lo, exec_lo, s31
	s_cbranch_vccz .LBB63_40
	s_branch .LBB63_15
.LBB63_39:                              ;   in Loop: Header=BB63_17 Depth=1
	s_mov_b32 s35, 0
	s_and_not1_b32 vcc_lo, exec_lo, s31
	s_cbranch_vccnz .LBB63_15
.LBB63_40:                              ;   in Loop: Header=BB63_17 Depth=1
	s_lshl_b32 s35, s35, 2
	s_delay_alu instid0(SALU_CYCLE_1)
	v_add_nc_u32_e32 v10, s35, v18
	v_add_nc_u32_e32 v11, s35, v17
	s_mov_b32 s35, s8
.LBB63_41:                              ;   Parent Loop BB63_17 Depth=1
                                        ; =>  This Inner Loop Header: Depth=2
	ds_load_b32 v21, v11
	ds_load_b32 v22, v10
	v_add_nc_u32_e32 v10, 4, v10
	s_add_i32 s35, s35, -1
	s_delay_alu instid0(SALU_CYCLE_1) | instskip(SKIP_2) | instid1(VALU_DEP_1)
	s_cmp_lg_u32 s35, 0
	s_waitcnt lgkmcnt(0)
	v_mad_u64_u32 v[19:20], null, v22, v21, v[2:3]
	v_dual_mov_b32 v2, v19 :: v_dual_add_nc_u32 v11, 4, v11
	s_cbranch_scc1 .LBB63_41
	s_branch .LBB63_15
.LBB63_42:
	s_delay_alu instid0(VALU_DEP_1) | instskip(NEXT) | instid1(SALU_CYCLE_1)
	s_and_b32 s2, s30, s2
	s_and_saveexec_b32 s3, s2
	s_cbranch_execz .LBB63_62
; %bb.43:
	s_load_b64 s[2:3], s[0:1], 0x70
	v_mad_u64_u32 v[5:6], null, s14, s10, v[4:5]
	s_cmp_lg_u32 s29, 0
	s_mov_b32 s0, exec_lo
	s_cselect_b32 s4, -1, 0
	s_cmp_lg_u32 s16, 1
	s_cselect_b32 s1, -1, 0
	s_delay_alu instid0(VALU_DEP_1) | instskip(SKIP_1) | instid1(VALU_DEP_1)
	v_ashrrev_i32_e32 v6, 31, v5
	s_waitcnt lgkmcnt(0)
	v_mul_lo_u32 v4, v6, s2
	v_mul_lo_u32 v9, v5, s3
	v_mad_u64_u32 v[7:8], null, v5, s2, 0
	v_lshlrev_b64 v[5:6], 2, v[5:6]
	s_delay_alu instid0(VALU_DEP_1) | instskip(NEXT) | instid1(VALU_DEP_3)
	v_add_co_u32 v5, vcc_lo, s12, v5
	v_add3_u32 v8, v8, v9, v4
	s_delay_alu instid0(VALU_DEP_3) | instskip(NEXT) | instid1(VALU_DEP_2)
	v_add_co_ci_u32_e32 v6, vcc_lo, s13, v6, vcc_lo
	v_lshlrev_b64 v[7:8], 2, v[7:8]
	s_delay_alu instid0(VALU_DEP_1) | instskip(NEXT) | instid1(VALU_DEP_2)
	v_add_co_u32 v7, vcc_lo, s12, v7
	v_add_co_ci_u32_e32 v8, vcc_lo, s13, v8, vcc_lo
	v_cmpx_gt_i32_e64 s11, v3
	s_cbranch_execz .LBB63_55
; %bb.44:
	v_ashrrev_i32_e32 v4, 31, v3
	s_and_b32 vcc_lo, exec_lo, s4
	s_cbranch_vccz .LBB63_50
; %bb.45:
	s_and_b32 vcc_lo, exec_lo, s1
	s_mov_b32 s5, -1
	s_cbranch_vccz .LBB63_47
; %bb.46:
	v_lshlrev_b64 v[9:10], 2, v[3:4]
	v_mul_lo_u32 v11, v1, s28
	s_mov_b32 s5, 0
	s_delay_alu instid0(VALU_DEP_2) | instskip(NEXT) | instid1(VALU_DEP_3)
	v_add_co_u32 v9, vcc_lo, v7, v9
	v_add_co_ci_u32_e32 v10, vcc_lo, v8, v10, vcc_lo
	global_load_b32 v14, v[9:10], off
	s_waitcnt vmcnt(0)
	v_mad_u64_u32 v[12:13], null, v14, s29, v[11:12]
	global_store_b32 v[9:10], v12, off
.LBB63_47:
	s_and_not1_b32 vcc_lo, exec_lo, s5
	s_cbranch_vccnz .LBB63_49
; %bb.48:
	v_mul_lo_u32 v11, v4, s2
	v_mul_lo_u32 v12, v3, s3
	v_mad_u64_u32 v[9:10], null, v3, s2, 0
	s_delay_alu instid0(VALU_DEP_1) | instskip(SKIP_1) | instid1(VALU_DEP_2)
	v_add3_u32 v10, v10, v12, v11
	v_mul_lo_u32 v11, v1, s28
	v_lshlrev_b64 v[9:10], 2, v[9:10]
	s_delay_alu instid0(VALU_DEP_1) | instskip(NEXT) | instid1(VALU_DEP_2)
	v_add_co_u32 v9, vcc_lo, v5, v9
	v_add_co_ci_u32_e32 v10, vcc_lo, v6, v10, vcc_lo
	global_load_b32 v14, v[9:10], off
	s_waitcnt vmcnt(0)
	v_mad_u64_u32 v[12:13], null, v14, s29, v[11:12]
	global_store_b32 v[9:10], v12, off
.LBB63_49:
	s_cbranch_execz .LBB63_51
	s_branch .LBB63_55
.LBB63_50:
.LBB63_51:
	v_mul_lo_u32 v1, v1, s28
	s_and_b32 vcc_lo, exec_lo, s1
	s_mov_b32 s5, -1
	s_cbranch_vccz .LBB63_53
; %bb.52:
	v_lshlrev_b64 v[9:10], 2, v[3:4]
	s_mov_b32 s5, 0
	s_delay_alu instid0(VALU_DEP_1) | instskip(NEXT) | instid1(VALU_DEP_2)
	v_add_co_u32 v9, vcc_lo, v7, v9
	v_add_co_ci_u32_e32 v10, vcc_lo, v8, v10, vcc_lo
	global_store_b32 v[9:10], v1, off
.LBB63_53:
	s_and_not1_b32 vcc_lo, exec_lo, s5
	s_cbranch_vccnz .LBB63_55
; %bb.54:
	v_mul_lo_u32 v4, v4, s2
	v_mul_lo_u32 v11, v3, s3
	v_mad_u64_u32 v[9:10], null, v3, s2, 0
	s_delay_alu instid0(VALU_DEP_1) | instskip(NEXT) | instid1(VALU_DEP_1)
	v_add3_u32 v10, v10, v11, v4
	v_lshlrev_b64 v[3:4], 2, v[9:10]
	s_delay_alu instid0(VALU_DEP_1) | instskip(NEXT) | instid1(VALU_DEP_2)
	v_add_co_u32 v3, vcc_lo, v5, v3
	v_add_co_ci_u32_e32 v4, vcc_lo, v6, v4, vcc_lo
	global_store_b32 v[3:4], v1, off
.LBB63_55:
	s_or_b32 exec_lo, exec_lo, s0
	v_cmp_gt_i32_e32 vcc_lo, s11, v0
	s_and_b32 exec_lo, exec_lo, vcc_lo
	s_cbranch_execz .LBB63_62
; %bb.56:
	v_cndmask_b32_e64 v3, 0, 1, s1
	v_ashrrev_i32_e32 v1, 31, v0
	s_and_not1_b32 vcc_lo, exec_lo, s4
	s_delay_alu instid0(VALU_DEP_2)
	v_cmp_ne_u32_e64 s0, 1, v3
	s_cbranch_vccnz .LBB63_63
; %bb.57:
	s_delay_alu instid0(VALU_DEP_1)
	s_and_b32 vcc_lo, exec_lo, s0
	s_mov_b32 s0, -1
	s_cbranch_vccnz .LBB63_59
; %bb.58:
	v_lshlrev_b64 v[3:4], 2, v[0:1]
	v_mul_lo_u32 v9, v2, s28
	s_mov_b32 s0, 0
	s_delay_alu instid0(VALU_DEP_2) | instskip(NEXT) | instid1(VALU_DEP_3)
	v_add_co_u32 v3, vcc_lo, v7, v3
	v_add_co_ci_u32_e32 v4, vcc_lo, v8, v4, vcc_lo
	global_load_b32 v12, v[3:4], off
	s_waitcnt vmcnt(0)
	v_mad_u64_u32 v[10:11], null, v12, s29, v[9:10]
	global_store_b32 v[3:4], v10, off
.LBB63_59:
	s_and_not1_b32 vcc_lo, exec_lo, s0
	s_cbranch_vccnz .LBB63_61
; %bb.60:
	v_mul_lo_u32 v9, v1, s2
	v_mul_lo_u32 v10, v0, s3
	v_mad_u64_u32 v[3:4], null, v0, s2, 0
	s_delay_alu instid0(VALU_DEP_1) | instskip(SKIP_1) | instid1(VALU_DEP_2)
	v_add3_u32 v4, v4, v10, v9
	v_mul_lo_u32 v9, v2, s28
	v_lshlrev_b64 v[3:4], 2, v[3:4]
	s_delay_alu instid0(VALU_DEP_1) | instskip(NEXT) | instid1(VALU_DEP_2)
	v_add_co_u32 v3, vcc_lo, v5, v3
	v_add_co_ci_u32_e32 v4, vcc_lo, v6, v4, vcc_lo
	global_load_b32 v12, v[3:4], off
	s_waitcnt vmcnt(0)
	v_mad_u64_u32 v[10:11], null, v12, s29, v[9:10]
	global_store_b32 v[3:4], v10, off
.LBB63_61:
	s_cbranch_execz .LBB63_64
.LBB63_62:
	s_nop 0
	s_sendmsg sendmsg(MSG_DEALLOC_VGPRS)
	s_endpgm
.LBB63_63:
.LBB63_64:
	v_mul_lo_u32 v2, v2, s28
	s_and_not1_b32 vcc_lo, exec_lo, s1
	s_mov_b32 s0, -1
	s_cbranch_vccnz .LBB63_66
; %bb.65:
	v_lshlrev_b64 v[3:4], 2, v[0:1]
	s_mov_b32 s0, 0
	s_delay_alu instid0(VALU_DEP_1) | instskip(NEXT) | instid1(VALU_DEP_2)
	v_add_co_u32 v3, vcc_lo, v7, v3
	v_add_co_ci_u32_e32 v4, vcc_lo, v8, v4, vcc_lo
	global_store_b32 v[3:4], v2, off
.LBB63_66:
	s_and_not1_b32 vcc_lo, exec_lo, s0
	s_cbranch_vccnz .LBB63_62
; %bb.67:
	v_mul_lo_u32 v1, v1, s2
	v_mul_lo_u32 v7, v0, s3
	v_mad_u64_u32 v[3:4], null, v0, s2, 0
	s_delay_alu instid0(VALU_DEP_1) | instskip(NEXT) | instid1(VALU_DEP_1)
	v_add3_u32 v4, v4, v7, v1
	v_lshlrev_b64 v[0:1], 2, v[3:4]
	s_delay_alu instid0(VALU_DEP_1) | instskip(NEXT) | instid1(VALU_DEP_2)
	v_add_co_u32 v0, vcc_lo, v5, v0
	v_add_co_ci_u32_e32 v1, vcc_lo, v6, v1, vcc_lo
	global_store_b32 v[0:1], v2, off
	s_nop 0
	s_sendmsg sendmsg(MSG_DEALLOC_VGPRS)
	s_endpgm
	.section	.rodata,"a",@progbits
	.p2align	6, 0x0
	.amdhsa_kernel _ZN9rocsparseL31bsrmm_large_blockdim_kernel_extILj32ELj32ELj2EiiaaiiEEvb20rocsparse_direction_T3_S2_llNS_24const_host_device_scalarIT7_EEPKT2_PKS2_PKT4_S2_PKT5_llS5_PT6_ll16rocsparse_order_21rocsparse_index_base_b
		.amdhsa_group_segment_fixed_size 12288
		.amdhsa_private_segment_fixed_size 0
		.amdhsa_kernarg_size 140
		.amdhsa_user_sgpr_count 14
		.amdhsa_user_sgpr_dispatch_ptr 0
		.amdhsa_user_sgpr_queue_ptr 0
		.amdhsa_user_sgpr_kernarg_segment_ptr 1
		.amdhsa_user_sgpr_dispatch_id 0
		.amdhsa_user_sgpr_private_segment_size 0
		.amdhsa_wavefront_size32 1
		.amdhsa_uses_dynamic_stack 0
		.amdhsa_enable_private_segment 0
		.amdhsa_system_sgpr_workgroup_id_x 1
		.amdhsa_system_sgpr_workgroup_id_y 1
		.amdhsa_system_sgpr_workgroup_id_z 0
		.amdhsa_system_sgpr_workgroup_info 0
		.amdhsa_system_vgpr_workitem_id 1
		.amdhsa_next_free_vgpr 35
		.amdhsa_next_free_sgpr 38
		.amdhsa_reserve_vcc 1
		.amdhsa_float_round_mode_32 0
		.amdhsa_float_round_mode_16_64 0
		.amdhsa_float_denorm_mode_32 3
		.amdhsa_float_denorm_mode_16_64 3
		.amdhsa_dx10_clamp 1
		.amdhsa_ieee_mode 1
		.amdhsa_fp16_overflow 0
		.amdhsa_workgroup_processor_mode 1
		.amdhsa_memory_ordered 1
		.amdhsa_forward_progress 0
		.amdhsa_shared_vgpr_count 0
		.amdhsa_exception_fp_ieee_invalid_op 0
		.amdhsa_exception_fp_denorm_src 0
		.amdhsa_exception_fp_ieee_div_zero 0
		.amdhsa_exception_fp_ieee_overflow 0
		.amdhsa_exception_fp_ieee_underflow 0
		.amdhsa_exception_fp_ieee_inexact 0
		.amdhsa_exception_int_div_zero 0
	.end_amdhsa_kernel
	.section	.text._ZN9rocsparseL31bsrmm_large_blockdim_kernel_extILj32ELj32ELj2EiiaaiiEEvb20rocsparse_direction_T3_S2_llNS_24const_host_device_scalarIT7_EEPKT2_PKS2_PKT4_S2_PKT5_llS5_PT6_ll16rocsparse_order_21rocsparse_index_base_b,"axG",@progbits,_ZN9rocsparseL31bsrmm_large_blockdim_kernel_extILj32ELj32ELj2EiiaaiiEEvb20rocsparse_direction_T3_S2_llNS_24const_host_device_scalarIT7_EEPKT2_PKS2_PKT4_S2_PKT5_llS5_PT6_ll16rocsparse_order_21rocsparse_index_base_b,comdat
.Lfunc_end63:
	.size	_ZN9rocsparseL31bsrmm_large_blockdim_kernel_extILj32ELj32ELj2EiiaaiiEEvb20rocsparse_direction_T3_S2_llNS_24const_host_device_scalarIT7_EEPKT2_PKS2_PKT4_S2_PKT5_llS5_PT6_ll16rocsparse_order_21rocsparse_index_base_b, .Lfunc_end63-_ZN9rocsparseL31bsrmm_large_blockdim_kernel_extILj32ELj32ELj2EiiaaiiEEvb20rocsparse_direction_T3_S2_llNS_24const_host_device_scalarIT7_EEPKT2_PKS2_PKT4_S2_PKT5_llS5_PT6_ll16rocsparse_order_21rocsparse_index_base_b
                                        ; -- End function
	.section	.AMDGPU.csdata,"",@progbits
; Kernel info:
; codeLenInByte = 2576
; NumSgprs: 40
; NumVgprs: 35
; ScratchSize: 0
; MemoryBound: 0
; FloatMode: 240
; IeeeMode: 1
; LDSByteSize: 12288 bytes/workgroup (compile time only)
; SGPRBlocks: 4
; VGPRBlocks: 4
; NumSGPRsForWavesPerEU: 40
; NumVGPRsForWavesPerEU: 35
; Occupancy: 16
; WaveLimiterHint : 1
; COMPUTE_PGM_RSRC2:SCRATCH_EN: 0
; COMPUTE_PGM_RSRC2:USER_SGPR: 14
; COMPUTE_PGM_RSRC2:TRAP_HANDLER: 0
; COMPUTE_PGM_RSRC2:TGID_X_EN: 1
; COMPUTE_PGM_RSRC2:TGID_Y_EN: 1
; COMPUTE_PGM_RSRC2:TGID_Z_EN: 0
; COMPUTE_PGM_RSRC2:TIDIG_COMP_CNT: 1
	.section	.text._ZN9rocsparseL31bsrmm_large_blockdim_kernel_extILj8ELj8ELj2EliaaiiEEvb20rocsparse_direction_T3_S2_llNS_24const_host_device_scalarIT7_EEPKT2_PKS2_PKT4_S2_PKT5_llS5_PT6_ll16rocsparse_order_21rocsparse_index_base_b,"axG",@progbits,_ZN9rocsparseL31bsrmm_large_blockdim_kernel_extILj8ELj8ELj2EliaaiiEEvb20rocsparse_direction_T3_S2_llNS_24const_host_device_scalarIT7_EEPKT2_PKS2_PKT4_S2_PKT5_llS5_PT6_ll16rocsparse_order_21rocsparse_index_base_b,comdat
	.globl	_ZN9rocsparseL31bsrmm_large_blockdim_kernel_extILj8ELj8ELj2EliaaiiEEvb20rocsparse_direction_T3_S2_llNS_24const_host_device_scalarIT7_EEPKT2_PKS2_PKT4_S2_PKT5_llS5_PT6_ll16rocsparse_order_21rocsparse_index_base_b ; -- Begin function _ZN9rocsparseL31bsrmm_large_blockdim_kernel_extILj8ELj8ELj2EliaaiiEEvb20rocsparse_direction_T3_S2_llNS_24const_host_device_scalarIT7_EEPKT2_PKS2_PKT4_S2_PKT5_llS5_PT6_ll16rocsparse_order_21rocsparse_index_base_b
	.p2align	8
	.type	_ZN9rocsparseL31bsrmm_large_blockdim_kernel_extILj8ELj8ELj2EliaaiiEEvb20rocsparse_direction_T3_S2_llNS_24const_host_device_scalarIT7_EEPKT2_PKS2_PKT4_S2_PKT5_llS5_PT6_ll16rocsparse_order_21rocsparse_index_base_b,@function
_ZN9rocsparseL31bsrmm_large_blockdim_kernel_extILj8ELj8ELj2EliaaiiEEvb20rocsparse_direction_T3_S2_llNS_24const_host_device_scalarIT7_EEPKT2_PKS2_PKT4_S2_PKT5_llS5_PT6_ll16rocsparse_order_21rocsparse_index_base_b: ; @_ZN9rocsparseL31bsrmm_large_blockdim_kernel_extILj8ELj8ELj2EliaaiiEEvb20rocsparse_direction_T3_S2_llNS_24const_host_device_scalarIT7_EEPKT2_PKS2_PKT4_S2_PKT5_llS5_PT6_ll16rocsparse_order_21rocsparse_index_base_b
; %bb.0:
	s_clause 0x1
	s_load_b128 s[16:19], s[0:1], 0x80
	s_load_b64 s[6:7], s[0:1], 0x20
	s_mov_b32 s2, s15
	s_mov_b32 s8, -1
                                        ; implicit-def: $sgpr30
	s_waitcnt lgkmcnt(0)
	s_bitcmp1_b32 s18, 0
	s_cselect_b32 s3, -1, 0
	s_delay_alu instid0(SALU_CYCLE_1) | instskip(NEXT) | instid1(SALU_CYCLE_1)
	s_xor_b32 s3, s3, -1
	s_and_b32 vcc_lo, exec_lo, s3
	s_cbranch_vccnz .LBB64_4
; %bb.1:
	s_load_b64 s[4:5], s[0:1], 0x60
	s_and_not1_b32 vcc_lo, exec_lo, s8
	s_cbranch_vccz .LBB64_5
.LBB64_2:
	s_and_b32 vcc_lo, exec_lo, s3
	s_cbranch_vccz .LBB64_6
.LBB64_3:
	s_waitcnt lgkmcnt(0)
	s_load_b32 s31, s[4:5], 0x0
	s_cbranch_execz .LBB64_7
	s_branch .LBB64_8
.LBB64_4:
	s_load_b32 s30, s[6:7], 0x0
	s_load_b64 s[4:5], s[0:1], 0x60
	s_cbranch_execnz .LBB64_2
.LBB64_5:
	s_waitcnt lgkmcnt(0)
	s_mov_b32 s30, s6
	s_and_b32 vcc_lo, exec_lo, s3
	s_cbranch_vccnz .LBB64_3
.LBB64_6:
                                        ; implicit-def: $sgpr31
.LBB64_7:
	s_waitcnt lgkmcnt(0)
	s_mov_b32 s31, s4
.LBB64_8:
	s_waitcnt lgkmcnt(0)
	s_cmp_eq_u32 s30, 0
	s_cselect_b32 s3, -1, 0
	s_cmp_eq_u32 s31, 1
	s_cselect_b32 s4, -1, 0
	s_delay_alu instid0(SALU_CYCLE_1) | instskip(NEXT) | instid1(SALU_CYCLE_1)
	s_and_b32 s3, s3, s4
	s_and_b32 vcc_lo, exec_lo, s3
	s_cbranch_vccnz .LBB64_62
; %bb.9:
	s_clause 0x1
	s_load_b128 s[8:11], s[0:1], 0x0
	s_load_b64 s[4:5], s[0:1], 0x28
	s_mov_b64 s[12:13], 0
	s_mov_b64 s[18:19], 0
	s_waitcnt lgkmcnt(0)
	s_cmp_lt_i32 s14, s10
	s_cselect_b32 s33, -1, 0
	s_cmp_ge_i32 s14, s10
	s_cbranch_scc1 .LBB64_11
; %bb.10:
	s_ashr_i32 s15, s14, 31
	s_delay_alu instid0(SALU_CYCLE_1) | instskip(NEXT) | instid1(SALU_CYCLE_1)
	s_lshl_b64 s[6:7], s[14:15], 3
	s_add_u32 s6, s4, s6
	s_addc_u32 s7, s5, s7
	s_load_b64 s[6:7], s[6:7], 0x0
	s_waitcnt lgkmcnt(0)
	s_sub_u32 s18, s6, s17
	s_subb_u32 s19, s7, 0
.LBB64_11:
	s_and_not1_b32 vcc_lo, exec_lo, s33
	s_cbranch_vccnz .LBB64_13
; %bb.12:
	s_ashr_i32 s15, s14, 31
	s_delay_alu instid0(SALU_CYCLE_1) | instskip(NEXT) | instid1(SALU_CYCLE_1)
	s_lshl_b64 s[6:7], s[14:15], 3
	s_add_u32 s4, s4, s6
	s_addc_u32 s5, s5, s7
	s_load_b64 s[4:5], s[4:5], 0x8
	s_waitcnt lgkmcnt(0)
	s_sub_u32 s12, s4, s17
	s_subb_u32 s13, s5, 0
.LBB64_13:
	s_clause 0x1
	s_load_b32 s10, s[0:1], 0x40
	s_load_b64 s[6:7], s[0:1], 0x68
	v_bfe_u32 v11, v0, 10, 10
	s_mov_b32 s28, 0
	s_delay_alu instid0(SALU_CYCLE_1) | instskip(SKIP_1) | instid1(VALU_DEP_2)
	s_mov_b32 s29, s28
	v_dual_mov_b32 v3, s28 :: v_dual_and_b32 v2, 0x3ff, v0
	v_lshl_add_u32 v1, s2, 4, v11
	v_cmp_ge_i64_e64 s2, s[18:19], s[12:13]
	v_mov_b32_e32 v4, s29
	s_delay_alu instid0(VALU_DEP_3) | instskip(SKIP_1) | instid1(VALU_DEP_4)
	v_add_nc_u32_e32 v0, 8, v1
	v_cmp_gt_i32_e64 s3, s11, v1
	s_and_b32 vcc_lo, exec_lo, s2
	s_delay_alu instid0(VALU_DEP_2)
	v_cmp_gt_i32_e64 s4, s11, v0
	s_waitcnt lgkmcnt(0)
	v_cmp_gt_i32_e64 s2, s10, v2
	s_cbranch_vccnz .LBB64_42
; %bb.14:
	s_clause 0x1
	s_load_b128 s[20:23], s[0:1], 0x30
	s_load_b128 s[24:27], s[0:1], 0x48
	v_mul_lo_u32 v4, v11, s10
	v_cmp_gt_i32_e32 vcc_lo, s10, v11
	v_mul_lo_u32 v5, v2, s10
	v_ashrrev_i32_e32 v13, 31, v1
	v_lshl_add_u32 v9, v2, 3, v11
	v_ashrrev_i32_e32 v14, 31, v0
	s_and_b32 s15, s2, vcc_lo
	s_bitcmp1_b32 s8, 0
	s_delay_alu instid0(VALU_DEP_2) | instskip(SKIP_4) | instid1(VALU_DEP_1)
	v_lshl_add_u32 v15, v9, 2, 0x200
	s_cselect_b32 s5, -1, 0
	s_cmp_eq_u32 s9, 0
	s_waitcnt lgkmcnt(0)
	v_add_co_u32 v4, s8, s22, v4
	v_add_co_ci_u32_e64 v6, null, s23, 0, s8
	v_add_co_u32 v10, s8, s22, v5
	s_delay_alu instid0(VALU_DEP_3) | instskip(SKIP_1) | instid1(VALU_DEP_4)
	v_add_co_u32 v4, vcc_lo, v4, v2
	v_mul_lo_u32 v17, v1, s27
	v_add_co_ci_u32_e32 v18, vcc_lo, 0, v6, vcc_lo
	v_mul_lo_u32 v19, v13, s26
	v_mad_u64_u32 v[5:6], null, v1, s26, 0
	v_add_co_ci_u32_e64 v12, null, s23, 0, s8
	v_add_co_u32 v9, vcc_lo, v10, v11
	v_mul_lo_u32 v20, v0, s27
	v_mul_lo_u32 v21, v14, s26
	v_mad_u64_u32 v[7:8], null, v0, s26, 0
	v_add_co_ci_u32_e32 v10, vcc_lo, 0, v12, vcc_lo
	s_cselect_b32 vcc_lo, -1, 0
	v_lshlrev_b32_e32 v3, 3, v11
	v_add3_u32 v6, v6, v17, v19
	s_delay_alu instid0(VALU_DEP_3)
	v_dual_cndmask_b32 v10, v18, v10 :: v_dual_lshlrev_b32 v17, 5, v11
	s_add_i32 s9, s10, -1
	s_and_b32 s8, s10, 7
	s_cmp_gt_u32 s9, 6
	v_add_lshl_u32 v16, v3, v2, 2
	v_cndmask_b32_e32 v9, v4, v9, vcc_lo
	v_dual_mov_b32 v3, s28 :: v_dual_mov_b32 v4, s29
	v_add3_u32 v8, v8, v20, v21
	s_cselect_b32 s9, -1, 0
	s_and_b32 s22, s10, -8
	v_lshl_add_u32 v18, v2, 5, 0x200
	v_add_nc_u32_e32 v19, 0x100, v17
	s_cmp_lg_u32 s8, 0
	s_mul_i32 s28, s10, s10
	s_cselect_b32 s23, -1, 0
	s_branch .LBB64_17
.LBB64_15:                              ;   in Loop: Header=BB64_17 Depth=1
	s_or_b32 exec_lo, exec_lo, s34
.LBB64_16:                              ;   in Loop: Header=BB64_17 Depth=1
	s_delay_alu instid0(SALU_CYCLE_1) | instskip(SKIP_2) | instid1(SALU_CYCLE_1)
	s_or_b32 exec_lo, exec_lo, s29
	s_add_u32 s18, s18, 1
	s_addc_u32 s19, s19, 0
	v_cmp_ge_i64_e64 s29, s[18:19], s[12:13]
	s_barrier
	buffer_gl0_inv
	s_and_b32 vcc_lo, exec_lo, s29
	s_cbranch_vccnz .LBB64_42
.LBB64_17:                              ; =>This Loop Header: Depth=1
                                        ;     Child Loop BB64_28 Depth 2
                                        ;     Child Loop BB64_32 Depth 2
	;; [unrolled: 1-line block ×4, first 2 shown]
	s_and_saveexec_b32 s29, s2
	s_cbranch_execz .LBB64_22
; %bb.18:                               ;   in Loop: Header=BB64_17 Depth=1
	s_lshl_b64 s[34:35], s[18:19], 2
	s_delay_alu instid0(SALU_CYCLE_1) | instskip(SKIP_4) | instid1(SALU_CYCLE_1)
	s_add_u32 s34, s20, s34
	s_addc_u32 s35, s21, s35
	s_load_b32 s34, s[34:35], 0x0
	s_waitcnt lgkmcnt(0)
	s_sub_i32 s34, s34, s17
	v_mad_u64_u32 v[20:21], null, s34, s10, v[2:3]
	s_delay_alu instid0(VALU_DEP_1) | instskip(SKIP_3) | instid1(VALU_DEP_4)
	v_ashrrev_i32_e32 v21, 31, v20
	v_mul_lo_u32 v22, v20, s27
	v_mad_u64_u32 v[11:12], null, v20, s26, s[24:25]
	v_add_co_u32 v20, vcc_lo, s24, v20
	v_mul_lo_u32 v23, v21, s26
	v_add_co_ci_u32_e32 v21, vcc_lo, s25, v21, vcc_lo
	s_delay_alu instid0(VALU_DEP_2)
	v_add3_u32 v12, v23, v12, v22
	s_and_saveexec_b32 s34, s3
	s_cbranch_execz .LBB64_20
; %bb.19:                               ;   in Loop: Header=BB64_17 Depth=1
	v_add_co_u32 v22, vcc_lo, v20, v5
	v_add_co_ci_u32_e32 v23, vcc_lo, v21, v6, vcc_lo
	v_add_co_u32 v24, vcc_lo, v11, v1
	v_add_co_ci_u32_e32 v25, vcc_lo, v12, v13, vcc_lo
	s_delay_alu instid0(VALU_DEP_2) | instskip(NEXT) | instid1(VALU_DEP_2)
	v_cndmask_b32_e64 v22, v24, v22, s5
	v_cndmask_b32_e64 v23, v25, v23, s5
	global_load_i8 v22, v[22:23], off
	s_waitcnt vmcnt(0)
	ds_store_b32 v16, v22
.LBB64_20:                              ;   in Loop: Header=BB64_17 Depth=1
	s_or_b32 exec_lo, exec_lo, s34
	s_delay_alu instid0(SALU_CYCLE_1)
	s_and_b32 exec_lo, exec_lo, s4
	s_cbranch_execz .LBB64_22
; %bb.21:                               ;   in Loop: Header=BB64_17 Depth=1
	v_add_co_u32 v20, vcc_lo, v20, v7
	v_add_co_ci_u32_e32 v21, vcc_lo, v21, v8, vcc_lo
	v_add_co_u32 v11, vcc_lo, v11, v0
	v_add_co_ci_u32_e32 v12, vcc_lo, v12, v14, vcc_lo
	s_delay_alu instid0(VALU_DEP_2) | instskip(NEXT) | instid1(VALU_DEP_2)
	v_cndmask_b32_e64 v11, v11, v20, s5
	v_cndmask_b32_e64 v12, v12, v21, s5
	global_load_i8 v11, v[11:12], off
	s_waitcnt vmcnt(0)
	ds_store_b32 v16, v11 offset:256
.LBB64_22:                              ;   in Loop: Header=BB64_17 Depth=1
	s_or_b32 exec_lo, exec_lo, s29
	s_and_saveexec_b32 s29, s15
	s_cbranch_execz .LBB64_24
; %bb.23:                               ;   in Loop: Header=BB64_17 Depth=1
	v_mad_u64_u32 v[11:12], null, s18, s28, v[9:10]
	s_delay_alu instid0(VALU_DEP_1) | instskip(NEXT) | instid1(VALU_DEP_1)
	v_mad_u64_u32 v[20:21], null, s19, s28, v[12:13]
	v_mov_b32_e32 v12, v20
	global_load_i8 v11, v[11:12], off
	s_waitcnt vmcnt(0)
	ds_store_b32 v15, v11
.LBB64_24:                              ;   in Loop: Header=BB64_17 Depth=1
	s_or_b32 exec_lo, exec_lo, s29
	s_waitcnt lgkmcnt(0)
	s_barrier
	buffer_gl0_inv
	s_and_saveexec_b32 s29, s2
	s_cbranch_execz .LBB64_16
; %bb.25:                               ;   in Loop: Header=BB64_17 Depth=1
	s_and_saveexec_b32 s34, s3
	s_cbranch_execz .LBB64_34
; %bb.26:                               ;   in Loop: Header=BB64_17 Depth=1
	s_and_not1_b32 vcc_lo, exec_lo, s9
	s_cbranch_vccnz .LBB64_30
; %bb.27:                               ;   in Loop: Header=BB64_17 Depth=1
	v_dual_mov_b32 v11, v18 :: v_dual_mov_b32 v12, v17
	s_mov_b32 s35, 0
	s_set_inst_prefetch_distance 0x1
	.p2align	6
.LBB64_28:                              ;   Parent Loop BB64_17 Depth=1
                                        ; =>  This Inner Loop Header: Depth=2
	ds_load_b128 v[20:23], v12
	ds_load_b128 v[24:27], v11
	ds_load_b128 v[28:31], v11 offset:16
	ds_load_b128 v[32:35], v12 offset:16
	v_add_nc_u32_e32 v12, 32, v12
	v_add_nc_u32_e32 v11, 32, v11
	s_add_i32 s35, s35, 8
	s_delay_alu instid0(SALU_CYCLE_1)
	s_cmp_lg_u32 s22, s35
	s_waitcnt lgkmcnt(2)
	v_mul_lo_u32 v20, v20, v24
	v_mul_lo_u32 v21, v21, v25
	;; [unrolled: 1-line block ×4, first 2 shown]
	s_delay_alu instid0(VALU_DEP_3) | instskip(SKIP_3) | instid1(VALU_DEP_3)
	v_add3_u32 v3, v20, v3, v21
	s_waitcnt lgkmcnt(0)
	v_mul_lo_u32 v20, v32, v28
	v_mul_lo_u32 v21, v33, v29
	v_add3_u32 v3, v22, v3, v23
	v_mul_lo_u32 v22, v34, v30
	v_mul_lo_u32 v23, v35, v31
	s_delay_alu instid0(VALU_DEP_3) | instskip(NEXT) | instid1(VALU_DEP_1)
	v_add3_u32 v3, v20, v3, v21
	v_add3_u32 v3, v22, v3, v23
	s_cbranch_scc1 .LBB64_28
; %bb.29:                               ;   in Loop: Header=BB64_17 Depth=1
	s_set_inst_prefetch_distance 0x2
	s_mov_b32 s35, s22
	s_and_not1_b32 vcc_lo, exec_lo, s23
	s_cbranch_vccz .LBB64_31
	s_branch .LBB64_34
.LBB64_30:                              ;   in Loop: Header=BB64_17 Depth=1
	s_mov_b32 s35, 0
	s_and_not1_b32 vcc_lo, exec_lo, s23
	s_cbranch_vccnz .LBB64_34
.LBB64_31:                              ;   in Loop: Header=BB64_17 Depth=1
	s_lshl_b32 s35, s35, 2
	s_delay_alu instid0(SALU_CYCLE_1)
	v_add_nc_u32_e32 v20, s35, v17
	v_add_nc_u32_e32 v21, s35, v18
	s_mov_b32 s35, s8
.LBB64_32:                              ;   Parent Loop BB64_17 Depth=1
                                        ; =>  This Inner Loop Header: Depth=2
	ds_load_b32 v22, v21
	ds_load_b32 v23, v20
	s_add_i32 s35, s35, -1
	v_add_nc_u32_e32 v21, 4, v21
	s_cmp_lg_u32 s35, 0
	s_waitcnt lgkmcnt(0)
	v_mad_u64_u32 v[11:12], null, v23, v22, v[3:4]
	v_mov_b32_e32 v12, v4
	s_delay_alu instid0(VALU_DEP_2) | instskip(NEXT) | instid1(VALU_DEP_2)
	v_dual_mov_b32 v3, v11 :: v_dual_add_nc_u32 v20, 4, v20
	v_mov_b32_e32 v4, v12
	s_cbranch_scc1 .LBB64_32
; %bb.33:                               ;   in Loop: Header=BB64_17 Depth=1
	v_dual_mov_b32 v3, v11 :: v_dual_mov_b32 v4, v12
.LBB64_34:                              ;   in Loop: Header=BB64_17 Depth=1
	s_or_b32 exec_lo, exec_lo, s34
	s_and_saveexec_b32 s34, s4
	s_cbranch_execz .LBB64_15
; %bb.35:                               ;   in Loop: Header=BB64_17 Depth=1
	s_and_not1_b32 vcc_lo, exec_lo, s9
	s_cbranch_vccnz .LBB64_39
; %bb.36:                               ;   in Loop: Header=BB64_17 Depth=1
	v_dual_mov_b32 v11, v18 :: v_dual_mov_b32 v12, v19
	s_mov_b32 s35, 0
	s_set_inst_prefetch_distance 0x1
	.p2align	6
.LBB64_37:                              ;   Parent Loop BB64_17 Depth=1
                                        ; =>  This Inner Loop Header: Depth=2
	ds_load_b128 v[20:23], v12
	ds_load_b128 v[24:27], v11
	ds_load_b128 v[28:31], v11 offset:16
	ds_load_b128 v[32:35], v12 offset:16
	v_add_nc_u32_e32 v12, 32, v12
	v_add_nc_u32_e32 v11, 32, v11
	s_add_i32 s35, s35, 8
	s_delay_alu instid0(SALU_CYCLE_1)
	s_cmp_lg_u32 s22, s35
	s_waitcnt lgkmcnt(2)
	v_mul_lo_u32 v20, v20, v24
	v_mul_lo_u32 v21, v21, v25
	;; [unrolled: 1-line block ×4, first 2 shown]
	s_delay_alu instid0(VALU_DEP_3) | instskip(SKIP_3) | instid1(VALU_DEP_3)
	v_add3_u32 v4, v20, v4, v21
	s_waitcnt lgkmcnt(0)
	v_mul_lo_u32 v20, v32, v28
	v_mul_lo_u32 v21, v33, v29
	v_add3_u32 v4, v22, v4, v23
	v_mul_lo_u32 v22, v34, v30
	v_mul_lo_u32 v23, v35, v31
	s_delay_alu instid0(VALU_DEP_3) | instskip(NEXT) | instid1(VALU_DEP_1)
	v_add3_u32 v4, v20, v4, v21
	v_add3_u32 v4, v22, v4, v23
	s_cbranch_scc1 .LBB64_37
; %bb.38:                               ;   in Loop: Header=BB64_17 Depth=1
	s_set_inst_prefetch_distance 0x2
	s_mov_b32 s35, s22
	s_and_not1_b32 vcc_lo, exec_lo, s23
	s_cbranch_vccz .LBB64_40
	s_branch .LBB64_15
.LBB64_39:                              ;   in Loop: Header=BB64_17 Depth=1
	s_mov_b32 s35, 0
	s_and_not1_b32 vcc_lo, exec_lo, s23
	s_cbranch_vccnz .LBB64_15
.LBB64_40:                              ;   in Loop: Header=BB64_17 Depth=1
	s_lshl_b32 s35, s35, 2
	s_delay_alu instid0(SALU_CYCLE_1)
	v_add_nc_u32_e32 v11, s35, v19
	v_add_nc_u32_e32 v12, s35, v18
	s_mov_b32 s35, s8
.LBB64_41:                              ;   Parent Loop BB64_17 Depth=1
                                        ; =>  This Inner Loop Header: Depth=2
	ds_load_b32 v22, v12
	ds_load_b32 v23, v11
	v_add_nc_u32_e32 v12, 4, v12
	s_add_i32 s35, s35, -1
	s_delay_alu instid0(SALU_CYCLE_1) | instskip(SKIP_2) | instid1(VALU_DEP_1)
	s_cmp_lg_u32 s35, 0
	s_waitcnt lgkmcnt(0)
	v_mad_u64_u32 v[20:21], null, v23, v22, v[4:5]
	v_dual_mov_b32 v4, v20 :: v_dual_add_nc_u32 v11, 4, v11
	s_cbranch_scc1 .LBB64_41
	s_branch .LBB64_15
.LBB64_42:
	s_delay_alu instid0(VALU_DEP_1) | instskip(NEXT) | instid1(SALU_CYCLE_1)
	s_and_b32 s2, s33, s2
	s_and_saveexec_b32 s3, s2
	s_cbranch_execz .LBB64_62
; %bb.43:
	s_load_b64 s[2:3], s[0:1], 0x70
	v_mad_u64_u32 v[5:6], null, s14, s10, v[2:3]
	s_cmp_lg_u32 s31, 0
	s_mov_b32 s0, exec_lo
	s_cselect_b32 s4, -1, 0
	s_cmp_lg_u32 s16, 1
	s_cselect_b32 s1, -1, 0
	s_delay_alu instid0(VALU_DEP_1) | instskip(SKIP_1) | instid1(VALU_DEP_1)
	v_ashrrev_i32_e32 v6, 31, v5
	s_waitcnt lgkmcnt(0)
	v_mul_lo_u32 v2, v6, s2
	v_mul_lo_u32 v9, v5, s3
	v_mad_u64_u32 v[7:8], null, v5, s2, 0
	v_lshlrev_b64 v[5:6], 2, v[5:6]
	s_delay_alu instid0(VALU_DEP_1) | instskip(NEXT) | instid1(VALU_DEP_3)
	v_add_co_u32 v5, vcc_lo, s6, v5
	v_add3_u32 v8, v8, v9, v2
	s_delay_alu instid0(VALU_DEP_3) | instskip(NEXT) | instid1(VALU_DEP_2)
	v_add_co_ci_u32_e32 v6, vcc_lo, s7, v6, vcc_lo
	v_lshlrev_b64 v[7:8], 2, v[7:8]
	s_delay_alu instid0(VALU_DEP_1) | instskip(NEXT) | instid1(VALU_DEP_2)
	v_add_co_u32 v7, vcc_lo, s6, v7
	v_add_co_ci_u32_e32 v8, vcc_lo, s7, v8, vcc_lo
	v_cmpx_gt_i32_e64 s11, v1
	s_cbranch_execz .LBB64_55
; %bb.44:
	v_ashrrev_i32_e32 v2, 31, v1
	s_and_b32 vcc_lo, exec_lo, s4
	s_cbranch_vccz .LBB64_50
; %bb.45:
	s_and_b32 vcc_lo, exec_lo, s1
	s_mov_b32 s5, -1
	s_cbranch_vccz .LBB64_47
; %bb.46:
	v_lshlrev_b64 v[9:10], 2, v[1:2]
	v_mul_lo_u32 v11, v3, s30
	s_mov_b32 s5, 0
	s_delay_alu instid0(VALU_DEP_2) | instskip(NEXT) | instid1(VALU_DEP_3)
	v_add_co_u32 v9, vcc_lo, v7, v9
	v_add_co_ci_u32_e32 v10, vcc_lo, v8, v10, vcc_lo
	global_load_b32 v14, v[9:10], off
	s_waitcnt vmcnt(0)
	v_mad_u64_u32 v[12:13], null, v14, s31, v[11:12]
	global_store_b32 v[9:10], v12, off
.LBB64_47:
	s_and_not1_b32 vcc_lo, exec_lo, s5
	s_cbranch_vccnz .LBB64_49
; %bb.48:
	v_mul_lo_u32 v11, v2, s2
	v_mul_lo_u32 v12, v1, s3
	v_mad_u64_u32 v[9:10], null, v1, s2, 0
	s_delay_alu instid0(VALU_DEP_1) | instskip(SKIP_1) | instid1(VALU_DEP_2)
	v_add3_u32 v10, v10, v12, v11
	v_mul_lo_u32 v11, v3, s30
	v_lshlrev_b64 v[9:10], 2, v[9:10]
	s_delay_alu instid0(VALU_DEP_1) | instskip(NEXT) | instid1(VALU_DEP_2)
	v_add_co_u32 v9, vcc_lo, v5, v9
	v_add_co_ci_u32_e32 v10, vcc_lo, v6, v10, vcc_lo
	global_load_b32 v14, v[9:10], off
	s_waitcnt vmcnt(0)
	v_mad_u64_u32 v[12:13], null, v14, s31, v[11:12]
	global_store_b32 v[9:10], v12, off
.LBB64_49:
	s_cbranch_execz .LBB64_51
	s_branch .LBB64_55
.LBB64_50:
.LBB64_51:
	v_mul_lo_u32 v3, v3, s30
	s_and_b32 vcc_lo, exec_lo, s1
	s_mov_b32 s5, -1
	s_cbranch_vccz .LBB64_53
; %bb.52:
	v_lshlrev_b64 v[9:10], 2, v[1:2]
	s_mov_b32 s5, 0
	s_delay_alu instid0(VALU_DEP_1) | instskip(NEXT) | instid1(VALU_DEP_2)
	v_add_co_u32 v9, vcc_lo, v7, v9
	v_add_co_ci_u32_e32 v10, vcc_lo, v8, v10, vcc_lo
	global_store_b32 v[9:10], v3, off
.LBB64_53:
	s_and_not1_b32 vcc_lo, exec_lo, s5
	s_cbranch_vccnz .LBB64_55
; %bb.54:
	v_mul_lo_u32 v2, v2, s2
	v_mul_lo_u32 v11, v1, s3
	v_mad_u64_u32 v[9:10], null, v1, s2, 0
	s_delay_alu instid0(VALU_DEP_1) | instskip(NEXT) | instid1(VALU_DEP_1)
	v_add3_u32 v10, v10, v11, v2
	v_lshlrev_b64 v[1:2], 2, v[9:10]
	s_delay_alu instid0(VALU_DEP_1) | instskip(NEXT) | instid1(VALU_DEP_2)
	v_add_co_u32 v1, vcc_lo, v5, v1
	v_add_co_ci_u32_e32 v2, vcc_lo, v6, v2, vcc_lo
	global_store_b32 v[1:2], v3, off
.LBB64_55:
	s_or_b32 exec_lo, exec_lo, s0
	v_cmp_gt_i32_e32 vcc_lo, s11, v0
	s_and_b32 exec_lo, exec_lo, vcc_lo
	s_cbranch_execz .LBB64_62
; %bb.56:
	v_cndmask_b32_e64 v2, 0, 1, s1
	v_ashrrev_i32_e32 v1, 31, v0
	s_and_not1_b32 vcc_lo, exec_lo, s4
	s_delay_alu instid0(VALU_DEP_2)
	v_cmp_ne_u32_e64 s0, 1, v2
	s_cbranch_vccnz .LBB64_63
; %bb.57:
	s_delay_alu instid0(VALU_DEP_1)
	s_and_b32 vcc_lo, exec_lo, s0
	s_mov_b32 s0, -1
	s_cbranch_vccnz .LBB64_59
; %bb.58:
	v_lshlrev_b64 v[2:3], 2, v[0:1]
	v_mul_lo_u32 v9, v4, s30
	s_mov_b32 s0, 0
	s_delay_alu instid0(VALU_DEP_2) | instskip(NEXT) | instid1(VALU_DEP_3)
	v_add_co_u32 v2, vcc_lo, v7, v2
	v_add_co_ci_u32_e32 v3, vcc_lo, v8, v3, vcc_lo
	global_load_b32 v12, v[2:3], off
	s_waitcnt vmcnt(0)
	v_mad_u64_u32 v[10:11], null, v12, s31, v[9:10]
	global_store_b32 v[2:3], v10, off
.LBB64_59:
	s_and_not1_b32 vcc_lo, exec_lo, s0
	s_cbranch_vccnz .LBB64_61
; %bb.60:
	v_mul_lo_u32 v9, v1, s2
	v_mul_lo_u32 v10, v0, s3
	v_mad_u64_u32 v[2:3], null, v0, s2, 0
	s_delay_alu instid0(VALU_DEP_1) | instskip(SKIP_1) | instid1(VALU_DEP_2)
	v_add3_u32 v3, v3, v10, v9
	v_mul_lo_u32 v9, v4, s30
	v_lshlrev_b64 v[2:3], 2, v[2:3]
	s_delay_alu instid0(VALU_DEP_1) | instskip(NEXT) | instid1(VALU_DEP_2)
	v_add_co_u32 v2, vcc_lo, v5, v2
	v_add_co_ci_u32_e32 v3, vcc_lo, v6, v3, vcc_lo
	global_load_b32 v12, v[2:3], off
	s_waitcnt vmcnt(0)
	v_mad_u64_u32 v[10:11], null, v12, s31, v[9:10]
	global_store_b32 v[2:3], v10, off
.LBB64_61:
	s_cbranch_execz .LBB64_64
.LBB64_62:
	s_nop 0
	s_sendmsg sendmsg(MSG_DEALLOC_VGPRS)
	s_endpgm
.LBB64_63:
.LBB64_64:
	v_mul_lo_u32 v2, v4, s30
	s_and_not1_b32 vcc_lo, exec_lo, s1
	s_mov_b32 s0, -1
	s_cbranch_vccnz .LBB64_66
; %bb.65:
	v_lshlrev_b64 v[3:4], 2, v[0:1]
	s_mov_b32 s0, 0
	s_delay_alu instid0(VALU_DEP_1) | instskip(NEXT) | instid1(VALU_DEP_2)
	v_add_co_u32 v3, vcc_lo, v7, v3
	v_add_co_ci_u32_e32 v4, vcc_lo, v8, v4, vcc_lo
	global_store_b32 v[3:4], v2, off
.LBB64_66:
	s_and_not1_b32 vcc_lo, exec_lo, s0
	s_cbranch_vccnz .LBB64_62
; %bb.67:
	v_mul_lo_u32 v1, v1, s2
	v_mul_lo_u32 v7, v0, s3
	v_mad_u64_u32 v[3:4], null, v0, s2, 0
	s_delay_alu instid0(VALU_DEP_1) | instskip(NEXT) | instid1(VALU_DEP_1)
	v_add3_u32 v4, v4, v7, v1
	v_lshlrev_b64 v[0:1], 2, v[3:4]
	s_delay_alu instid0(VALU_DEP_1) | instskip(NEXT) | instid1(VALU_DEP_2)
	v_add_co_u32 v0, vcc_lo, v5, v0
	v_add_co_ci_u32_e32 v1, vcc_lo, v6, v1, vcc_lo
	global_store_b32 v[0:1], v2, off
	s_nop 0
	s_sendmsg sendmsg(MSG_DEALLOC_VGPRS)
	s_endpgm
	.section	.rodata,"a",@progbits
	.p2align	6, 0x0
	.amdhsa_kernel _ZN9rocsparseL31bsrmm_large_blockdim_kernel_extILj8ELj8ELj2EliaaiiEEvb20rocsparse_direction_T3_S2_llNS_24const_host_device_scalarIT7_EEPKT2_PKS2_PKT4_S2_PKT5_llS5_PT6_ll16rocsparse_order_21rocsparse_index_base_b
		.amdhsa_group_segment_fixed_size 768
		.amdhsa_private_segment_fixed_size 0
		.amdhsa_kernarg_size 140
		.amdhsa_user_sgpr_count 14
		.amdhsa_user_sgpr_dispatch_ptr 0
		.amdhsa_user_sgpr_queue_ptr 0
		.amdhsa_user_sgpr_kernarg_segment_ptr 1
		.amdhsa_user_sgpr_dispatch_id 0
		.amdhsa_user_sgpr_private_segment_size 0
		.amdhsa_wavefront_size32 1
		.amdhsa_uses_dynamic_stack 0
		.amdhsa_enable_private_segment 0
		.amdhsa_system_sgpr_workgroup_id_x 1
		.amdhsa_system_sgpr_workgroup_id_y 1
		.amdhsa_system_sgpr_workgroup_id_z 0
		.amdhsa_system_sgpr_workgroup_info 0
		.amdhsa_system_vgpr_workitem_id 1
		.amdhsa_next_free_vgpr 36
		.amdhsa_next_free_sgpr 36
		.amdhsa_reserve_vcc 1
		.amdhsa_float_round_mode_32 0
		.amdhsa_float_round_mode_16_64 0
		.amdhsa_float_denorm_mode_32 3
		.amdhsa_float_denorm_mode_16_64 3
		.amdhsa_dx10_clamp 1
		.amdhsa_ieee_mode 1
		.amdhsa_fp16_overflow 0
		.amdhsa_workgroup_processor_mode 1
		.amdhsa_memory_ordered 1
		.amdhsa_forward_progress 0
		.amdhsa_shared_vgpr_count 0
		.amdhsa_exception_fp_ieee_invalid_op 0
		.amdhsa_exception_fp_denorm_src 0
		.amdhsa_exception_fp_ieee_div_zero 0
		.amdhsa_exception_fp_ieee_overflow 0
		.amdhsa_exception_fp_ieee_underflow 0
		.amdhsa_exception_fp_ieee_inexact 0
		.amdhsa_exception_int_div_zero 0
	.end_amdhsa_kernel
	.section	.text._ZN9rocsparseL31bsrmm_large_blockdim_kernel_extILj8ELj8ELj2EliaaiiEEvb20rocsparse_direction_T3_S2_llNS_24const_host_device_scalarIT7_EEPKT2_PKS2_PKT4_S2_PKT5_llS5_PT6_ll16rocsparse_order_21rocsparse_index_base_b,"axG",@progbits,_ZN9rocsparseL31bsrmm_large_blockdim_kernel_extILj8ELj8ELj2EliaaiiEEvb20rocsparse_direction_T3_S2_llNS_24const_host_device_scalarIT7_EEPKT2_PKS2_PKT4_S2_PKT5_llS5_PT6_ll16rocsparse_order_21rocsparse_index_base_b,comdat
.Lfunc_end64:
	.size	_ZN9rocsparseL31bsrmm_large_blockdim_kernel_extILj8ELj8ELj2EliaaiiEEvb20rocsparse_direction_T3_S2_llNS_24const_host_device_scalarIT7_EEPKT2_PKS2_PKT4_S2_PKT5_llS5_PT6_ll16rocsparse_order_21rocsparse_index_base_b, .Lfunc_end64-_ZN9rocsparseL31bsrmm_large_blockdim_kernel_extILj8ELj8ELj2EliaaiiEEvb20rocsparse_direction_T3_S2_llNS_24const_host_device_scalarIT7_EEPKT2_PKS2_PKT4_S2_PKT5_llS5_PT6_ll16rocsparse_order_21rocsparse_index_base_b
                                        ; -- End function
	.section	.AMDGPU.csdata,"",@progbits
; Kernel info:
; codeLenInByte = 2660
; NumSgprs: 38
; NumVgprs: 36
; ScratchSize: 0
; MemoryBound: 0
; FloatMode: 240
; IeeeMode: 1
; LDSByteSize: 768 bytes/workgroup (compile time only)
; SGPRBlocks: 4
; VGPRBlocks: 4
; NumSGPRsForWavesPerEU: 38
; NumVGPRsForWavesPerEU: 36
; Occupancy: 16
; WaveLimiterHint : 1
; COMPUTE_PGM_RSRC2:SCRATCH_EN: 0
; COMPUTE_PGM_RSRC2:USER_SGPR: 14
; COMPUTE_PGM_RSRC2:TRAP_HANDLER: 0
; COMPUTE_PGM_RSRC2:TGID_X_EN: 1
; COMPUTE_PGM_RSRC2:TGID_Y_EN: 1
; COMPUTE_PGM_RSRC2:TGID_Z_EN: 0
; COMPUTE_PGM_RSRC2:TIDIG_COMP_CNT: 1
	.section	.text._ZN9rocsparseL31bsrmm_large_blockdim_kernel_extILj4ELj16ELj2EliaaiiEEvb20rocsparse_direction_T3_S2_llNS_24const_host_device_scalarIT7_EEPKT2_PKS2_PKT4_S2_PKT5_llS5_PT6_ll16rocsparse_order_21rocsparse_index_base_b,"axG",@progbits,_ZN9rocsparseL31bsrmm_large_blockdim_kernel_extILj4ELj16ELj2EliaaiiEEvb20rocsparse_direction_T3_S2_llNS_24const_host_device_scalarIT7_EEPKT2_PKS2_PKT4_S2_PKT5_llS5_PT6_ll16rocsparse_order_21rocsparse_index_base_b,comdat
	.globl	_ZN9rocsparseL31bsrmm_large_blockdim_kernel_extILj4ELj16ELj2EliaaiiEEvb20rocsparse_direction_T3_S2_llNS_24const_host_device_scalarIT7_EEPKT2_PKS2_PKT4_S2_PKT5_llS5_PT6_ll16rocsparse_order_21rocsparse_index_base_b ; -- Begin function _ZN9rocsparseL31bsrmm_large_blockdim_kernel_extILj4ELj16ELj2EliaaiiEEvb20rocsparse_direction_T3_S2_llNS_24const_host_device_scalarIT7_EEPKT2_PKS2_PKT4_S2_PKT5_llS5_PT6_ll16rocsparse_order_21rocsparse_index_base_b
	.p2align	8
	.type	_ZN9rocsparseL31bsrmm_large_blockdim_kernel_extILj4ELj16ELj2EliaaiiEEvb20rocsparse_direction_T3_S2_llNS_24const_host_device_scalarIT7_EEPKT2_PKS2_PKT4_S2_PKT5_llS5_PT6_ll16rocsparse_order_21rocsparse_index_base_b,@function
_ZN9rocsparseL31bsrmm_large_blockdim_kernel_extILj4ELj16ELj2EliaaiiEEvb20rocsparse_direction_T3_S2_llNS_24const_host_device_scalarIT7_EEPKT2_PKS2_PKT4_S2_PKT5_llS5_PT6_ll16rocsparse_order_21rocsparse_index_base_b: ; @_ZN9rocsparseL31bsrmm_large_blockdim_kernel_extILj4ELj16ELj2EliaaiiEEvb20rocsparse_direction_T3_S2_llNS_24const_host_device_scalarIT7_EEPKT2_PKS2_PKT4_S2_PKT5_llS5_PT6_ll16rocsparse_order_21rocsparse_index_base_b
; %bb.0:
	s_clause 0x1
	s_load_b128 s[16:19], s[0:1], 0x80
	s_load_b64 s[6:7], s[0:1], 0x20
	s_mov_b32 s2, s15
	s_mov_b32 s8, -1
                                        ; implicit-def: $sgpr30
	s_waitcnt lgkmcnt(0)
	s_bitcmp1_b32 s18, 0
	s_cselect_b32 s3, -1, 0
	s_delay_alu instid0(SALU_CYCLE_1) | instskip(NEXT) | instid1(SALU_CYCLE_1)
	s_xor_b32 s3, s3, -1
	s_and_b32 vcc_lo, exec_lo, s3
	s_cbranch_vccnz .LBB65_4
; %bb.1:
	s_load_b64 s[4:5], s[0:1], 0x60
	s_and_not1_b32 vcc_lo, exec_lo, s8
	s_cbranch_vccz .LBB65_5
.LBB65_2:
	s_and_b32 vcc_lo, exec_lo, s3
	s_cbranch_vccz .LBB65_6
.LBB65_3:
	s_waitcnt lgkmcnt(0)
	s_load_b32 s31, s[4:5], 0x0
	s_cbranch_execz .LBB65_7
	s_branch .LBB65_8
.LBB65_4:
	s_load_b32 s30, s[6:7], 0x0
	s_load_b64 s[4:5], s[0:1], 0x60
	s_cbranch_execnz .LBB65_2
.LBB65_5:
	s_waitcnt lgkmcnt(0)
	s_mov_b32 s30, s6
	s_and_b32 vcc_lo, exec_lo, s3
	s_cbranch_vccnz .LBB65_3
.LBB65_6:
                                        ; implicit-def: $sgpr31
.LBB65_7:
	s_waitcnt lgkmcnt(0)
	s_mov_b32 s31, s4
.LBB65_8:
	s_waitcnt lgkmcnt(0)
	s_cmp_eq_u32 s30, 0
	s_cselect_b32 s3, -1, 0
	s_cmp_eq_u32 s31, 1
	s_cselect_b32 s4, -1, 0
	s_delay_alu instid0(SALU_CYCLE_1) | instskip(NEXT) | instid1(SALU_CYCLE_1)
	s_and_b32 s3, s3, s4
	s_and_b32 vcc_lo, exec_lo, s3
	s_cbranch_vccnz .LBB65_62
; %bb.9:
	s_clause 0x1
	s_load_b128 s[8:11], s[0:1], 0x0
	s_load_b64 s[4:5], s[0:1], 0x28
	s_mov_b64 s[12:13], 0
	s_mov_b64 s[18:19], 0
	s_waitcnt lgkmcnt(0)
	s_cmp_lt_i32 s14, s10
	s_cselect_b32 s33, -1, 0
	s_cmp_ge_i32 s14, s10
	s_cbranch_scc1 .LBB65_11
; %bb.10:
	s_ashr_i32 s15, s14, 31
	s_delay_alu instid0(SALU_CYCLE_1) | instskip(NEXT) | instid1(SALU_CYCLE_1)
	s_lshl_b64 s[6:7], s[14:15], 3
	s_add_u32 s6, s4, s6
	s_addc_u32 s7, s5, s7
	s_load_b64 s[6:7], s[6:7], 0x0
	s_waitcnt lgkmcnt(0)
	s_sub_u32 s18, s6, s17
	s_subb_u32 s19, s7, 0
.LBB65_11:
	s_and_not1_b32 vcc_lo, exec_lo, s33
	s_cbranch_vccnz .LBB65_13
; %bb.12:
	s_ashr_i32 s15, s14, 31
	s_delay_alu instid0(SALU_CYCLE_1) | instskip(NEXT) | instid1(SALU_CYCLE_1)
	s_lshl_b64 s[6:7], s[14:15], 3
	s_add_u32 s4, s4, s6
	s_addc_u32 s5, s5, s7
	s_load_b64 s[4:5], s[4:5], 0x8
	s_waitcnt lgkmcnt(0)
	s_sub_u32 s12, s4, s17
	s_subb_u32 s13, s5, 0
.LBB65_13:
	s_clause 0x1
	s_load_b32 s10, s[0:1], 0x40
	s_load_b64 s[6:7], s[0:1], 0x68
	v_bfe_u32 v11, v0, 10, 10
	s_mov_b32 s28, 0
	s_delay_alu instid0(SALU_CYCLE_1) | instskip(SKIP_1) | instid1(VALU_DEP_2)
	s_mov_b32 s29, s28
	v_dual_mov_b32 v3, s28 :: v_dual_and_b32 v2, 0x3ff, v0
	v_lshl_add_u32 v1, s2, 5, v11
	v_cmp_ge_i64_e64 s2, s[18:19], s[12:13]
	v_mov_b32_e32 v4, s29
	s_delay_alu instid0(VALU_DEP_3) | instskip(SKIP_1) | instid1(VALU_DEP_4)
	v_add_nc_u32_e32 v0, 16, v1
	v_cmp_gt_i32_e64 s3, s11, v1
	s_and_b32 vcc_lo, exec_lo, s2
	s_delay_alu instid0(VALU_DEP_2)
	v_cmp_gt_i32_e64 s4, s11, v0
	s_waitcnt lgkmcnt(0)
	v_cmp_gt_i32_e64 s2, s10, v2
	s_cbranch_vccnz .LBB65_42
; %bb.14:
	s_clause 0x1
	s_load_b128 s[20:23], s[0:1], 0x30
	s_load_b128 s[24:27], s[0:1], 0x48
	v_mul_lo_u32 v4, v11, s10
	v_cmp_gt_i32_e32 vcc_lo, s10, v11
	v_mul_lo_u32 v5, v2, s10
	v_ashrrev_i32_e32 v13, 31, v1
	v_lshl_add_u32 v9, v2, 2, v11
	v_ashrrev_i32_e32 v14, 31, v0
	s_and_b32 s15, s2, vcc_lo
	s_bitcmp1_b32 s8, 0
	s_delay_alu instid0(VALU_DEP_2) | instskip(SKIP_4) | instid1(VALU_DEP_1)
	v_lshl_add_u32 v15, v9, 2, 0x200
	s_cselect_b32 s5, -1, 0
	s_cmp_eq_u32 s9, 0
	s_waitcnt lgkmcnt(0)
	v_add_co_u32 v4, s8, s22, v4
	v_add_co_ci_u32_e64 v6, null, s23, 0, s8
	v_add_co_u32 v10, s8, s22, v5
	s_delay_alu instid0(VALU_DEP_3) | instskip(SKIP_1) | instid1(VALU_DEP_4)
	v_add_co_u32 v4, vcc_lo, v4, v2
	v_mul_lo_u32 v17, v1, s27
	v_add_co_ci_u32_e32 v18, vcc_lo, 0, v6, vcc_lo
	v_mul_lo_u32 v19, v13, s26
	v_mad_u64_u32 v[5:6], null, v1, s26, 0
	v_add_co_ci_u32_e64 v12, null, s23, 0, s8
	v_add_co_u32 v9, vcc_lo, v10, v11
	v_mul_lo_u32 v20, v0, s27
	v_mul_lo_u32 v21, v14, s26
	v_mad_u64_u32 v[7:8], null, v0, s26, 0
	v_add_co_ci_u32_e32 v10, vcc_lo, 0, v12, vcc_lo
	s_cselect_b32 vcc_lo, -1, 0
	v_lshlrev_b32_e32 v3, 2, v11
	v_add3_u32 v6, v6, v17, v19
	s_delay_alu instid0(VALU_DEP_3)
	v_dual_cndmask_b32 v10, v18, v10 :: v_dual_lshlrev_b32 v17, 4, v11
	s_add_i32 s9, s10, -1
	s_and_b32 s8, s10, 7
	s_cmp_gt_u32 s9, 6
	v_add_lshl_u32 v16, v3, v2, 2
	v_cndmask_b32_e32 v9, v4, v9, vcc_lo
	v_dual_mov_b32 v3, s28 :: v_dual_mov_b32 v4, s29
	v_add3_u32 v8, v8, v20, v21
	s_cselect_b32 s9, -1, 0
	s_and_b32 s22, s10, -8
	v_lshl_add_u32 v18, v2, 4, 0x200
	v_add_nc_u32_e32 v19, 0x100, v17
	s_cmp_lg_u32 s8, 0
	s_mul_i32 s28, s10, s10
	s_cselect_b32 s23, -1, 0
	s_branch .LBB65_17
.LBB65_15:                              ;   in Loop: Header=BB65_17 Depth=1
	s_or_b32 exec_lo, exec_lo, s34
.LBB65_16:                              ;   in Loop: Header=BB65_17 Depth=1
	s_delay_alu instid0(SALU_CYCLE_1) | instskip(SKIP_2) | instid1(SALU_CYCLE_1)
	s_or_b32 exec_lo, exec_lo, s29
	s_add_u32 s18, s18, 1
	s_addc_u32 s19, s19, 0
	v_cmp_ge_i64_e64 s29, s[18:19], s[12:13]
	s_barrier
	buffer_gl0_inv
	s_and_b32 vcc_lo, exec_lo, s29
	s_cbranch_vccnz .LBB65_42
.LBB65_17:                              ; =>This Loop Header: Depth=1
                                        ;     Child Loop BB65_28 Depth 2
                                        ;     Child Loop BB65_32 Depth 2
	;; [unrolled: 1-line block ×4, first 2 shown]
	s_and_saveexec_b32 s29, s2
	s_cbranch_execz .LBB65_22
; %bb.18:                               ;   in Loop: Header=BB65_17 Depth=1
	s_lshl_b64 s[34:35], s[18:19], 2
	s_delay_alu instid0(SALU_CYCLE_1) | instskip(SKIP_4) | instid1(SALU_CYCLE_1)
	s_add_u32 s34, s20, s34
	s_addc_u32 s35, s21, s35
	s_load_b32 s34, s[34:35], 0x0
	s_waitcnt lgkmcnt(0)
	s_sub_i32 s34, s34, s17
	v_mad_u64_u32 v[20:21], null, s34, s10, v[2:3]
	s_delay_alu instid0(VALU_DEP_1) | instskip(SKIP_3) | instid1(VALU_DEP_4)
	v_ashrrev_i32_e32 v21, 31, v20
	v_mul_lo_u32 v22, v20, s27
	v_mad_u64_u32 v[11:12], null, v20, s26, s[24:25]
	v_add_co_u32 v20, vcc_lo, s24, v20
	v_mul_lo_u32 v23, v21, s26
	v_add_co_ci_u32_e32 v21, vcc_lo, s25, v21, vcc_lo
	s_delay_alu instid0(VALU_DEP_2)
	v_add3_u32 v12, v23, v12, v22
	s_and_saveexec_b32 s34, s3
	s_cbranch_execz .LBB65_20
; %bb.19:                               ;   in Loop: Header=BB65_17 Depth=1
	v_add_co_u32 v22, vcc_lo, v20, v5
	v_add_co_ci_u32_e32 v23, vcc_lo, v21, v6, vcc_lo
	v_add_co_u32 v24, vcc_lo, v11, v1
	v_add_co_ci_u32_e32 v25, vcc_lo, v12, v13, vcc_lo
	s_delay_alu instid0(VALU_DEP_2) | instskip(NEXT) | instid1(VALU_DEP_2)
	v_cndmask_b32_e64 v22, v24, v22, s5
	v_cndmask_b32_e64 v23, v25, v23, s5
	global_load_i8 v22, v[22:23], off
	s_waitcnt vmcnt(0)
	ds_store_b32 v16, v22
.LBB65_20:                              ;   in Loop: Header=BB65_17 Depth=1
	s_or_b32 exec_lo, exec_lo, s34
	s_delay_alu instid0(SALU_CYCLE_1)
	s_and_b32 exec_lo, exec_lo, s4
	s_cbranch_execz .LBB65_22
; %bb.21:                               ;   in Loop: Header=BB65_17 Depth=1
	v_add_co_u32 v20, vcc_lo, v20, v7
	v_add_co_ci_u32_e32 v21, vcc_lo, v21, v8, vcc_lo
	v_add_co_u32 v11, vcc_lo, v11, v0
	v_add_co_ci_u32_e32 v12, vcc_lo, v12, v14, vcc_lo
	s_delay_alu instid0(VALU_DEP_2) | instskip(NEXT) | instid1(VALU_DEP_2)
	v_cndmask_b32_e64 v11, v11, v20, s5
	v_cndmask_b32_e64 v12, v12, v21, s5
	global_load_i8 v11, v[11:12], off
	s_waitcnt vmcnt(0)
	ds_store_b32 v16, v11 offset:256
.LBB65_22:                              ;   in Loop: Header=BB65_17 Depth=1
	s_or_b32 exec_lo, exec_lo, s29
	s_and_saveexec_b32 s29, s15
	s_cbranch_execz .LBB65_24
; %bb.23:                               ;   in Loop: Header=BB65_17 Depth=1
	v_mad_u64_u32 v[11:12], null, s18, s28, v[9:10]
	s_delay_alu instid0(VALU_DEP_1) | instskip(NEXT) | instid1(VALU_DEP_1)
	v_mad_u64_u32 v[20:21], null, s19, s28, v[12:13]
	v_mov_b32_e32 v12, v20
	global_load_i8 v11, v[11:12], off
	s_waitcnt vmcnt(0)
	ds_store_b32 v15, v11
.LBB65_24:                              ;   in Loop: Header=BB65_17 Depth=1
	s_or_b32 exec_lo, exec_lo, s29
	s_waitcnt lgkmcnt(0)
	s_barrier
	buffer_gl0_inv
	s_and_saveexec_b32 s29, s2
	s_cbranch_execz .LBB65_16
; %bb.25:                               ;   in Loop: Header=BB65_17 Depth=1
	s_and_saveexec_b32 s34, s3
	s_cbranch_execz .LBB65_34
; %bb.26:                               ;   in Loop: Header=BB65_17 Depth=1
	s_and_not1_b32 vcc_lo, exec_lo, s9
	s_cbranch_vccnz .LBB65_30
; %bb.27:                               ;   in Loop: Header=BB65_17 Depth=1
	v_dual_mov_b32 v11, v18 :: v_dual_mov_b32 v12, v17
	s_mov_b32 s35, 0
	s_set_inst_prefetch_distance 0x1
	.p2align	6
.LBB65_28:                              ;   Parent Loop BB65_17 Depth=1
                                        ; =>  This Inner Loop Header: Depth=2
	ds_load_b128 v[20:23], v12
	ds_load_b128 v[24:27], v11
	ds_load_b128 v[28:31], v11 offset:16
	ds_load_b128 v[32:35], v12 offset:16
	v_add_nc_u32_e32 v12, 32, v12
	v_add_nc_u32_e32 v11, 32, v11
	s_add_i32 s35, s35, 8
	s_delay_alu instid0(SALU_CYCLE_1)
	s_cmp_lg_u32 s22, s35
	s_waitcnt lgkmcnt(2)
	v_mul_lo_u32 v20, v20, v24
	v_mul_lo_u32 v21, v21, v25
	;; [unrolled: 1-line block ×4, first 2 shown]
	s_delay_alu instid0(VALU_DEP_3) | instskip(SKIP_3) | instid1(VALU_DEP_3)
	v_add3_u32 v3, v20, v3, v21
	s_waitcnt lgkmcnt(0)
	v_mul_lo_u32 v20, v32, v28
	v_mul_lo_u32 v21, v33, v29
	v_add3_u32 v3, v22, v3, v23
	v_mul_lo_u32 v22, v34, v30
	v_mul_lo_u32 v23, v35, v31
	s_delay_alu instid0(VALU_DEP_3) | instskip(NEXT) | instid1(VALU_DEP_1)
	v_add3_u32 v3, v20, v3, v21
	v_add3_u32 v3, v22, v3, v23
	s_cbranch_scc1 .LBB65_28
; %bb.29:                               ;   in Loop: Header=BB65_17 Depth=1
	s_set_inst_prefetch_distance 0x2
	s_mov_b32 s35, s22
	s_and_not1_b32 vcc_lo, exec_lo, s23
	s_cbranch_vccz .LBB65_31
	s_branch .LBB65_34
.LBB65_30:                              ;   in Loop: Header=BB65_17 Depth=1
	s_mov_b32 s35, 0
	s_and_not1_b32 vcc_lo, exec_lo, s23
	s_cbranch_vccnz .LBB65_34
.LBB65_31:                              ;   in Loop: Header=BB65_17 Depth=1
	s_lshl_b32 s35, s35, 2
	s_delay_alu instid0(SALU_CYCLE_1)
	v_add_nc_u32_e32 v20, s35, v17
	v_add_nc_u32_e32 v21, s35, v18
	s_mov_b32 s35, s8
.LBB65_32:                              ;   Parent Loop BB65_17 Depth=1
                                        ; =>  This Inner Loop Header: Depth=2
	ds_load_b32 v22, v21
	ds_load_b32 v23, v20
	s_add_i32 s35, s35, -1
	v_add_nc_u32_e32 v21, 4, v21
	s_cmp_lg_u32 s35, 0
	s_waitcnt lgkmcnt(0)
	v_mad_u64_u32 v[11:12], null, v23, v22, v[3:4]
	v_mov_b32_e32 v12, v4
	s_delay_alu instid0(VALU_DEP_2) | instskip(NEXT) | instid1(VALU_DEP_2)
	v_dual_mov_b32 v3, v11 :: v_dual_add_nc_u32 v20, 4, v20
	v_mov_b32_e32 v4, v12
	s_cbranch_scc1 .LBB65_32
; %bb.33:                               ;   in Loop: Header=BB65_17 Depth=1
	v_dual_mov_b32 v3, v11 :: v_dual_mov_b32 v4, v12
.LBB65_34:                              ;   in Loop: Header=BB65_17 Depth=1
	s_or_b32 exec_lo, exec_lo, s34
	s_and_saveexec_b32 s34, s4
	s_cbranch_execz .LBB65_15
; %bb.35:                               ;   in Loop: Header=BB65_17 Depth=1
	s_and_not1_b32 vcc_lo, exec_lo, s9
	s_cbranch_vccnz .LBB65_39
; %bb.36:                               ;   in Loop: Header=BB65_17 Depth=1
	v_dual_mov_b32 v11, v18 :: v_dual_mov_b32 v12, v19
	s_mov_b32 s35, 0
	s_set_inst_prefetch_distance 0x1
	.p2align	6
.LBB65_37:                              ;   Parent Loop BB65_17 Depth=1
                                        ; =>  This Inner Loop Header: Depth=2
	ds_load_b128 v[20:23], v12
	ds_load_b128 v[24:27], v11
	ds_load_b128 v[28:31], v11 offset:16
	ds_load_b128 v[32:35], v12 offset:16
	v_add_nc_u32_e32 v12, 32, v12
	v_add_nc_u32_e32 v11, 32, v11
	s_add_i32 s35, s35, 8
	s_delay_alu instid0(SALU_CYCLE_1)
	s_cmp_lg_u32 s22, s35
	s_waitcnt lgkmcnt(2)
	v_mul_lo_u32 v20, v20, v24
	v_mul_lo_u32 v21, v21, v25
	;; [unrolled: 1-line block ×4, first 2 shown]
	s_delay_alu instid0(VALU_DEP_3) | instskip(SKIP_3) | instid1(VALU_DEP_3)
	v_add3_u32 v4, v20, v4, v21
	s_waitcnt lgkmcnt(0)
	v_mul_lo_u32 v20, v32, v28
	v_mul_lo_u32 v21, v33, v29
	v_add3_u32 v4, v22, v4, v23
	v_mul_lo_u32 v22, v34, v30
	v_mul_lo_u32 v23, v35, v31
	s_delay_alu instid0(VALU_DEP_3) | instskip(NEXT) | instid1(VALU_DEP_1)
	v_add3_u32 v4, v20, v4, v21
	v_add3_u32 v4, v22, v4, v23
	s_cbranch_scc1 .LBB65_37
; %bb.38:                               ;   in Loop: Header=BB65_17 Depth=1
	s_set_inst_prefetch_distance 0x2
	s_mov_b32 s35, s22
	s_and_not1_b32 vcc_lo, exec_lo, s23
	s_cbranch_vccz .LBB65_40
	s_branch .LBB65_15
.LBB65_39:                              ;   in Loop: Header=BB65_17 Depth=1
	s_mov_b32 s35, 0
	s_and_not1_b32 vcc_lo, exec_lo, s23
	s_cbranch_vccnz .LBB65_15
.LBB65_40:                              ;   in Loop: Header=BB65_17 Depth=1
	s_lshl_b32 s35, s35, 2
	s_delay_alu instid0(SALU_CYCLE_1)
	v_add_nc_u32_e32 v11, s35, v19
	v_add_nc_u32_e32 v12, s35, v18
	s_mov_b32 s35, s8
.LBB65_41:                              ;   Parent Loop BB65_17 Depth=1
                                        ; =>  This Inner Loop Header: Depth=2
	ds_load_b32 v22, v12
	ds_load_b32 v23, v11
	v_add_nc_u32_e32 v12, 4, v12
	s_add_i32 s35, s35, -1
	s_delay_alu instid0(SALU_CYCLE_1) | instskip(SKIP_2) | instid1(VALU_DEP_1)
	s_cmp_lg_u32 s35, 0
	s_waitcnt lgkmcnt(0)
	v_mad_u64_u32 v[20:21], null, v23, v22, v[4:5]
	v_dual_mov_b32 v4, v20 :: v_dual_add_nc_u32 v11, 4, v11
	s_cbranch_scc1 .LBB65_41
	s_branch .LBB65_15
.LBB65_42:
	s_delay_alu instid0(VALU_DEP_1) | instskip(NEXT) | instid1(SALU_CYCLE_1)
	s_and_b32 s2, s33, s2
	s_and_saveexec_b32 s3, s2
	s_cbranch_execz .LBB65_62
; %bb.43:
	s_load_b64 s[2:3], s[0:1], 0x70
	v_mad_u64_u32 v[5:6], null, s14, s10, v[2:3]
	s_cmp_lg_u32 s31, 0
	s_mov_b32 s0, exec_lo
	s_cselect_b32 s4, -1, 0
	s_cmp_lg_u32 s16, 1
	s_cselect_b32 s1, -1, 0
	s_delay_alu instid0(VALU_DEP_1) | instskip(SKIP_1) | instid1(VALU_DEP_1)
	v_ashrrev_i32_e32 v6, 31, v5
	s_waitcnt lgkmcnt(0)
	v_mul_lo_u32 v2, v6, s2
	v_mul_lo_u32 v9, v5, s3
	v_mad_u64_u32 v[7:8], null, v5, s2, 0
	v_lshlrev_b64 v[5:6], 2, v[5:6]
	s_delay_alu instid0(VALU_DEP_1) | instskip(NEXT) | instid1(VALU_DEP_3)
	v_add_co_u32 v5, vcc_lo, s6, v5
	v_add3_u32 v8, v8, v9, v2
	s_delay_alu instid0(VALU_DEP_3) | instskip(NEXT) | instid1(VALU_DEP_2)
	v_add_co_ci_u32_e32 v6, vcc_lo, s7, v6, vcc_lo
	v_lshlrev_b64 v[7:8], 2, v[7:8]
	s_delay_alu instid0(VALU_DEP_1) | instskip(NEXT) | instid1(VALU_DEP_2)
	v_add_co_u32 v7, vcc_lo, s6, v7
	v_add_co_ci_u32_e32 v8, vcc_lo, s7, v8, vcc_lo
	v_cmpx_gt_i32_e64 s11, v1
	s_cbranch_execz .LBB65_55
; %bb.44:
	v_ashrrev_i32_e32 v2, 31, v1
	s_and_b32 vcc_lo, exec_lo, s4
	s_cbranch_vccz .LBB65_50
; %bb.45:
	s_and_b32 vcc_lo, exec_lo, s1
	s_mov_b32 s5, -1
	s_cbranch_vccz .LBB65_47
; %bb.46:
	v_lshlrev_b64 v[9:10], 2, v[1:2]
	v_mul_lo_u32 v11, v3, s30
	s_mov_b32 s5, 0
	s_delay_alu instid0(VALU_DEP_2) | instskip(NEXT) | instid1(VALU_DEP_3)
	v_add_co_u32 v9, vcc_lo, v7, v9
	v_add_co_ci_u32_e32 v10, vcc_lo, v8, v10, vcc_lo
	global_load_b32 v14, v[9:10], off
	s_waitcnt vmcnt(0)
	v_mad_u64_u32 v[12:13], null, v14, s31, v[11:12]
	global_store_b32 v[9:10], v12, off
.LBB65_47:
	s_and_not1_b32 vcc_lo, exec_lo, s5
	s_cbranch_vccnz .LBB65_49
; %bb.48:
	v_mul_lo_u32 v11, v2, s2
	v_mul_lo_u32 v12, v1, s3
	v_mad_u64_u32 v[9:10], null, v1, s2, 0
	s_delay_alu instid0(VALU_DEP_1) | instskip(SKIP_1) | instid1(VALU_DEP_2)
	v_add3_u32 v10, v10, v12, v11
	v_mul_lo_u32 v11, v3, s30
	v_lshlrev_b64 v[9:10], 2, v[9:10]
	s_delay_alu instid0(VALU_DEP_1) | instskip(NEXT) | instid1(VALU_DEP_2)
	v_add_co_u32 v9, vcc_lo, v5, v9
	v_add_co_ci_u32_e32 v10, vcc_lo, v6, v10, vcc_lo
	global_load_b32 v14, v[9:10], off
	s_waitcnt vmcnt(0)
	v_mad_u64_u32 v[12:13], null, v14, s31, v[11:12]
	global_store_b32 v[9:10], v12, off
.LBB65_49:
	s_cbranch_execz .LBB65_51
	s_branch .LBB65_55
.LBB65_50:
.LBB65_51:
	v_mul_lo_u32 v3, v3, s30
	s_and_b32 vcc_lo, exec_lo, s1
	s_mov_b32 s5, -1
	s_cbranch_vccz .LBB65_53
; %bb.52:
	v_lshlrev_b64 v[9:10], 2, v[1:2]
	s_mov_b32 s5, 0
	s_delay_alu instid0(VALU_DEP_1) | instskip(NEXT) | instid1(VALU_DEP_2)
	v_add_co_u32 v9, vcc_lo, v7, v9
	v_add_co_ci_u32_e32 v10, vcc_lo, v8, v10, vcc_lo
	global_store_b32 v[9:10], v3, off
.LBB65_53:
	s_and_not1_b32 vcc_lo, exec_lo, s5
	s_cbranch_vccnz .LBB65_55
; %bb.54:
	v_mul_lo_u32 v2, v2, s2
	v_mul_lo_u32 v11, v1, s3
	v_mad_u64_u32 v[9:10], null, v1, s2, 0
	s_delay_alu instid0(VALU_DEP_1) | instskip(NEXT) | instid1(VALU_DEP_1)
	v_add3_u32 v10, v10, v11, v2
	v_lshlrev_b64 v[1:2], 2, v[9:10]
	s_delay_alu instid0(VALU_DEP_1) | instskip(NEXT) | instid1(VALU_DEP_2)
	v_add_co_u32 v1, vcc_lo, v5, v1
	v_add_co_ci_u32_e32 v2, vcc_lo, v6, v2, vcc_lo
	global_store_b32 v[1:2], v3, off
.LBB65_55:
	s_or_b32 exec_lo, exec_lo, s0
	v_cmp_gt_i32_e32 vcc_lo, s11, v0
	s_and_b32 exec_lo, exec_lo, vcc_lo
	s_cbranch_execz .LBB65_62
; %bb.56:
	v_cndmask_b32_e64 v2, 0, 1, s1
	v_ashrrev_i32_e32 v1, 31, v0
	s_and_not1_b32 vcc_lo, exec_lo, s4
	s_delay_alu instid0(VALU_DEP_2)
	v_cmp_ne_u32_e64 s0, 1, v2
	s_cbranch_vccnz .LBB65_63
; %bb.57:
	s_delay_alu instid0(VALU_DEP_1)
	s_and_b32 vcc_lo, exec_lo, s0
	s_mov_b32 s0, -1
	s_cbranch_vccnz .LBB65_59
; %bb.58:
	v_lshlrev_b64 v[2:3], 2, v[0:1]
	v_mul_lo_u32 v9, v4, s30
	s_mov_b32 s0, 0
	s_delay_alu instid0(VALU_DEP_2) | instskip(NEXT) | instid1(VALU_DEP_3)
	v_add_co_u32 v2, vcc_lo, v7, v2
	v_add_co_ci_u32_e32 v3, vcc_lo, v8, v3, vcc_lo
	global_load_b32 v12, v[2:3], off
	s_waitcnt vmcnt(0)
	v_mad_u64_u32 v[10:11], null, v12, s31, v[9:10]
	global_store_b32 v[2:3], v10, off
.LBB65_59:
	s_and_not1_b32 vcc_lo, exec_lo, s0
	s_cbranch_vccnz .LBB65_61
; %bb.60:
	v_mul_lo_u32 v9, v1, s2
	v_mul_lo_u32 v10, v0, s3
	v_mad_u64_u32 v[2:3], null, v0, s2, 0
	s_delay_alu instid0(VALU_DEP_1) | instskip(SKIP_1) | instid1(VALU_DEP_2)
	v_add3_u32 v3, v3, v10, v9
	v_mul_lo_u32 v9, v4, s30
	v_lshlrev_b64 v[2:3], 2, v[2:3]
	s_delay_alu instid0(VALU_DEP_1) | instskip(NEXT) | instid1(VALU_DEP_2)
	v_add_co_u32 v2, vcc_lo, v5, v2
	v_add_co_ci_u32_e32 v3, vcc_lo, v6, v3, vcc_lo
	global_load_b32 v12, v[2:3], off
	s_waitcnt vmcnt(0)
	v_mad_u64_u32 v[10:11], null, v12, s31, v[9:10]
	global_store_b32 v[2:3], v10, off
.LBB65_61:
	s_cbranch_execz .LBB65_64
.LBB65_62:
	s_nop 0
	s_sendmsg sendmsg(MSG_DEALLOC_VGPRS)
	s_endpgm
.LBB65_63:
.LBB65_64:
	v_mul_lo_u32 v2, v4, s30
	s_and_not1_b32 vcc_lo, exec_lo, s1
	s_mov_b32 s0, -1
	s_cbranch_vccnz .LBB65_66
; %bb.65:
	v_lshlrev_b64 v[3:4], 2, v[0:1]
	s_mov_b32 s0, 0
	s_delay_alu instid0(VALU_DEP_1) | instskip(NEXT) | instid1(VALU_DEP_2)
	v_add_co_u32 v3, vcc_lo, v7, v3
	v_add_co_ci_u32_e32 v4, vcc_lo, v8, v4, vcc_lo
	global_store_b32 v[3:4], v2, off
.LBB65_66:
	s_and_not1_b32 vcc_lo, exec_lo, s0
	s_cbranch_vccnz .LBB65_62
; %bb.67:
	v_mul_lo_u32 v1, v1, s2
	v_mul_lo_u32 v7, v0, s3
	v_mad_u64_u32 v[3:4], null, v0, s2, 0
	s_delay_alu instid0(VALU_DEP_1) | instskip(NEXT) | instid1(VALU_DEP_1)
	v_add3_u32 v4, v4, v7, v1
	v_lshlrev_b64 v[0:1], 2, v[3:4]
	s_delay_alu instid0(VALU_DEP_1) | instskip(NEXT) | instid1(VALU_DEP_2)
	v_add_co_u32 v0, vcc_lo, v5, v0
	v_add_co_ci_u32_e32 v1, vcc_lo, v6, v1, vcc_lo
	global_store_b32 v[0:1], v2, off
	s_nop 0
	s_sendmsg sendmsg(MSG_DEALLOC_VGPRS)
	s_endpgm
	.section	.rodata,"a",@progbits
	.p2align	6, 0x0
	.amdhsa_kernel _ZN9rocsparseL31bsrmm_large_blockdim_kernel_extILj4ELj16ELj2EliaaiiEEvb20rocsparse_direction_T3_S2_llNS_24const_host_device_scalarIT7_EEPKT2_PKS2_PKT4_S2_PKT5_llS5_PT6_ll16rocsparse_order_21rocsparse_index_base_b
		.amdhsa_group_segment_fixed_size 576
		.amdhsa_private_segment_fixed_size 0
		.amdhsa_kernarg_size 140
		.amdhsa_user_sgpr_count 14
		.amdhsa_user_sgpr_dispatch_ptr 0
		.amdhsa_user_sgpr_queue_ptr 0
		.amdhsa_user_sgpr_kernarg_segment_ptr 1
		.amdhsa_user_sgpr_dispatch_id 0
		.amdhsa_user_sgpr_private_segment_size 0
		.amdhsa_wavefront_size32 1
		.amdhsa_uses_dynamic_stack 0
		.amdhsa_enable_private_segment 0
		.amdhsa_system_sgpr_workgroup_id_x 1
		.amdhsa_system_sgpr_workgroup_id_y 1
		.amdhsa_system_sgpr_workgroup_id_z 0
		.amdhsa_system_sgpr_workgroup_info 0
		.amdhsa_system_vgpr_workitem_id 1
		.amdhsa_next_free_vgpr 36
		.amdhsa_next_free_sgpr 36
		.amdhsa_reserve_vcc 1
		.amdhsa_float_round_mode_32 0
		.amdhsa_float_round_mode_16_64 0
		.amdhsa_float_denorm_mode_32 3
		.amdhsa_float_denorm_mode_16_64 3
		.amdhsa_dx10_clamp 1
		.amdhsa_ieee_mode 1
		.amdhsa_fp16_overflow 0
		.amdhsa_workgroup_processor_mode 1
		.amdhsa_memory_ordered 1
		.amdhsa_forward_progress 0
		.amdhsa_shared_vgpr_count 0
		.amdhsa_exception_fp_ieee_invalid_op 0
		.amdhsa_exception_fp_denorm_src 0
		.amdhsa_exception_fp_ieee_div_zero 0
		.amdhsa_exception_fp_ieee_overflow 0
		.amdhsa_exception_fp_ieee_underflow 0
		.amdhsa_exception_fp_ieee_inexact 0
		.amdhsa_exception_int_div_zero 0
	.end_amdhsa_kernel
	.section	.text._ZN9rocsparseL31bsrmm_large_blockdim_kernel_extILj4ELj16ELj2EliaaiiEEvb20rocsparse_direction_T3_S2_llNS_24const_host_device_scalarIT7_EEPKT2_PKS2_PKT4_S2_PKT5_llS5_PT6_ll16rocsparse_order_21rocsparse_index_base_b,"axG",@progbits,_ZN9rocsparseL31bsrmm_large_blockdim_kernel_extILj4ELj16ELj2EliaaiiEEvb20rocsparse_direction_T3_S2_llNS_24const_host_device_scalarIT7_EEPKT2_PKS2_PKT4_S2_PKT5_llS5_PT6_ll16rocsparse_order_21rocsparse_index_base_b,comdat
.Lfunc_end65:
	.size	_ZN9rocsparseL31bsrmm_large_blockdim_kernel_extILj4ELj16ELj2EliaaiiEEvb20rocsparse_direction_T3_S2_llNS_24const_host_device_scalarIT7_EEPKT2_PKS2_PKT4_S2_PKT5_llS5_PT6_ll16rocsparse_order_21rocsparse_index_base_b, .Lfunc_end65-_ZN9rocsparseL31bsrmm_large_blockdim_kernel_extILj4ELj16ELj2EliaaiiEEvb20rocsparse_direction_T3_S2_llNS_24const_host_device_scalarIT7_EEPKT2_PKS2_PKT4_S2_PKT5_llS5_PT6_ll16rocsparse_order_21rocsparse_index_base_b
                                        ; -- End function
	.section	.AMDGPU.csdata,"",@progbits
; Kernel info:
; codeLenInByte = 2660
; NumSgprs: 38
; NumVgprs: 36
; ScratchSize: 0
; MemoryBound: 0
; FloatMode: 240
; IeeeMode: 1
; LDSByteSize: 576 bytes/workgroup (compile time only)
; SGPRBlocks: 4
; VGPRBlocks: 4
; NumSGPRsForWavesPerEU: 38
; NumVGPRsForWavesPerEU: 36
; Occupancy: 16
; WaveLimiterHint : 1
; COMPUTE_PGM_RSRC2:SCRATCH_EN: 0
; COMPUTE_PGM_RSRC2:USER_SGPR: 14
; COMPUTE_PGM_RSRC2:TRAP_HANDLER: 0
; COMPUTE_PGM_RSRC2:TGID_X_EN: 1
; COMPUTE_PGM_RSRC2:TGID_Y_EN: 1
; COMPUTE_PGM_RSRC2:TGID_Z_EN: 0
; COMPUTE_PGM_RSRC2:TIDIG_COMP_CNT: 1
	.section	.text._ZN9rocsparseL31bsrmm_large_blockdim_kernel_extILj16ELj16ELj2EliaaiiEEvb20rocsparse_direction_T3_S2_llNS_24const_host_device_scalarIT7_EEPKT2_PKS2_PKT4_S2_PKT5_llS5_PT6_ll16rocsparse_order_21rocsparse_index_base_b,"axG",@progbits,_ZN9rocsparseL31bsrmm_large_blockdim_kernel_extILj16ELj16ELj2EliaaiiEEvb20rocsparse_direction_T3_S2_llNS_24const_host_device_scalarIT7_EEPKT2_PKS2_PKT4_S2_PKT5_llS5_PT6_ll16rocsparse_order_21rocsparse_index_base_b,comdat
	.globl	_ZN9rocsparseL31bsrmm_large_blockdim_kernel_extILj16ELj16ELj2EliaaiiEEvb20rocsparse_direction_T3_S2_llNS_24const_host_device_scalarIT7_EEPKT2_PKS2_PKT4_S2_PKT5_llS5_PT6_ll16rocsparse_order_21rocsparse_index_base_b ; -- Begin function _ZN9rocsparseL31bsrmm_large_blockdim_kernel_extILj16ELj16ELj2EliaaiiEEvb20rocsparse_direction_T3_S2_llNS_24const_host_device_scalarIT7_EEPKT2_PKS2_PKT4_S2_PKT5_llS5_PT6_ll16rocsparse_order_21rocsparse_index_base_b
	.p2align	8
	.type	_ZN9rocsparseL31bsrmm_large_blockdim_kernel_extILj16ELj16ELj2EliaaiiEEvb20rocsparse_direction_T3_S2_llNS_24const_host_device_scalarIT7_EEPKT2_PKS2_PKT4_S2_PKT5_llS5_PT6_ll16rocsparse_order_21rocsparse_index_base_b,@function
_ZN9rocsparseL31bsrmm_large_blockdim_kernel_extILj16ELj16ELj2EliaaiiEEvb20rocsparse_direction_T3_S2_llNS_24const_host_device_scalarIT7_EEPKT2_PKS2_PKT4_S2_PKT5_llS5_PT6_ll16rocsparse_order_21rocsparse_index_base_b: ; @_ZN9rocsparseL31bsrmm_large_blockdim_kernel_extILj16ELj16ELj2EliaaiiEEvb20rocsparse_direction_T3_S2_llNS_24const_host_device_scalarIT7_EEPKT2_PKS2_PKT4_S2_PKT5_llS5_PT6_ll16rocsparse_order_21rocsparse_index_base_b
; %bb.0:
	s_clause 0x1
	s_load_b128 s[16:19], s[0:1], 0x80
	s_load_b64 s[6:7], s[0:1], 0x20
	s_mov_b32 s2, s15
	s_mov_b32 s8, -1
                                        ; implicit-def: $sgpr30
	s_waitcnt lgkmcnt(0)
	s_bitcmp1_b32 s18, 0
	s_cselect_b32 s3, -1, 0
	s_delay_alu instid0(SALU_CYCLE_1) | instskip(NEXT) | instid1(SALU_CYCLE_1)
	s_xor_b32 s3, s3, -1
	s_and_b32 vcc_lo, exec_lo, s3
	s_cbranch_vccnz .LBB66_4
; %bb.1:
	s_load_b64 s[4:5], s[0:1], 0x60
	s_and_not1_b32 vcc_lo, exec_lo, s8
	s_cbranch_vccz .LBB66_5
.LBB66_2:
	s_and_b32 vcc_lo, exec_lo, s3
	s_cbranch_vccz .LBB66_6
.LBB66_3:
	s_waitcnt lgkmcnt(0)
	s_load_b32 s31, s[4:5], 0x0
	s_cbranch_execz .LBB66_7
	s_branch .LBB66_8
.LBB66_4:
	s_load_b32 s30, s[6:7], 0x0
	s_load_b64 s[4:5], s[0:1], 0x60
	s_cbranch_execnz .LBB66_2
.LBB66_5:
	s_waitcnt lgkmcnt(0)
	s_mov_b32 s30, s6
	s_and_b32 vcc_lo, exec_lo, s3
	s_cbranch_vccnz .LBB66_3
.LBB66_6:
                                        ; implicit-def: $sgpr31
.LBB66_7:
	s_waitcnt lgkmcnt(0)
	s_mov_b32 s31, s4
.LBB66_8:
	s_waitcnt lgkmcnt(0)
	s_cmp_eq_u32 s30, 0
	s_cselect_b32 s3, -1, 0
	s_cmp_eq_u32 s31, 1
	s_cselect_b32 s4, -1, 0
	s_delay_alu instid0(SALU_CYCLE_1) | instskip(NEXT) | instid1(SALU_CYCLE_1)
	s_and_b32 s3, s3, s4
	s_and_b32 vcc_lo, exec_lo, s3
	s_cbranch_vccnz .LBB66_62
; %bb.9:
	s_clause 0x1
	s_load_b128 s[8:11], s[0:1], 0x0
	s_load_b64 s[4:5], s[0:1], 0x28
	s_mov_b64 s[12:13], 0
	s_mov_b64 s[18:19], 0
	s_waitcnt lgkmcnt(0)
	s_cmp_lt_i32 s14, s10
	s_cselect_b32 s33, -1, 0
	s_cmp_ge_i32 s14, s10
	s_cbranch_scc1 .LBB66_11
; %bb.10:
	s_ashr_i32 s15, s14, 31
	s_delay_alu instid0(SALU_CYCLE_1) | instskip(NEXT) | instid1(SALU_CYCLE_1)
	s_lshl_b64 s[6:7], s[14:15], 3
	s_add_u32 s6, s4, s6
	s_addc_u32 s7, s5, s7
	s_load_b64 s[6:7], s[6:7], 0x0
	s_waitcnt lgkmcnt(0)
	s_sub_u32 s18, s6, s17
	s_subb_u32 s19, s7, 0
.LBB66_11:
	s_and_not1_b32 vcc_lo, exec_lo, s33
	s_cbranch_vccnz .LBB66_13
; %bb.12:
	s_ashr_i32 s15, s14, 31
	s_delay_alu instid0(SALU_CYCLE_1) | instskip(NEXT) | instid1(SALU_CYCLE_1)
	s_lshl_b64 s[6:7], s[14:15], 3
	s_add_u32 s4, s4, s6
	s_addc_u32 s5, s5, s7
	s_load_b64 s[4:5], s[4:5], 0x8
	s_waitcnt lgkmcnt(0)
	s_sub_u32 s12, s4, s17
	s_subb_u32 s13, s5, 0
.LBB66_13:
	s_clause 0x1
	s_load_b32 s10, s[0:1], 0x40
	s_load_b64 s[6:7], s[0:1], 0x68
	v_bfe_u32 v11, v0, 10, 10
	s_mov_b32 s28, 0
	s_delay_alu instid0(SALU_CYCLE_1) | instskip(SKIP_1) | instid1(VALU_DEP_2)
	s_mov_b32 s29, s28
	v_dual_mov_b32 v3, s28 :: v_dual_and_b32 v2, 0x3ff, v0
	v_lshl_add_u32 v1, s2, 5, v11
	v_cmp_ge_i64_e64 s2, s[18:19], s[12:13]
	v_mov_b32_e32 v4, s29
	s_delay_alu instid0(VALU_DEP_3) | instskip(SKIP_1) | instid1(VALU_DEP_4)
	v_add_nc_u32_e32 v0, 16, v1
	v_cmp_gt_i32_e64 s3, s11, v1
	s_and_b32 vcc_lo, exec_lo, s2
	s_delay_alu instid0(VALU_DEP_2)
	v_cmp_gt_i32_e64 s4, s11, v0
	s_waitcnt lgkmcnt(0)
	v_cmp_gt_i32_e64 s2, s10, v2
	s_cbranch_vccnz .LBB66_42
; %bb.14:
	s_clause 0x1
	s_load_b128 s[20:23], s[0:1], 0x30
	s_load_b128 s[24:27], s[0:1], 0x48
	v_mul_lo_u32 v4, v11, s10
	v_cmp_gt_i32_e32 vcc_lo, s10, v11
	v_mul_lo_u32 v5, v2, s10
	v_ashrrev_i32_e32 v13, 31, v1
	v_lshl_add_u32 v9, v2, 4, v11
	v_ashrrev_i32_e32 v14, 31, v0
	s_and_b32 s15, s2, vcc_lo
	s_bitcmp1_b32 s8, 0
	s_delay_alu instid0(VALU_DEP_2) | instskip(SKIP_4) | instid1(VALU_DEP_1)
	v_lshl_add_u32 v15, v9, 2, 0x800
	s_cselect_b32 s5, -1, 0
	s_cmp_eq_u32 s9, 0
	s_waitcnt lgkmcnt(0)
	v_add_co_u32 v4, s8, s22, v4
	v_add_co_ci_u32_e64 v6, null, s23, 0, s8
	v_add_co_u32 v10, s8, s22, v5
	s_delay_alu instid0(VALU_DEP_3) | instskip(SKIP_1) | instid1(VALU_DEP_4)
	v_add_co_u32 v4, vcc_lo, v4, v2
	v_mul_lo_u32 v17, v1, s27
	v_add_co_ci_u32_e32 v18, vcc_lo, 0, v6, vcc_lo
	v_mul_lo_u32 v19, v13, s26
	v_mad_u64_u32 v[5:6], null, v1, s26, 0
	v_add_co_ci_u32_e64 v12, null, s23, 0, s8
	v_add_co_u32 v9, vcc_lo, v10, v11
	v_mul_lo_u32 v20, v0, s27
	v_mul_lo_u32 v21, v14, s26
	v_mad_u64_u32 v[7:8], null, v0, s26, 0
	v_add_co_ci_u32_e32 v10, vcc_lo, 0, v12, vcc_lo
	s_cselect_b32 vcc_lo, -1, 0
	v_lshlrev_b32_e32 v3, 4, v11
	v_add3_u32 v6, v6, v17, v19
	s_delay_alu instid0(VALU_DEP_3)
	v_dual_cndmask_b32 v10, v18, v10 :: v_dual_lshlrev_b32 v17, 6, v11
	s_add_i32 s9, s10, -1
	s_and_b32 s8, s10, 7
	s_cmp_gt_u32 s9, 6
	v_add_lshl_u32 v16, v3, v2, 2
	v_cndmask_b32_e32 v9, v4, v9, vcc_lo
	v_dual_mov_b32 v3, s28 :: v_dual_mov_b32 v4, s29
	v_add3_u32 v8, v8, v20, v21
	s_cselect_b32 s9, -1, 0
	s_and_b32 s22, s10, -8
	v_lshl_add_u32 v18, v2, 6, 0x800
	v_add_nc_u32_e32 v19, 0x400, v17
	s_cmp_lg_u32 s8, 0
	s_mul_i32 s28, s10, s10
	s_cselect_b32 s23, -1, 0
	s_branch .LBB66_17
.LBB66_15:                              ;   in Loop: Header=BB66_17 Depth=1
	s_or_b32 exec_lo, exec_lo, s34
.LBB66_16:                              ;   in Loop: Header=BB66_17 Depth=1
	s_delay_alu instid0(SALU_CYCLE_1) | instskip(SKIP_2) | instid1(SALU_CYCLE_1)
	s_or_b32 exec_lo, exec_lo, s29
	s_add_u32 s18, s18, 1
	s_addc_u32 s19, s19, 0
	v_cmp_ge_i64_e64 s29, s[18:19], s[12:13]
	s_barrier
	buffer_gl0_inv
	s_and_b32 vcc_lo, exec_lo, s29
	s_cbranch_vccnz .LBB66_42
.LBB66_17:                              ; =>This Loop Header: Depth=1
                                        ;     Child Loop BB66_28 Depth 2
                                        ;     Child Loop BB66_32 Depth 2
	;; [unrolled: 1-line block ×4, first 2 shown]
	s_and_saveexec_b32 s29, s2
	s_cbranch_execz .LBB66_22
; %bb.18:                               ;   in Loop: Header=BB66_17 Depth=1
	s_lshl_b64 s[34:35], s[18:19], 2
	s_delay_alu instid0(SALU_CYCLE_1) | instskip(SKIP_4) | instid1(SALU_CYCLE_1)
	s_add_u32 s34, s20, s34
	s_addc_u32 s35, s21, s35
	s_load_b32 s34, s[34:35], 0x0
	s_waitcnt lgkmcnt(0)
	s_sub_i32 s34, s34, s17
	v_mad_u64_u32 v[20:21], null, s34, s10, v[2:3]
	s_delay_alu instid0(VALU_DEP_1) | instskip(SKIP_3) | instid1(VALU_DEP_4)
	v_ashrrev_i32_e32 v21, 31, v20
	v_mul_lo_u32 v22, v20, s27
	v_mad_u64_u32 v[11:12], null, v20, s26, s[24:25]
	v_add_co_u32 v20, vcc_lo, s24, v20
	v_mul_lo_u32 v23, v21, s26
	v_add_co_ci_u32_e32 v21, vcc_lo, s25, v21, vcc_lo
	s_delay_alu instid0(VALU_DEP_2)
	v_add3_u32 v12, v23, v12, v22
	s_and_saveexec_b32 s34, s3
	s_cbranch_execz .LBB66_20
; %bb.19:                               ;   in Loop: Header=BB66_17 Depth=1
	v_add_co_u32 v22, vcc_lo, v20, v5
	v_add_co_ci_u32_e32 v23, vcc_lo, v21, v6, vcc_lo
	v_add_co_u32 v24, vcc_lo, v11, v1
	v_add_co_ci_u32_e32 v25, vcc_lo, v12, v13, vcc_lo
	s_delay_alu instid0(VALU_DEP_2) | instskip(NEXT) | instid1(VALU_DEP_2)
	v_cndmask_b32_e64 v22, v24, v22, s5
	v_cndmask_b32_e64 v23, v25, v23, s5
	global_load_i8 v22, v[22:23], off
	s_waitcnt vmcnt(0)
	ds_store_b32 v16, v22
.LBB66_20:                              ;   in Loop: Header=BB66_17 Depth=1
	s_or_b32 exec_lo, exec_lo, s34
	s_delay_alu instid0(SALU_CYCLE_1)
	s_and_b32 exec_lo, exec_lo, s4
	s_cbranch_execz .LBB66_22
; %bb.21:                               ;   in Loop: Header=BB66_17 Depth=1
	v_add_co_u32 v20, vcc_lo, v20, v7
	v_add_co_ci_u32_e32 v21, vcc_lo, v21, v8, vcc_lo
	v_add_co_u32 v11, vcc_lo, v11, v0
	v_add_co_ci_u32_e32 v12, vcc_lo, v12, v14, vcc_lo
	s_delay_alu instid0(VALU_DEP_2) | instskip(NEXT) | instid1(VALU_DEP_2)
	v_cndmask_b32_e64 v11, v11, v20, s5
	v_cndmask_b32_e64 v12, v12, v21, s5
	global_load_i8 v11, v[11:12], off
	s_waitcnt vmcnt(0)
	ds_store_b32 v16, v11 offset:1024
.LBB66_22:                              ;   in Loop: Header=BB66_17 Depth=1
	s_or_b32 exec_lo, exec_lo, s29
	s_and_saveexec_b32 s29, s15
	s_cbranch_execz .LBB66_24
; %bb.23:                               ;   in Loop: Header=BB66_17 Depth=1
	v_mad_u64_u32 v[11:12], null, s18, s28, v[9:10]
	s_delay_alu instid0(VALU_DEP_1) | instskip(NEXT) | instid1(VALU_DEP_1)
	v_mad_u64_u32 v[20:21], null, s19, s28, v[12:13]
	v_mov_b32_e32 v12, v20
	global_load_i8 v11, v[11:12], off
	s_waitcnt vmcnt(0)
	ds_store_b32 v15, v11
.LBB66_24:                              ;   in Loop: Header=BB66_17 Depth=1
	s_or_b32 exec_lo, exec_lo, s29
	s_waitcnt lgkmcnt(0)
	s_barrier
	buffer_gl0_inv
	s_and_saveexec_b32 s29, s2
	s_cbranch_execz .LBB66_16
; %bb.25:                               ;   in Loop: Header=BB66_17 Depth=1
	s_and_saveexec_b32 s34, s3
	s_cbranch_execz .LBB66_34
; %bb.26:                               ;   in Loop: Header=BB66_17 Depth=1
	s_and_not1_b32 vcc_lo, exec_lo, s9
	s_cbranch_vccnz .LBB66_30
; %bb.27:                               ;   in Loop: Header=BB66_17 Depth=1
	v_dual_mov_b32 v11, v18 :: v_dual_mov_b32 v12, v17
	s_mov_b32 s35, 0
	s_set_inst_prefetch_distance 0x1
	.p2align	6
.LBB66_28:                              ;   Parent Loop BB66_17 Depth=1
                                        ; =>  This Inner Loop Header: Depth=2
	ds_load_b128 v[20:23], v12
	ds_load_b128 v[24:27], v11
	ds_load_b128 v[28:31], v11 offset:16
	ds_load_b128 v[32:35], v12 offset:16
	v_add_nc_u32_e32 v12, 32, v12
	v_add_nc_u32_e32 v11, 32, v11
	s_add_i32 s35, s35, 8
	s_delay_alu instid0(SALU_CYCLE_1)
	s_cmp_lg_u32 s22, s35
	s_waitcnt lgkmcnt(2)
	v_mul_lo_u32 v20, v20, v24
	v_mul_lo_u32 v21, v21, v25
	;; [unrolled: 1-line block ×4, first 2 shown]
	s_delay_alu instid0(VALU_DEP_3) | instskip(SKIP_3) | instid1(VALU_DEP_3)
	v_add3_u32 v3, v20, v3, v21
	s_waitcnt lgkmcnt(0)
	v_mul_lo_u32 v20, v32, v28
	v_mul_lo_u32 v21, v33, v29
	v_add3_u32 v3, v22, v3, v23
	v_mul_lo_u32 v22, v34, v30
	v_mul_lo_u32 v23, v35, v31
	s_delay_alu instid0(VALU_DEP_3) | instskip(NEXT) | instid1(VALU_DEP_1)
	v_add3_u32 v3, v20, v3, v21
	v_add3_u32 v3, v22, v3, v23
	s_cbranch_scc1 .LBB66_28
; %bb.29:                               ;   in Loop: Header=BB66_17 Depth=1
	s_set_inst_prefetch_distance 0x2
	s_mov_b32 s35, s22
	s_and_not1_b32 vcc_lo, exec_lo, s23
	s_cbranch_vccz .LBB66_31
	s_branch .LBB66_34
.LBB66_30:                              ;   in Loop: Header=BB66_17 Depth=1
	s_mov_b32 s35, 0
	s_and_not1_b32 vcc_lo, exec_lo, s23
	s_cbranch_vccnz .LBB66_34
.LBB66_31:                              ;   in Loop: Header=BB66_17 Depth=1
	s_lshl_b32 s35, s35, 2
	s_delay_alu instid0(SALU_CYCLE_1)
	v_add_nc_u32_e32 v20, s35, v17
	v_add_nc_u32_e32 v21, s35, v18
	s_mov_b32 s35, s8
.LBB66_32:                              ;   Parent Loop BB66_17 Depth=1
                                        ; =>  This Inner Loop Header: Depth=2
	ds_load_b32 v22, v21
	ds_load_b32 v23, v20
	s_add_i32 s35, s35, -1
	v_add_nc_u32_e32 v21, 4, v21
	s_cmp_lg_u32 s35, 0
	s_waitcnt lgkmcnt(0)
	v_mad_u64_u32 v[11:12], null, v23, v22, v[3:4]
	v_mov_b32_e32 v12, v4
	s_delay_alu instid0(VALU_DEP_2) | instskip(NEXT) | instid1(VALU_DEP_2)
	v_dual_mov_b32 v3, v11 :: v_dual_add_nc_u32 v20, 4, v20
	v_mov_b32_e32 v4, v12
	s_cbranch_scc1 .LBB66_32
; %bb.33:                               ;   in Loop: Header=BB66_17 Depth=1
	v_dual_mov_b32 v3, v11 :: v_dual_mov_b32 v4, v12
.LBB66_34:                              ;   in Loop: Header=BB66_17 Depth=1
	s_or_b32 exec_lo, exec_lo, s34
	s_and_saveexec_b32 s34, s4
	s_cbranch_execz .LBB66_15
; %bb.35:                               ;   in Loop: Header=BB66_17 Depth=1
	s_and_not1_b32 vcc_lo, exec_lo, s9
	s_cbranch_vccnz .LBB66_39
; %bb.36:                               ;   in Loop: Header=BB66_17 Depth=1
	v_dual_mov_b32 v11, v18 :: v_dual_mov_b32 v12, v19
	s_mov_b32 s35, 0
	s_set_inst_prefetch_distance 0x1
	.p2align	6
.LBB66_37:                              ;   Parent Loop BB66_17 Depth=1
                                        ; =>  This Inner Loop Header: Depth=2
	ds_load_b128 v[20:23], v12
	ds_load_b128 v[24:27], v11
	ds_load_b128 v[28:31], v11 offset:16
	ds_load_b128 v[32:35], v12 offset:16
	v_add_nc_u32_e32 v12, 32, v12
	v_add_nc_u32_e32 v11, 32, v11
	s_add_i32 s35, s35, 8
	s_delay_alu instid0(SALU_CYCLE_1)
	s_cmp_lg_u32 s22, s35
	s_waitcnt lgkmcnt(2)
	v_mul_lo_u32 v20, v20, v24
	v_mul_lo_u32 v21, v21, v25
	;; [unrolled: 1-line block ×4, first 2 shown]
	s_delay_alu instid0(VALU_DEP_3) | instskip(SKIP_3) | instid1(VALU_DEP_3)
	v_add3_u32 v4, v20, v4, v21
	s_waitcnt lgkmcnt(0)
	v_mul_lo_u32 v20, v32, v28
	v_mul_lo_u32 v21, v33, v29
	v_add3_u32 v4, v22, v4, v23
	v_mul_lo_u32 v22, v34, v30
	v_mul_lo_u32 v23, v35, v31
	s_delay_alu instid0(VALU_DEP_3) | instskip(NEXT) | instid1(VALU_DEP_1)
	v_add3_u32 v4, v20, v4, v21
	v_add3_u32 v4, v22, v4, v23
	s_cbranch_scc1 .LBB66_37
; %bb.38:                               ;   in Loop: Header=BB66_17 Depth=1
	s_set_inst_prefetch_distance 0x2
	s_mov_b32 s35, s22
	s_and_not1_b32 vcc_lo, exec_lo, s23
	s_cbranch_vccz .LBB66_40
	s_branch .LBB66_15
.LBB66_39:                              ;   in Loop: Header=BB66_17 Depth=1
	s_mov_b32 s35, 0
	s_and_not1_b32 vcc_lo, exec_lo, s23
	s_cbranch_vccnz .LBB66_15
.LBB66_40:                              ;   in Loop: Header=BB66_17 Depth=1
	s_lshl_b32 s35, s35, 2
	s_delay_alu instid0(SALU_CYCLE_1)
	v_add_nc_u32_e32 v11, s35, v19
	v_add_nc_u32_e32 v12, s35, v18
	s_mov_b32 s35, s8
.LBB66_41:                              ;   Parent Loop BB66_17 Depth=1
                                        ; =>  This Inner Loop Header: Depth=2
	ds_load_b32 v22, v12
	ds_load_b32 v23, v11
	v_add_nc_u32_e32 v12, 4, v12
	s_add_i32 s35, s35, -1
	s_delay_alu instid0(SALU_CYCLE_1) | instskip(SKIP_2) | instid1(VALU_DEP_1)
	s_cmp_lg_u32 s35, 0
	s_waitcnt lgkmcnt(0)
	v_mad_u64_u32 v[20:21], null, v23, v22, v[4:5]
	v_dual_mov_b32 v4, v20 :: v_dual_add_nc_u32 v11, 4, v11
	s_cbranch_scc1 .LBB66_41
	s_branch .LBB66_15
.LBB66_42:
	s_delay_alu instid0(VALU_DEP_1) | instskip(NEXT) | instid1(SALU_CYCLE_1)
	s_and_b32 s2, s33, s2
	s_and_saveexec_b32 s3, s2
	s_cbranch_execz .LBB66_62
; %bb.43:
	s_load_b64 s[2:3], s[0:1], 0x70
	v_mad_u64_u32 v[5:6], null, s14, s10, v[2:3]
	s_cmp_lg_u32 s31, 0
	s_mov_b32 s0, exec_lo
	s_cselect_b32 s4, -1, 0
	s_cmp_lg_u32 s16, 1
	s_cselect_b32 s1, -1, 0
	s_delay_alu instid0(VALU_DEP_1) | instskip(SKIP_1) | instid1(VALU_DEP_1)
	v_ashrrev_i32_e32 v6, 31, v5
	s_waitcnt lgkmcnt(0)
	v_mul_lo_u32 v2, v6, s2
	v_mul_lo_u32 v9, v5, s3
	v_mad_u64_u32 v[7:8], null, v5, s2, 0
	v_lshlrev_b64 v[5:6], 2, v[5:6]
	s_delay_alu instid0(VALU_DEP_1) | instskip(NEXT) | instid1(VALU_DEP_3)
	v_add_co_u32 v5, vcc_lo, s6, v5
	v_add3_u32 v8, v8, v9, v2
	s_delay_alu instid0(VALU_DEP_3) | instskip(NEXT) | instid1(VALU_DEP_2)
	v_add_co_ci_u32_e32 v6, vcc_lo, s7, v6, vcc_lo
	v_lshlrev_b64 v[7:8], 2, v[7:8]
	s_delay_alu instid0(VALU_DEP_1) | instskip(NEXT) | instid1(VALU_DEP_2)
	v_add_co_u32 v7, vcc_lo, s6, v7
	v_add_co_ci_u32_e32 v8, vcc_lo, s7, v8, vcc_lo
	v_cmpx_gt_i32_e64 s11, v1
	s_cbranch_execz .LBB66_55
; %bb.44:
	v_ashrrev_i32_e32 v2, 31, v1
	s_and_b32 vcc_lo, exec_lo, s4
	s_cbranch_vccz .LBB66_50
; %bb.45:
	s_and_b32 vcc_lo, exec_lo, s1
	s_mov_b32 s5, -1
	s_cbranch_vccz .LBB66_47
; %bb.46:
	v_lshlrev_b64 v[9:10], 2, v[1:2]
	v_mul_lo_u32 v11, v3, s30
	s_mov_b32 s5, 0
	s_delay_alu instid0(VALU_DEP_2) | instskip(NEXT) | instid1(VALU_DEP_3)
	v_add_co_u32 v9, vcc_lo, v7, v9
	v_add_co_ci_u32_e32 v10, vcc_lo, v8, v10, vcc_lo
	global_load_b32 v14, v[9:10], off
	s_waitcnt vmcnt(0)
	v_mad_u64_u32 v[12:13], null, v14, s31, v[11:12]
	global_store_b32 v[9:10], v12, off
.LBB66_47:
	s_and_not1_b32 vcc_lo, exec_lo, s5
	s_cbranch_vccnz .LBB66_49
; %bb.48:
	v_mul_lo_u32 v11, v2, s2
	v_mul_lo_u32 v12, v1, s3
	v_mad_u64_u32 v[9:10], null, v1, s2, 0
	s_delay_alu instid0(VALU_DEP_1) | instskip(SKIP_1) | instid1(VALU_DEP_2)
	v_add3_u32 v10, v10, v12, v11
	v_mul_lo_u32 v11, v3, s30
	v_lshlrev_b64 v[9:10], 2, v[9:10]
	s_delay_alu instid0(VALU_DEP_1) | instskip(NEXT) | instid1(VALU_DEP_2)
	v_add_co_u32 v9, vcc_lo, v5, v9
	v_add_co_ci_u32_e32 v10, vcc_lo, v6, v10, vcc_lo
	global_load_b32 v14, v[9:10], off
	s_waitcnt vmcnt(0)
	v_mad_u64_u32 v[12:13], null, v14, s31, v[11:12]
	global_store_b32 v[9:10], v12, off
.LBB66_49:
	s_cbranch_execz .LBB66_51
	s_branch .LBB66_55
.LBB66_50:
.LBB66_51:
	v_mul_lo_u32 v3, v3, s30
	s_and_b32 vcc_lo, exec_lo, s1
	s_mov_b32 s5, -1
	s_cbranch_vccz .LBB66_53
; %bb.52:
	v_lshlrev_b64 v[9:10], 2, v[1:2]
	s_mov_b32 s5, 0
	s_delay_alu instid0(VALU_DEP_1) | instskip(NEXT) | instid1(VALU_DEP_2)
	v_add_co_u32 v9, vcc_lo, v7, v9
	v_add_co_ci_u32_e32 v10, vcc_lo, v8, v10, vcc_lo
	global_store_b32 v[9:10], v3, off
.LBB66_53:
	s_and_not1_b32 vcc_lo, exec_lo, s5
	s_cbranch_vccnz .LBB66_55
; %bb.54:
	v_mul_lo_u32 v2, v2, s2
	v_mul_lo_u32 v11, v1, s3
	v_mad_u64_u32 v[9:10], null, v1, s2, 0
	s_delay_alu instid0(VALU_DEP_1) | instskip(NEXT) | instid1(VALU_DEP_1)
	v_add3_u32 v10, v10, v11, v2
	v_lshlrev_b64 v[1:2], 2, v[9:10]
	s_delay_alu instid0(VALU_DEP_1) | instskip(NEXT) | instid1(VALU_DEP_2)
	v_add_co_u32 v1, vcc_lo, v5, v1
	v_add_co_ci_u32_e32 v2, vcc_lo, v6, v2, vcc_lo
	global_store_b32 v[1:2], v3, off
.LBB66_55:
	s_or_b32 exec_lo, exec_lo, s0
	v_cmp_gt_i32_e32 vcc_lo, s11, v0
	s_and_b32 exec_lo, exec_lo, vcc_lo
	s_cbranch_execz .LBB66_62
; %bb.56:
	v_cndmask_b32_e64 v2, 0, 1, s1
	v_ashrrev_i32_e32 v1, 31, v0
	s_and_not1_b32 vcc_lo, exec_lo, s4
	s_delay_alu instid0(VALU_DEP_2)
	v_cmp_ne_u32_e64 s0, 1, v2
	s_cbranch_vccnz .LBB66_63
; %bb.57:
	s_delay_alu instid0(VALU_DEP_1)
	s_and_b32 vcc_lo, exec_lo, s0
	s_mov_b32 s0, -1
	s_cbranch_vccnz .LBB66_59
; %bb.58:
	v_lshlrev_b64 v[2:3], 2, v[0:1]
	v_mul_lo_u32 v9, v4, s30
	s_mov_b32 s0, 0
	s_delay_alu instid0(VALU_DEP_2) | instskip(NEXT) | instid1(VALU_DEP_3)
	v_add_co_u32 v2, vcc_lo, v7, v2
	v_add_co_ci_u32_e32 v3, vcc_lo, v8, v3, vcc_lo
	global_load_b32 v12, v[2:3], off
	s_waitcnt vmcnt(0)
	v_mad_u64_u32 v[10:11], null, v12, s31, v[9:10]
	global_store_b32 v[2:3], v10, off
.LBB66_59:
	s_and_not1_b32 vcc_lo, exec_lo, s0
	s_cbranch_vccnz .LBB66_61
; %bb.60:
	v_mul_lo_u32 v9, v1, s2
	v_mul_lo_u32 v10, v0, s3
	v_mad_u64_u32 v[2:3], null, v0, s2, 0
	s_delay_alu instid0(VALU_DEP_1) | instskip(SKIP_1) | instid1(VALU_DEP_2)
	v_add3_u32 v3, v3, v10, v9
	v_mul_lo_u32 v9, v4, s30
	v_lshlrev_b64 v[2:3], 2, v[2:3]
	s_delay_alu instid0(VALU_DEP_1) | instskip(NEXT) | instid1(VALU_DEP_2)
	v_add_co_u32 v2, vcc_lo, v5, v2
	v_add_co_ci_u32_e32 v3, vcc_lo, v6, v3, vcc_lo
	global_load_b32 v12, v[2:3], off
	s_waitcnt vmcnt(0)
	v_mad_u64_u32 v[10:11], null, v12, s31, v[9:10]
	global_store_b32 v[2:3], v10, off
.LBB66_61:
	s_cbranch_execz .LBB66_64
.LBB66_62:
	s_nop 0
	s_sendmsg sendmsg(MSG_DEALLOC_VGPRS)
	s_endpgm
.LBB66_63:
.LBB66_64:
	v_mul_lo_u32 v2, v4, s30
	s_and_not1_b32 vcc_lo, exec_lo, s1
	s_mov_b32 s0, -1
	s_cbranch_vccnz .LBB66_66
; %bb.65:
	v_lshlrev_b64 v[3:4], 2, v[0:1]
	s_mov_b32 s0, 0
	s_delay_alu instid0(VALU_DEP_1) | instskip(NEXT) | instid1(VALU_DEP_2)
	v_add_co_u32 v3, vcc_lo, v7, v3
	v_add_co_ci_u32_e32 v4, vcc_lo, v8, v4, vcc_lo
	global_store_b32 v[3:4], v2, off
.LBB66_66:
	s_and_not1_b32 vcc_lo, exec_lo, s0
	s_cbranch_vccnz .LBB66_62
; %bb.67:
	v_mul_lo_u32 v1, v1, s2
	v_mul_lo_u32 v7, v0, s3
	v_mad_u64_u32 v[3:4], null, v0, s2, 0
	s_delay_alu instid0(VALU_DEP_1) | instskip(NEXT) | instid1(VALU_DEP_1)
	v_add3_u32 v4, v4, v7, v1
	v_lshlrev_b64 v[0:1], 2, v[3:4]
	s_delay_alu instid0(VALU_DEP_1) | instskip(NEXT) | instid1(VALU_DEP_2)
	v_add_co_u32 v0, vcc_lo, v5, v0
	v_add_co_ci_u32_e32 v1, vcc_lo, v6, v1, vcc_lo
	global_store_b32 v[0:1], v2, off
	s_nop 0
	s_sendmsg sendmsg(MSG_DEALLOC_VGPRS)
	s_endpgm
	.section	.rodata,"a",@progbits
	.p2align	6, 0x0
	.amdhsa_kernel _ZN9rocsparseL31bsrmm_large_blockdim_kernel_extILj16ELj16ELj2EliaaiiEEvb20rocsparse_direction_T3_S2_llNS_24const_host_device_scalarIT7_EEPKT2_PKS2_PKT4_S2_PKT5_llS5_PT6_ll16rocsparse_order_21rocsparse_index_base_b
		.amdhsa_group_segment_fixed_size 3072
		.amdhsa_private_segment_fixed_size 0
		.amdhsa_kernarg_size 140
		.amdhsa_user_sgpr_count 14
		.amdhsa_user_sgpr_dispatch_ptr 0
		.amdhsa_user_sgpr_queue_ptr 0
		.amdhsa_user_sgpr_kernarg_segment_ptr 1
		.amdhsa_user_sgpr_dispatch_id 0
		.amdhsa_user_sgpr_private_segment_size 0
		.amdhsa_wavefront_size32 1
		.amdhsa_uses_dynamic_stack 0
		.amdhsa_enable_private_segment 0
		.amdhsa_system_sgpr_workgroup_id_x 1
		.amdhsa_system_sgpr_workgroup_id_y 1
		.amdhsa_system_sgpr_workgroup_id_z 0
		.amdhsa_system_sgpr_workgroup_info 0
		.amdhsa_system_vgpr_workitem_id 1
		.amdhsa_next_free_vgpr 36
		.amdhsa_next_free_sgpr 36
		.amdhsa_reserve_vcc 1
		.amdhsa_float_round_mode_32 0
		.amdhsa_float_round_mode_16_64 0
		.amdhsa_float_denorm_mode_32 3
		.amdhsa_float_denorm_mode_16_64 3
		.amdhsa_dx10_clamp 1
		.amdhsa_ieee_mode 1
		.amdhsa_fp16_overflow 0
		.amdhsa_workgroup_processor_mode 1
		.amdhsa_memory_ordered 1
		.amdhsa_forward_progress 0
		.amdhsa_shared_vgpr_count 0
		.amdhsa_exception_fp_ieee_invalid_op 0
		.amdhsa_exception_fp_denorm_src 0
		.amdhsa_exception_fp_ieee_div_zero 0
		.amdhsa_exception_fp_ieee_overflow 0
		.amdhsa_exception_fp_ieee_underflow 0
		.amdhsa_exception_fp_ieee_inexact 0
		.amdhsa_exception_int_div_zero 0
	.end_amdhsa_kernel
	.section	.text._ZN9rocsparseL31bsrmm_large_blockdim_kernel_extILj16ELj16ELj2EliaaiiEEvb20rocsparse_direction_T3_S2_llNS_24const_host_device_scalarIT7_EEPKT2_PKS2_PKT4_S2_PKT5_llS5_PT6_ll16rocsparse_order_21rocsparse_index_base_b,"axG",@progbits,_ZN9rocsparseL31bsrmm_large_blockdim_kernel_extILj16ELj16ELj2EliaaiiEEvb20rocsparse_direction_T3_S2_llNS_24const_host_device_scalarIT7_EEPKT2_PKS2_PKT4_S2_PKT5_llS5_PT6_ll16rocsparse_order_21rocsparse_index_base_b,comdat
.Lfunc_end66:
	.size	_ZN9rocsparseL31bsrmm_large_blockdim_kernel_extILj16ELj16ELj2EliaaiiEEvb20rocsparse_direction_T3_S2_llNS_24const_host_device_scalarIT7_EEPKT2_PKS2_PKT4_S2_PKT5_llS5_PT6_ll16rocsparse_order_21rocsparse_index_base_b, .Lfunc_end66-_ZN9rocsparseL31bsrmm_large_blockdim_kernel_extILj16ELj16ELj2EliaaiiEEvb20rocsparse_direction_T3_S2_llNS_24const_host_device_scalarIT7_EEPKT2_PKS2_PKT4_S2_PKT5_llS5_PT6_ll16rocsparse_order_21rocsparse_index_base_b
                                        ; -- End function
	.section	.AMDGPU.csdata,"",@progbits
; Kernel info:
; codeLenInByte = 2660
; NumSgprs: 38
; NumVgprs: 36
; ScratchSize: 0
; MemoryBound: 0
; FloatMode: 240
; IeeeMode: 1
; LDSByteSize: 3072 bytes/workgroup (compile time only)
; SGPRBlocks: 4
; VGPRBlocks: 4
; NumSGPRsForWavesPerEU: 38
; NumVGPRsForWavesPerEU: 36
; Occupancy: 16
; WaveLimiterHint : 1
; COMPUTE_PGM_RSRC2:SCRATCH_EN: 0
; COMPUTE_PGM_RSRC2:USER_SGPR: 14
; COMPUTE_PGM_RSRC2:TRAP_HANDLER: 0
; COMPUTE_PGM_RSRC2:TGID_X_EN: 1
; COMPUTE_PGM_RSRC2:TGID_Y_EN: 1
; COMPUTE_PGM_RSRC2:TGID_Z_EN: 0
; COMPUTE_PGM_RSRC2:TIDIG_COMP_CNT: 1
	.section	.text._ZN9rocsparseL31bsrmm_large_blockdim_kernel_extILj32ELj32ELj2EliaaiiEEvb20rocsparse_direction_T3_S2_llNS_24const_host_device_scalarIT7_EEPKT2_PKS2_PKT4_S2_PKT5_llS5_PT6_ll16rocsparse_order_21rocsparse_index_base_b,"axG",@progbits,_ZN9rocsparseL31bsrmm_large_blockdim_kernel_extILj32ELj32ELj2EliaaiiEEvb20rocsparse_direction_T3_S2_llNS_24const_host_device_scalarIT7_EEPKT2_PKS2_PKT4_S2_PKT5_llS5_PT6_ll16rocsparse_order_21rocsparse_index_base_b,comdat
	.globl	_ZN9rocsparseL31bsrmm_large_blockdim_kernel_extILj32ELj32ELj2EliaaiiEEvb20rocsparse_direction_T3_S2_llNS_24const_host_device_scalarIT7_EEPKT2_PKS2_PKT4_S2_PKT5_llS5_PT6_ll16rocsparse_order_21rocsparse_index_base_b ; -- Begin function _ZN9rocsparseL31bsrmm_large_blockdim_kernel_extILj32ELj32ELj2EliaaiiEEvb20rocsparse_direction_T3_S2_llNS_24const_host_device_scalarIT7_EEPKT2_PKS2_PKT4_S2_PKT5_llS5_PT6_ll16rocsparse_order_21rocsparse_index_base_b
	.p2align	8
	.type	_ZN9rocsparseL31bsrmm_large_blockdim_kernel_extILj32ELj32ELj2EliaaiiEEvb20rocsparse_direction_T3_S2_llNS_24const_host_device_scalarIT7_EEPKT2_PKS2_PKT4_S2_PKT5_llS5_PT6_ll16rocsparse_order_21rocsparse_index_base_b,@function
_ZN9rocsparseL31bsrmm_large_blockdim_kernel_extILj32ELj32ELj2EliaaiiEEvb20rocsparse_direction_T3_S2_llNS_24const_host_device_scalarIT7_EEPKT2_PKS2_PKT4_S2_PKT5_llS5_PT6_ll16rocsparse_order_21rocsparse_index_base_b: ; @_ZN9rocsparseL31bsrmm_large_blockdim_kernel_extILj32ELj32ELj2EliaaiiEEvb20rocsparse_direction_T3_S2_llNS_24const_host_device_scalarIT7_EEPKT2_PKS2_PKT4_S2_PKT5_llS5_PT6_ll16rocsparse_order_21rocsparse_index_base_b
; %bb.0:
	s_clause 0x1
	s_load_b128 s[16:19], s[0:1], 0x80
	s_load_b64 s[6:7], s[0:1], 0x20
	s_mov_b32 s2, s15
	s_mov_b32 s8, -1
                                        ; implicit-def: $sgpr30
	s_waitcnt lgkmcnt(0)
	s_bitcmp1_b32 s18, 0
	s_cselect_b32 s3, -1, 0
	s_delay_alu instid0(SALU_CYCLE_1) | instskip(NEXT) | instid1(SALU_CYCLE_1)
	s_xor_b32 s3, s3, -1
	s_and_b32 vcc_lo, exec_lo, s3
	s_cbranch_vccnz .LBB67_4
; %bb.1:
	s_load_b64 s[4:5], s[0:1], 0x60
	s_and_not1_b32 vcc_lo, exec_lo, s8
	s_cbranch_vccz .LBB67_5
.LBB67_2:
	s_and_b32 vcc_lo, exec_lo, s3
	s_cbranch_vccz .LBB67_6
.LBB67_3:
	s_waitcnt lgkmcnt(0)
	s_load_b32 s31, s[4:5], 0x0
	s_cbranch_execz .LBB67_7
	s_branch .LBB67_8
.LBB67_4:
	s_load_b32 s30, s[6:7], 0x0
	s_load_b64 s[4:5], s[0:1], 0x60
	s_cbranch_execnz .LBB67_2
.LBB67_5:
	s_waitcnt lgkmcnt(0)
	s_mov_b32 s30, s6
	s_and_b32 vcc_lo, exec_lo, s3
	s_cbranch_vccnz .LBB67_3
.LBB67_6:
                                        ; implicit-def: $sgpr31
.LBB67_7:
	s_waitcnt lgkmcnt(0)
	s_mov_b32 s31, s4
.LBB67_8:
	s_waitcnt lgkmcnt(0)
	s_cmp_eq_u32 s30, 0
	s_cselect_b32 s3, -1, 0
	s_cmp_eq_u32 s31, 1
	s_cselect_b32 s4, -1, 0
	s_delay_alu instid0(SALU_CYCLE_1) | instskip(NEXT) | instid1(SALU_CYCLE_1)
	s_and_b32 s3, s3, s4
	s_and_b32 vcc_lo, exec_lo, s3
	s_cbranch_vccnz .LBB67_62
; %bb.9:
	s_clause 0x1
	s_load_b128 s[8:11], s[0:1], 0x0
	s_load_b64 s[4:5], s[0:1], 0x28
	s_mov_b64 s[12:13], 0
	s_mov_b64 s[18:19], 0
	s_waitcnt lgkmcnt(0)
	s_cmp_lt_i32 s14, s10
	s_cselect_b32 s33, -1, 0
	s_cmp_ge_i32 s14, s10
	s_cbranch_scc1 .LBB67_11
; %bb.10:
	s_ashr_i32 s15, s14, 31
	s_delay_alu instid0(SALU_CYCLE_1) | instskip(NEXT) | instid1(SALU_CYCLE_1)
	s_lshl_b64 s[6:7], s[14:15], 3
	s_add_u32 s6, s4, s6
	s_addc_u32 s7, s5, s7
	s_load_b64 s[6:7], s[6:7], 0x0
	s_waitcnt lgkmcnt(0)
	s_sub_u32 s18, s6, s17
	s_subb_u32 s19, s7, 0
.LBB67_11:
	s_and_not1_b32 vcc_lo, exec_lo, s33
	s_cbranch_vccnz .LBB67_13
; %bb.12:
	s_ashr_i32 s15, s14, 31
	s_delay_alu instid0(SALU_CYCLE_1) | instskip(NEXT) | instid1(SALU_CYCLE_1)
	s_lshl_b64 s[6:7], s[14:15], 3
	s_add_u32 s4, s4, s6
	s_addc_u32 s5, s5, s7
	s_load_b64 s[4:5], s[4:5], 0x8
	s_waitcnt lgkmcnt(0)
	s_sub_u32 s12, s4, s17
	s_subb_u32 s13, s5, 0
.LBB67_13:
	s_clause 0x1
	s_load_b32 s10, s[0:1], 0x40
	s_load_b64 s[6:7], s[0:1], 0x68
	v_bfe_u32 v11, v0, 10, 10
	s_mov_b32 s28, 0
	s_delay_alu instid0(SALU_CYCLE_1) | instskip(SKIP_1) | instid1(VALU_DEP_2)
	s_mov_b32 s29, s28
	v_dual_mov_b32 v3, s28 :: v_dual_and_b32 v2, 0x3ff, v0
	v_lshl_add_u32 v1, s2, 6, v11
	v_cmp_ge_i64_e64 s2, s[18:19], s[12:13]
	v_mov_b32_e32 v4, s29
	s_delay_alu instid0(VALU_DEP_3) | instskip(SKIP_1) | instid1(VALU_DEP_4)
	v_add_nc_u32_e32 v0, 32, v1
	v_cmp_gt_i32_e64 s3, s11, v1
	s_and_b32 vcc_lo, exec_lo, s2
	s_delay_alu instid0(VALU_DEP_2)
	v_cmp_gt_i32_e64 s4, s11, v0
	s_waitcnt lgkmcnt(0)
	v_cmp_gt_i32_e64 s2, s10, v2
	s_cbranch_vccnz .LBB67_42
; %bb.14:
	s_clause 0x1
	s_load_b128 s[20:23], s[0:1], 0x30
	s_load_b128 s[24:27], s[0:1], 0x48
	v_mul_lo_u32 v4, v11, s10
	v_cmp_gt_i32_e32 vcc_lo, s10, v11
	v_mul_lo_u32 v5, v2, s10
	v_ashrrev_i32_e32 v13, 31, v1
	v_lshl_add_u32 v9, v2, 5, v11
	v_ashrrev_i32_e32 v14, 31, v0
	s_and_b32 s15, s2, vcc_lo
	s_bitcmp1_b32 s8, 0
	s_delay_alu instid0(VALU_DEP_2) | instskip(SKIP_4) | instid1(VALU_DEP_1)
	v_lshl_add_u32 v15, v9, 2, 0x2000
	s_cselect_b32 s5, -1, 0
	s_cmp_eq_u32 s9, 0
	s_waitcnt lgkmcnt(0)
	v_add_co_u32 v4, s8, s22, v4
	v_add_co_ci_u32_e64 v6, null, s23, 0, s8
	v_add_co_u32 v10, s8, s22, v5
	s_delay_alu instid0(VALU_DEP_3) | instskip(SKIP_1) | instid1(VALU_DEP_4)
	v_add_co_u32 v4, vcc_lo, v4, v2
	v_mul_lo_u32 v17, v1, s27
	v_add_co_ci_u32_e32 v18, vcc_lo, 0, v6, vcc_lo
	v_mul_lo_u32 v19, v13, s26
	v_mad_u64_u32 v[5:6], null, v1, s26, 0
	v_add_co_ci_u32_e64 v12, null, s23, 0, s8
	v_add_co_u32 v9, vcc_lo, v10, v11
	v_mul_lo_u32 v20, v0, s27
	v_mul_lo_u32 v21, v14, s26
	v_mad_u64_u32 v[7:8], null, v0, s26, 0
	v_add_co_ci_u32_e32 v10, vcc_lo, 0, v12, vcc_lo
	s_cselect_b32 vcc_lo, -1, 0
	v_lshlrev_b32_e32 v3, 5, v11
	v_add3_u32 v6, v6, v17, v19
	s_delay_alu instid0(VALU_DEP_3)
	v_dual_cndmask_b32 v10, v18, v10 :: v_dual_lshlrev_b32 v17, 7, v11
	s_add_i32 s9, s10, -1
	s_and_b32 s8, s10, 7
	s_cmp_gt_u32 s9, 6
	v_add_lshl_u32 v16, v3, v2, 2
	v_cndmask_b32_e32 v9, v4, v9, vcc_lo
	v_dual_mov_b32 v3, s28 :: v_dual_mov_b32 v4, s29
	v_add3_u32 v8, v8, v20, v21
	s_cselect_b32 s9, -1, 0
	s_and_b32 s22, s10, -8
	v_lshl_add_u32 v18, v2, 7, 0x2000
	v_add_nc_u32_e32 v19, 0x1000, v17
	s_cmp_lg_u32 s8, 0
	s_mul_i32 s28, s10, s10
	s_cselect_b32 s23, -1, 0
	s_branch .LBB67_17
.LBB67_15:                              ;   in Loop: Header=BB67_17 Depth=1
	s_or_b32 exec_lo, exec_lo, s34
.LBB67_16:                              ;   in Loop: Header=BB67_17 Depth=1
	s_delay_alu instid0(SALU_CYCLE_1) | instskip(SKIP_2) | instid1(SALU_CYCLE_1)
	s_or_b32 exec_lo, exec_lo, s29
	s_add_u32 s18, s18, 1
	s_addc_u32 s19, s19, 0
	v_cmp_ge_i64_e64 s29, s[18:19], s[12:13]
	s_barrier
	buffer_gl0_inv
	s_and_b32 vcc_lo, exec_lo, s29
	s_cbranch_vccnz .LBB67_42
.LBB67_17:                              ; =>This Loop Header: Depth=1
                                        ;     Child Loop BB67_28 Depth 2
                                        ;     Child Loop BB67_32 Depth 2
	;; [unrolled: 1-line block ×4, first 2 shown]
	s_and_saveexec_b32 s29, s2
	s_cbranch_execz .LBB67_22
; %bb.18:                               ;   in Loop: Header=BB67_17 Depth=1
	s_lshl_b64 s[34:35], s[18:19], 2
	s_delay_alu instid0(SALU_CYCLE_1) | instskip(SKIP_4) | instid1(SALU_CYCLE_1)
	s_add_u32 s34, s20, s34
	s_addc_u32 s35, s21, s35
	s_load_b32 s34, s[34:35], 0x0
	s_waitcnt lgkmcnt(0)
	s_sub_i32 s34, s34, s17
	v_mad_u64_u32 v[20:21], null, s34, s10, v[2:3]
	s_delay_alu instid0(VALU_DEP_1) | instskip(SKIP_3) | instid1(VALU_DEP_4)
	v_ashrrev_i32_e32 v21, 31, v20
	v_mul_lo_u32 v22, v20, s27
	v_mad_u64_u32 v[11:12], null, v20, s26, s[24:25]
	v_add_co_u32 v20, vcc_lo, s24, v20
	v_mul_lo_u32 v23, v21, s26
	v_add_co_ci_u32_e32 v21, vcc_lo, s25, v21, vcc_lo
	s_delay_alu instid0(VALU_DEP_2)
	v_add3_u32 v12, v23, v12, v22
	s_and_saveexec_b32 s34, s3
	s_cbranch_execz .LBB67_20
; %bb.19:                               ;   in Loop: Header=BB67_17 Depth=1
	v_add_co_u32 v22, vcc_lo, v20, v5
	v_add_co_ci_u32_e32 v23, vcc_lo, v21, v6, vcc_lo
	v_add_co_u32 v24, vcc_lo, v11, v1
	v_add_co_ci_u32_e32 v25, vcc_lo, v12, v13, vcc_lo
	s_delay_alu instid0(VALU_DEP_2) | instskip(NEXT) | instid1(VALU_DEP_2)
	v_cndmask_b32_e64 v22, v24, v22, s5
	v_cndmask_b32_e64 v23, v25, v23, s5
	global_load_i8 v22, v[22:23], off
	s_waitcnt vmcnt(0)
	ds_store_b32 v16, v22
.LBB67_20:                              ;   in Loop: Header=BB67_17 Depth=1
	s_or_b32 exec_lo, exec_lo, s34
	s_delay_alu instid0(SALU_CYCLE_1)
	s_and_b32 exec_lo, exec_lo, s4
	s_cbranch_execz .LBB67_22
; %bb.21:                               ;   in Loop: Header=BB67_17 Depth=1
	v_add_co_u32 v20, vcc_lo, v20, v7
	v_add_co_ci_u32_e32 v21, vcc_lo, v21, v8, vcc_lo
	v_add_co_u32 v11, vcc_lo, v11, v0
	v_add_co_ci_u32_e32 v12, vcc_lo, v12, v14, vcc_lo
	s_delay_alu instid0(VALU_DEP_2) | instskip(NEXT) | instid1(VALU_DEP_2)
	v_cndmask_b32_e64 v11, v11, v20, s5
	v_cndmask_b32_e64 v12, v12, v21, s5
	global_load_i8 v11, v[11:12], off
	s_waitcnt vmcnt(0)
	ds_store_b32 v16, v11 offset:4096
.LBB67_22:                              ;   in Loop: Header=BB67_17 Depth=1
	s_or_b32 exec_lo, exec_lo, s29
	s_and_saveexec_b32 s29, s15
	s_cbranch_execz .LBB67_24
; %bb.23:                               ;   in Loop: Header=BB67_17 Depth=1
	v_mad_u64_u32 v[11:12], null, s18, s28, v[9:10]
	s_delay_alu instid0(VALU_DEP_1) | instskip(NEXT) | instid1(VALU_DEP_1)
	v_mad_u64_u32 v[20:21], null, s19, s28, v[12:13]
	v_mov_b32_e32 v12, v20
	global_load_i8 v11, v[11:12], off
	s_waitcnt vmcnt(0)
	ds_store_b32 v15, v11
.LBB67_24:                              ;   in Loop: Header=BB67_17 Depth=1
	s_or_b32 exec_lo, exec_lo, s29
	s_waitcnt lgkmcnt(0)
	s_barrier
	buffer_gl0_inv
	s_and_saveexec_b32 s29, s2
	s_cbranch_execz .LBB67_16
; %bb.25:                               ;   in Loop: Header=BB67_17 Depth=1
	s_and_saveexec_b32 s34, s3
	s_cbranch_execz .LBB67_34
; %bb.26:                               ;   in Loop: Header=BB67_17 Depth=1
	s_and_not1_b32 vcc_lo, exec_lo, s9
	s_cbranch_vccnz .LBB67_30
; %bb.27:                               ;   in Loop: Header=BB67_17 Depth=1
	v_dual_mov_b32 v11, v18 :: v_dual_mov_b32 v12, v17
	s_mov_b32 s35, 0
	s_set_inst_prefetch_distance 0x1
	.p2align	6
.LBB67_28:                              ;   Parent Loop BB67_17 Depth=1
                                        ; =>  This Inner Loop Header: Depth=2
	ds_load_b128 v[20:23], v12
	ds_load_b128 v[24:27], v11
	ds_load_b128 v[28:31], v11 offset:16
	ds_load_b128 v[32:35], v12 offset:16
	v_add_nc_u32_e32 v12, 32, v12
	v_add_nc_u32_e32 v11, 32, v11
	s_add_i32 s35, s35, 8
	s_delay_alu instid0(SALU_CYCLE_1)
	s_cmp_lg_u32 s22, s35
	s_waitcnt lgkmcnt(2)
	v_mul_lo_u32 v20, v20, v24
	v_mul_lo_u32 v21, v21, v25
	;; [unrolled: 1-line block ×4, first 2 shown]
	s_delay_alu instid0(VALU_DEP_3) | instskip(SKIP_3) | instid1(VALU_DEP_3)
	v_add3_u32 v3, v20, v3, v21
	s_waitcnt lgkmcnt(0)
	v_mul_lo_u32 v20, v32, v28
	v_mul_lo_u32 v21, v33, v29
	v_add3_u32 v3, v22, v3, v23
	v_mul_lo_u32 v22, v34, v30
	v_mul_lo_u32 v23, v35, v31
	s_delay_alu instid0(VALU_DEP_3) | instskip(NEXT) | instid1(VALU_DEP_1)
	v_add3_u32 v3, v20, v3, v21
	v_add3_u32 v3, v22, v3, v23
	s_cbranch_scc1 .LBB67_28
; %bb.29:                               ;   in Loop: Header=BB67_17 Depth=1
	s_set_inst_prefetch_distance 0x2
	s_mov_b32 s35, s22
	s_and_not1_b32 vcc_lo, exec_lo, s23
	s_cbranch_vccz .LBB67_31
	s_branch .LBB67_34
.LBB67_30:                              ;   in Loop: Header=BB67_17 Depth=1
	s_mov_b32 s35, 0
	s_and_not1_b32 vcc_lo, exec_lo, s23
	s_cbranch_vccnz .LBB67_34
.LBB67_31:                              ;   in Loop: Header=BB67_17 Depth=1
	s_lshl_b32 s35, s35, 2
	s_delay_alu instid0(SALU_CYCLE_1)
	v_add_nc_u32_e32 v20, s35, v17
	v_add_nc_u32_e32 v21, s35, v18
	s_mov_b32 s35, s8
.LBB67_32:                              ;   Parent Loop BB67_17 Depth=1
                                        ; =>  This Inner Loop Header: Depth=2
	ds_load_b32 v22, v21
	ds_load_b32 v23, v20
	s_add_i32 s35, s35, -1
	v_add_nc_u32_e32 v21, 4, v21
	s_cmp_lg_u32 s35, 0
	s_waitcnt lgkmcnt(0)
	v_mad_u64_u32 v[11:12], null, v23, v22, v[3:4]
	v_mov_b32_e32 v12, v4
	s_delay_alu instid0(VALU_DEP_2) | instskip(NEXT) | instid1(VALU_DEP_2)
	v_dual_mov_b32 v3, v11 :: v_dual_add_nc_u32 v20, 4, v20
	v_mov_b32_e32 v4, v12
	s_cbranch_scc1 .LBB67_32
; %bb.33:                               ;   in Loop: Header=BB67_17 Depth=1
	v_dual_mov_b32 v3, v11 :: v_dual_mov_b32 v4, v12
.LBB67_34:                              ;   in Loop: Header=BB67_17 Depth=1
	s_or_b32 exec_lo, exec_lo, s34
	s_and_saveexec_b32 s34, s4
	s_cbranch_execz .LBB67_15
; %bb.35:                               ;   in Loop: Header=BB67_17 Depth=1
	s_and_not1_b32 vcc_lo, exec_lo, s9
	s_cbranch_vccnz .LBB67_39
; %bb.36:                               ;   in Loop: Header=BB67_17 Depth=1
	v_dual_mov_b32 v11, v18 :: v_dual_mov_b32 v12, v19
	s_mov_b32 s35, 0
	s_set_inst_prefetch_distance 0x1
	.p2align	6
.LBB67_37:                              ;   Parent Loop BB67_17 Depth=1
                                        ; =>  This Inner Loop Header: Depth=2
	ds_load_b128 v[20:23], v12
	ds_load_b128 v[24:27], v11
	ds_load_b128 v[28:31], v11 offset:16
	ds_load_b128 v[32:35], v12 offset:16
	v_add_nc_u32_e32 v12, 32, v12
	v_add_nc_u32_e32 v11, 32, v11
	s_add_i32 s35, s35, 8
	s_delay_alu instid0(SALU_CYCLE_1)
	s_cmp_lg_u32 s22, s35
	s_waitcnt lgkmcnt(2)
	v_mul_lo_u32 v20, v20, v24
	v_mul_lo_u32 v21, v21, v25
	;; [unrolled: 1-line block ×4, first 2 shown]
	s_delay_alu instid0(VALU_DEP_3) | instskip(SKIP_3) | instid1(VALU_DEP_3)
	v_add3_u32 v4, v20, v4, v21
	s_waitcnt lgkmcnt(0)
	v_mul_lo_u32 v20, v32, v28
	v_mul_lo_u32 v21, v33, v29
	v_add3_u32 v4, v22, v4, v23
	v_mul_lo_u32 v22, v34, v30
	v_mul_lo_u32 v23, v35, v31
	s_delay_alu instid0(VALU_DEP_3) | instskip(NEXT) | instid1(VALU_DEP_1)
	v_add3_u32 v4, v20, v4, v21
	v_add3_u32 v4, v22, v4, v23
	s_cbranch_scc1 .LBB67_37
; %bb.38:                               ;   in Loop: Header=BB67_17 Depth=1
	s_set_inst_prefetch_distance 0x2
	s_mov_b32 s35, s22
	s_and_not1_b32 vcc_lo, exec_lo, s23
	s_cbranch_vccz .LBB67_40
	s_branch .LBB67_15
.LBB67_39:                              ;   in Loop: Header=BB67_17 Depth=1
	s_mov_b32 s35, 0
	s_and_not1_b32 vcc_lo, exec_lo, s23
	s_cbranch_vccnz .LBB67_15
.LBB67_40:                              ;   in Loop: Header=BB67_17 Depth=1
	s_lshl_b32 s35, s35, 2
	s_delay_alu instid0(SALU_CYCLE_1)
	v_add_nc_u32_e32 v11, s35, v19
	v_add_nc_u32_e32 v12, s35, v18
	s_mov_b32 s35, s8
.LBB67_41:                              ;   Parent Loop BB67_17 Depth=1
                                        ; =>  This Inner Loop Header: Depth=2
	ds_load_b32 v22, v12
	ds_load_b32 v23, v11
	v_add_nc_u32_e32 v12, 4, v12
	s_add_i32 s35, s35, -1
	s_delay_alu instid0(SALU_CYCLE_1) | instskip(SKIP_2) | instid1(VALU_DEP_1)
	s_cmp_lg_u32 s35, 0
	s_waitcnt lgkmcnt(0)
	v_mad_u64_u32 v[20:21], null, v23, v22, v[4:5]
	v_dual_mov_b32 v4, v20 :: v_dual_add_nc_u32 v11, 4, v11
	s_cbranch_scc1 .LBB67_41
	s_branch .LBB67_15
.LBB67_42:
	s_delay_alu instid0(VALU_DEP_1) | instskip(NEXT) | instid1(SALU_CYCLE_1)
	s_and_b32 s2, s33, s2
	s_and_saveexec_b32 s3, s2
	s_cbranch_execz .LBB67_62
; %bb.43:
	s_load_b64 s[2:3], s[0:1], 0x70
	v_mad_u64_u32 v[5:6], null, s14, s10, v[2:3]
	s_cmp_lg_u32 s31, 0
	s_mov_b32 s0, exec_lo
	s_cselect_b32 s4, -1, 0
	s_cmp_lg_u32 s16, 1
	s_cselect_b32 s1, -1, 0
	s_delay_alu instid0(VALU_DEP_1) | instskip(SKIP_1) | instid1(VALU_DEP_1)
	v_ashrrev_i32_e32 v6, 31, v5
	s_waitcnt lgkmcnt(0)
	v_mul_lo_u32 v2, v6, s2
	v_mul_lo_u32 v9, v5, s3
	v_mad_u64_u32 v[7:8], null, v5, s2, 0
	v_lshlrev_b64 v[5:6], 2, v[5:6]
	s_delay_alu instid0(VALU_DEP_1) | instskip(NEXT) | instid1(VALU_DEP_3)
	v_add_co_u32 v5, vcc_lo, s6, v5
	v_add3_u32 v8, v8, v9, v2
	s_delay_alu instid0(VALU_DEP_3) | instskip(NEXT) | instid1(VALU_DEP_2)
	v_add_co_ci_u32_e32 v6, vcc_lo, s7, v6, vcc_lo
	v_lshlrev_b64 v[7:8], 2, v[7:8]
	s_delay_alu instid0(VALU_DEP_1) | instskip(NEXT) | instid1(VALU_DEP_2)
	v_add_co_u32 v7, vcc_lo, s6, v7
	v_add_co_ci_u32_e32 v8, vcc_lo, s7, v8, vcc_lo
	v_cmpx_gt_i32_e64 s11, v1
	s_cbranch_execz .LBB67_55
; %bb.44:
	v_ashrrev_i32_e32 v2, 31, v1
	s_and_b32 vcc_lo, exec_lo, s4
	s_cbranch_vccz .LBB67_50
; %bb.45:
	s_and_b32 vcc_lo, exec_lo, s1
	s_mov_b32 s5, -1
	s_cbranch_vccz .LBB67_47
; %bb.46:
	v_lshlrev_b64 v[9:10], 2, v[1:2]
	v_mul_lo_u32 v11, v3, s30
	s_mov_b32 s5, 0
	s_delay_alu instid0(VALU_DEP_2) | instskip(NEXT) | instid1(VALU_DEP_3)
	v_add_co_u32 v9, vcc_lo, v7, v9
	v_add_co_ci_u32_e32 v10, vcc_lo, v8, v10, vcc_lo
	global_load_b32 v14, v[9:10], off
	s_waitcnt vmcnt(0)
	v_mad_u64_u32 v[12:13], null, v14, s31, v[11:12]
	global_store_b32 v[9:10], v12, off
.LBB67_47:
	s_and_not1_b32 vcc_lo, exec_lo, s5
	s_cbranch_vccnz .LBB67_49
; %bb.48:
	v_mul_lo_u32 v11, v2, s2
	v_mul_lo_u32 v12, v1, s3
	v_mad_u64_u32 v[9:10], null, v1, s2, 0
	s_delay_alu instid0(VALU_DEP_1) | instskip(SKIP_1) | instid1(VALU_DEP_2)
	v_add3_u32 v10, v10, v12, v11
	v_mul_lo_u32 v11, v3, s30
	v_lshlrev_b64 v[9:10], 2, v[9:10]
	s_delay_alu instid0(VALU_DEP_1) | instskip(NEXT) | instid1(VALU_DEP_2)
	v_add_co_u32 v9, vcc_lo, v5, v9
	v_add_co_ci_u32_e32 v10, vcc_lo, v6, v10, vcc_lo
	global_load_b32 v14, v[9:10], off
	s_waitcnt vmcnt(0)
	v_mad_u64_u32 v[12:13], null, v14, s31, v[11:12]
	global_store_b32 v[9:10], v12, off
.LBB67_49:
	s_cbranch_execz .LBB67_51
	s_branch .LBB67_55
.LBB67_50:
.LBB67_51:
	v_mul_lo_u32 v3, v3, s30
	s_and_b32 vcc_lo, exec_lo, s1
	s_mov_b32 s5, -1
	s_cbranch_vccz .LBB67_53
; %bb.52:
	v_lshlrev_b64 v[9:10], 2, v[1:2]
	s_mov_b32 s5, 0
	s_delay_alu instid0(VALU_DEP_1) | instskip(NEXT) | instid1(VALU_DEP_2)
	v_add_co_u32 v9, vcc_lo, v7, v9
	v_add_co_ci_u32_e32 v10, vcc_lo, v8, v10, vcc_lo
	global_store_b32 v[9:10], v3, off
.LBB67_53:
	s_and_not1_b32 vcc_lo, exec_lo, s5
	s_cbranch_vccnz .LBB67_55
; %bb.54:
	v_mul_lo_u32 v2, v2, s2
	v_mul_lo_u32 v11, v1, s3
	v_mad_u64_u32 v[9:10], null, v1, s2, 0
	s_delay_alu instid0(VALU_DEP_1) | instskip(NEXT) | instid1(VALU_DEP_1)
	v_add3_u32 v10, v10, v11, v2
	v_lshlrev_b64 v[1:2], 2, v[9:10]
	s_delay_alu instid0(VALU_DEP_1) | instskip(NEXT) | instid1(VALU_DEP_2)
	v_add_co_u32 v1, vcc_lo, v5, v1
	v_add_co_ci_u32_e32 v2, vcc_lo, v6, v2, vcc_lo
	global_store_b32 v[1:2], v3, off
.LBB67_55:
	s_or_b32 exec_lo, exec_lo, s0
	v_cmp_gt_i32_e32 vcc_lo, s11, v0
	s_and_b32 exec_lo, exec_lo, vcc_lo
	s_cbranch_execz .LBB67_62
; %bb.56:
	v_cndmask_b32_e64 v2, 0, 1, s1
	v_ashrrev_i32_e32 v1, 31, v0
	s_and_not1_b32 vcc_lo, exec_lo, s4
	s_delay_alu instid0(VALU_DEP_2)
	v_cmp_ne_u32_e64 s0, 1, v2
	s_cbranch_vccnz .LBB67_63
; %bb.57:
	s_delay_alu instid0(VALU_DEP_1)
	s_and_b32 vcc_lo, exec_lo, s0
	s_mov_b32 s0, -1
	s_cbranch_vccnz .LBB67_59
; %bb.58:
	v_lshlrev_b64 v[2:3], 2, v[0:1]
	v_mul_lo_u32 v9, v4, s30
	s_mov_b32 s0, 0
	s_delay_alu instid0(VALU_DEP_2) | instskip(NEXT) | instid1(VALU_DEP_3)
	v_add_co_u32 v2, vcc_lo, v7, v2
	v_add_co_ci_u32_e32 v3, vcc_lo, v8, v3, vcc_lo
	global_load_b32 v12, v[2:3], off
	s_waitcnt vmcnt(0)
	v_mad_u64_u32 v[10:11], null, v12, s31, v[9:10]
	global_store_b32 v[2:3], v10, off
.LBB67_59:
	s_and_not1_b32 vcc_lo, exec_lo, s0
	s_cbranch_vccnz .LBB67_61
; %bb.60:
	v_mul_lo_u32 v9, v1, s2
	v_mul_lo_u32 v10, v0, s3
	v_mad_u64_u32 v[2:3], null, v0, s2, 0
	s_delay_alu instid0(VALU_DEP_1) | instskip(SKIP_1) | instid1(VALU_DEP_2)
	v_add3_u32 v3, v3, v10, v9
	v_mul_lo_u32 v9, v4, s30
	v_lshlrev_b64 v[2:3], 2, v[2:3]
	s_delay_alu instid0(VALU_DEP_1) | instskip(NEXT) | instid1(VALU_DEP_2)
	v_add_co_u32 v2, vcc_lo, v5, v2
	v_add_co_ci_u32_e32 v3, vcc_lo, v6, v3, vcc_lo
	global_load_b32 v12, v[2:3], off
	s_waitcnt vmcnt(0)
	v_mad_u64_u32 v[10:11], null, v12, s31, v[9:10]
	global_store_b32 v[2:3], v10, off
.LBB67_61:
	s_cbranch_execz .LBB67_64
.LBB67_62:
	s_nop 0
	s_sendmsg sendmsg(MSG_DEALLOC_VGPRS)
	s_endpgm
.LBB67_63:
.LBB67_64:
	v_mul_lo_u32 v2, v4, s30
	s_and_not1_b32 vcc_lo, exec_lo, s1
	s_mov_b32 s0, -1
	s_cbranch_vccnz .LBB67_66
; %bb.65:
	v_lshlrev_b64 v[3:4], 2, v[0:1]
	s_mov_b32 s0, 0
	s_delay_alu instid0(VALU_DEP_1) | instskip(NEXT) | instid1(VALU_DEP_2)
	v_add_co_u32 v3, vcc_lo, v7, v3
	v_add_co_ci_u32_e32 v4, vcc_lo, v8, v4, vcc_lo
	global_store_b32 v[3:4], v2, off
.LBB67_66:
	s_and_not1_b32 vcc_lo, exec_lo, s0
	s_cbranch_vccnz .LBB67_62
; %bb.67:
	v_mul_lo_u32 v1, v1, s2
	v_mul_lo_u32 v7, v0, s3
	v_mad_u64_u32 v[3:4], null, v0, s2, 0
	s_delay_alu instid0(VALU_DEP_1) | instskip(NEXT) | instid1(VALU_DEP_1)
	v_add3_u32 v4, v4, v7, v1
	v_lshlrev_b64 v[0:1], 2, v[3:4]
	s_delay_alu instid0(VALU_DEP_1) | instskip(NEXT) | instid1(VALU_DEP_2)
	v_add_co_u32 v0, vcc_lo, v5, v0
	v_add_co_ci_u32_e32 v1, vcc_lo, v6, v1, vcc_lo
	global_store_b32 v[0:1], v2, off
	s_nop 0
	s_sendmsg sendmsg(MSG_DEALLOC_VGPRS)
	s_endpgm
	.section	.rodata,"a",@progbits
	.p2align	6, 0x0
	.amdhsa_kernel _ZN9rocsparseL31bsrmm_large_blockdim_kernel_extILj32ELj32ELj2EliaaiiEEvb20rocsparse_direction_T3_S2_llNS_24const_host_device_scalarIT7_EEPKT2_PKS2_PKT4_S2_PKT5_llS5_PT6_ll16rocsparse_order_21rocsparse_index_base_b
		.amdhsa_group_segment_fixed_size 12288
		.amdhsa_private_segment_fixed_size 0
		.amdhsa_kernarg_size 140
		.amdhsa_user_sgpr_count 14
		.amdhsa_user_sgpr_dispatch_ptr 0
		.amdhsa_user_sgpr_queue_ptr 0
		.amdhsa_user_sgpr_kernarg_segment_ptr 1
		.amdhsa_user_sgpr_dispatch_id 0
		.amdhsa_user_sgpr_private_segment_size 0
		.amdhsa_wavefront_size32 1
		.amdhsa_uses_dynamic_stack 0
		.amdhsa_enable_private_segment 0
		.amdhsa_system_sgpr_workgroup_id_x 1
		.amdhsa_system_sgpr_workgroup_id_y 1
		.amdhsa_system_sgpr_workgroup_id_z 0
		.amdhsa_system_sgpr_workgroup_info 0
		.amdhsa_system_vgpr_workitem_id 1
		.amdhsa_next_free_vgpr 36
		.amdhsa_next_free_sgpr 36
		.amdhsa_reserve_vcc 1
		.amdhsa_float_round_mode_32 0
		.amdhsa_float_round_mode_16_64 0
		.amdhsa_float_denorm_mode_32 3
		.amdhsa_float_denorm_mode_16_64 3
		.amdhsa_dx10_clamp 1
		.amdhsa_ieee_mode 1
		.amdhsa_fp16_overflow 0
		.amdhsa_workgroup_processor_mode 1
		.amdhsa_memory_ordered 1
		.amdhsa_forward_progress 0
		.amdhsa_shared_vgpr_count 0
		.amdhsa_exception_fp_ieee_invalid_op 0
		.amdhsa_exception_fp_denorm_src 0
		.amdhsa_exception_fp_ieee_div_zero 0
		.amdhsa_exception_fp_ieee_overflow 0
		.amdhsa_exception_fp_ieee_underflow 0
		.amdhsa_exception_fp_ieee_inexact 0
		.amdhsa_exception_int_div_zero 0
	.end_amdhsa_kernel
	.section	.text._ZN9rocsparseL31bsrmm_large_blockdim_kernel_extILj32ELj32ELj2EliaaiiEEvb20rocsparse_direction_T3_S2_llNS_24const_host_device_scalarIT7_EEPKT2_PKS2_PKT4_S2_PKT5_llS5_PT6_ll16rocsparse_order_21rocsparse_index_base_b,"axG",@progbits,_ZN9rocsparseL31bsrmm_large_blockdim_kernel_extILj32ELj32ELj2EliaaiiEEvb20rocsparse_direction_T3_S2_llNS_24const_host_device_scalarIT7_EEPKT2_PKS2_PKT4_S2_PKT5_llS5_PT6_ll16rocsparse_order_21rocsparse_index_base_b,comdat
.Lfunc_end67:
	.size	_ZN9rocsparseL31bsrmm_large_blockdim_kernel_extILj32ELj32ELj2EliaaiiEEvb20rocsparse_direction_T3_S2_llNS_24const_host_device_scalarIT7_EEPKT2_PKS2_PKT4_S2_PKT5_llS5_PT6_ll16rocsparse_order_21rocsparse_index_base_b, .Lfunc_end67-_ZN9rocsparseL31bsrmm_large_blockdim_kernel_extILj32ELj32ELj2EliaaiiEEvb20rocsparse_direction_T3_S2_llNS_24const_host_device_scalarIT7_EEPKT2_PKS2_PKT4_S2_PKT5_llS5_PT6_ll16rocsparse_order_21rocsparse_index_base_b
                                        ; -- End function
	.section	.AMDGPU.csdata,"",@progbits
; Kernel info:
; codeLenInByte = 2660
; NumSgprs: 38
; NumVgprs: 36
; ScratchSize: 0
; MemoryBound: 0
; FloatMode: 240
; IeeeMode: 1
; LDSByteSize: 12288 bytes/workgroup (compile time only)
; SGPRBlocks: 4
; VGPRBlocks: 4
; NumSGPRsForWavesPerEU: 38
; NumVGPRsForWavesPerEU: 36
; Occupancy: 16
; WaveLimiterHint : 1
; COMPUTE_PGM_RSRC2:SCRATCH_EN: 0
; COMPUTE_PGM_RSRC2:USER_SGPR: 14
; COMPUTE_PGM_RSRC2:TRAP_HANDLER: 0
; COMPUTE_PGM_RSRC2:TGID_X_EN: 1
; COMPUTE_PGM_RSRC2:TGID_Y_EN: 1
; COMPUTE_PGM_RSRC2:TGID_Z_EN: 0
; COMPUTE_PGM_RSRC2:TIDIG_COMP_CNT: 1
	.section	.text._ZN9rocsparseL31bsrmm_large_blockdim_kernel_extILj8ELj8ELj2EllaaiiEEvb20rocsparse_direction_T3_S2_llNS_24const_host_device_scalarIT7_EEPKT2_PKS2_PKT4_S2_PKT5_llS5_PT6_ll16rocsparse_order_21rocsparse_index_base_b,"axG",@progbits,_ZN9rocsparseL31bsrmm_large_blockdim_kernel_extILj8ELj8ELj2EllaaiiEEvb20rocsparse_direction_T3_S2_llNS_24const_host_device_scalarIT7_EEPKT2_PKS2_PKT4_S2_PKT5_llS5_PT6_ll16rocsparse_order_21rocsparse_index_base_b,comdat
	.globl	_ZN9rocsparseL31bsrmm_large_blockdim_kernel_extILj8ELj8ELj2EllaaiiEEvb20rocsparse_direction_T3_S2_llNS_24const_host_device_scalarIT7_EEPKT2_PKS2_PKT4_S2_PKT5_llS5_PT6_ll16rocsparse_order_21rocsparse_index_base_b ; -- Begin function _ZN9rocsparseL31bsrmm_large_blockdim_kernel_extILj8ELj8ELj2EllaaiiEEvb20rocsparse_direction_T3_S2_llNS_24const_host_device_scalarIT7_EEPKT2_PKS2_PKT4_S2_PKT5_llS5_PT6_ll16rocsparse_order_21rocsparse_index_base_b
	.p2align	8
	.type	_ZN9rocsparseL31bsrmm_large_blockdim_kernel_extILj8ELj8ELj2EllaaiiEEvb20rocsparse_direction_T3_S2_llNS_24const_host_device_scalarIT7_EEPKT2_PKS2_PKT4_S2_PKT5_llS5_PT6_ll16rocsparse_order_21rocsparse_index_base_b,@function
_ZN9rocsparseL31bsrmm_large_blockdim_kernel_extILj8ELj8ELj2EllaaiiEEvb20rocsparse_direction_T3_S2_llNS_24const_host_device_scalarIT7_EEPKT2_PKS2_PKT4_S2_PKT5_llS5_PT6_ll16rocsparse_order_21rocsparse_index_base_b: ; @_ZN9rocsparseL31bsrmm_large_blockdim_kernel_extILj8ELj8ELj2EllaaiiEEvb20rocsparse_direction_T3_S2_llNS_24const_host_device_scalarIT7_EEPKT2_PKS2_PKT4_S2_PKT5_llS5_PT6_ll16rocsparse_order_21rocsparse_index_base_b
; %bb.0:
	s_clause 0x1
	s_load_b128 s[8:11], s[0:1], 0x88
	s_load_b64 s[6:7], s[0:1], 0x28
	s_mov_b32 s2, s15
                                        ; implicit-def: $sgpr33
	s_waitcnt lgkmcnt(0)
	s_bitcmp1_b32 s10, 0
	s_mov_b32 s10, -1
	s_cselect_b32 s3, -1, 0
	s_delay_alu instid0(SALU_CYCLE_1) | instskip(NEXT) | instid1(SALU_CYCLE_1)
	s_xor_b32 s3, s3, -1
	s_and_b32 vcc_lo, exec_lo, s3
	s_cbranch_vccnz .LBB68_4
; %bb.1:
	s_load_b64 s[4:5], s[0:1], 0x68
	s_and_not1_b32 vcc_lo, exec_lo, s10
	s_cbranch_vccz .LBB68_5
.LBB68_2:
	s_and_b32 vcc_lo, exec_lo, s3
	s_cbranch_vccz .LBB68_6
.LBB68_3:
	s_waitcnt lgkmcnt(0)
	s_load_b32 s34, s[4:5], 0x0
	s_cbranch_execz .LBB68_7
	s_branch .LBB68_8
.LBB68_4:
	s_load_b32 s33, s[6:7], 0x0
	s_load_b64 s[4:5], s[0:1], 0x68
	s_cbranch_execnz .LBB68_2
.LBB68_5:
	s_waitcnt lgkmcnt(0)
	s_mov_b32 s33, s6
	s_and_b32 vcc_lo, exec_lo, s3
	s_cbranch_vccnz .LBB68_3
.LBB68_6:
                                        ; implicit-def: $sgpr34
.LBB68_7:
	s_waitcnt lgkmcnt(0)
	s_mov_b32 s34, s4
.LBB68_8:
	s_waitcnt lgkmcnt(0)
	s_cmp_eq_u32 s33, 0
	s_cselect_b32 s3, -1, 0
	s_cmp_eq_u32 s34, 1
	s_cselect_b32 s4, -1, 0
	s_delay_alu instid0(SALU_CYCLE_1) | instskip(NEXT) | instid1(SALU_CYCLE_1)
	s_and_b32 s3, s3, s4
	s_and_b32 vcc_lo, exec_lo, s3
	s_cbranch_vccnz .LBB68_62
; %bb.9:
	s_clause 0x1
	s_load_b128 s[4:7], s[0:1], 0x8
	s_load_b64 s[10:11], s[0:1], 0x30
	s_ashr_i32 s15, s14, 31
	s_mov_b64 s[12:13], 0
	s_mov_b64 s[24:25], 0
	s_waitcnt lgkmcnt(0)
	v_cmp_ge_i64_e64 s3, s[14:15], s[4:5]
	v_cmp_lt_i64_e64 s35, s[14:15], s[4:5]
	s_delay_alu instid0(VALU_DEP_2)
	s_and_b32 vcc_lo, exec_lo, s3
	s_cbranch_vccnz .LBB68_11
; %bb.10:
	s_lshl_b64 s[4:5], s[14:15], 3
	s_delay_alu instid0(SALU_CYCLE_1)
	s_add_u32 s4, s10, s4
	s_addc_u32 s5, s11, s5
	s_load_b64 s[4:5], s[4:5], 0x0
	s_waitcnt lgkmcnt(0)
	s_sub_u32 s24, s4, s9
	s_subb_u32 s25, s5, 0
.LBB68_11:
	s_delay_alu instid0(VALU_DEP_1)
	s_and_not1_b32 vcc_lo, exec_lo, s35
	s_cbranch_vccnz .LBB68_13
; %bb.12:
	s_lshl_b64 s[4:5], s[14:15], 3
	s_delay_alu instid0(SALU_CYCLE_1)
	s_add_u32 s4, s10, s4
	s_addc_u32 s5, s11, s5
	s_load_b64 s[4:5], s[4:5], 0x8
	s_waitcnt lgkmcnt(0)
	s_sub_u32 s12, s4, s9
	s_subb_u32 s13, s5, 0
.LBB68_13:
	s_clause 0x1
	s_load_b64 s[26:27], s[0:1], 0x48
	s_load_b64 s[10:11], s[0:1], 0x70
	v_bfe_u32 v15, v0, 10, 10
	v_dual_mov_b32 v3, 0 :: v_dual_and_b32 v6, 0x3ff, v0
	s_mov_b32 s30, 0
	s_delay_alu instid0(VALU_DEP_2) | instskip(SKIP_1) | instid1(VALU_DEP_3)
	v_lshl_add_u32 v2, s2, 4, v15
	v_cmp_ge_i64_e64 s2, s[24:25], s[12:13]
	v_mov_b32_e32 v1, v3
	s_mov_b32 s31, s30
	v_dual_mov_b32 v7, v3 :: v_dual_mov_b32 v4, s30
	v_add_nc_u32_e32 v0, 8, v2
	s_delay_alu instid0(VALU_DEP_4) | instskip(SKIP_2) | instid1(VALU_DEP_3)
	s_and_b32 vcc_lo, exec_lo, s2
	v_cmp_gt_i64_e64 s3, s[6:7], v[2:3]
	v_mov_b32_e32 v5, s31
	v_cmp_gt_i64_e64 s4, s[6:7], v[0:1]
	s_waitcnt lgkmcnt(0)
	v_cmp_gt_i64_e64 s2, s[26:27], v[6:7]
	s_cbranch_vccnz .LBB68_42
; %bb.14:
	s_clause 0x2
	s_load_b64 s[28:29], s[0:1], 0x0
	s_load_b128 s[16:19], s[0:1], 0x38
	s_load_b128 s[20:23], s[0:1], 0x50
	v_dual_mov_b32 v16, v3 :: v_dual_lshlrev_b32 v23, 3, v15
	v_lshl_add_u32 v4, v6, 3, v15
	s_mul_i32 s5, s26, s27
	s_mul_hi_u32 s36, s26, s26
	s_delay_alu instid0(VALU_DEP_2)
	v_cmp_gt_i64_e32 vcc_lo, s[26:27], v[15:16]
	s_add_i32 s36, s36, s5
	v_lshl_add_u32 v19, v4, 2, 0x200
	s_add_i32 s36, s36, s5
	s_mul_i32 s15, s26, s26
	s_and_b32 s37, s2, vcc_lo
	s_waitcnt lgkmcnt(0)
	s_bitcmp1_b32 s28, 0
	v_mad_u64_u32 v[16:17], null, v6, s26, s[18:19]
	v_mad_u64_u32 v[4:5], null, v15, s26, s[18:19]
	v_mad_u64_u32 v[12:13], null, v0, s22, 0
	v_mad_u64_u32 v[8:9], null, v2, s22, 0
	s_delay_alu instid0(VALU_DEP_4) | instskip(SKIP_3) | instid1(VALU_DEP_4)
	v_mov_b32_e32 v14, v17
	v_add_co_u32 v10, s5, s20, v6
	v_mad_u64_u32 v[17:18], null, v15, s27, v[5:6]
	v_mov_b32_e32 v5, v13
	v_mad_u64_u32 v[20:21], null, v6, s27, v[14:15]
	s_delay_alu instid0(VALU_DEP_4) | instskip(NEXT) | instid1(VALU_DEP_3)
	v_mad_u64_u32 v[13:14], null, v2, s23, v[9:10]
	v_mad_u64_u32 v[21:22], null, v0, s23, v[5:6]
	v_dual_mov_b32 v5, v17 :: v_dual_lshlrev_b32 v22, 5, v15
	s_delay_alu instid0(VALU_DEP_4) | instskip(SKIP_1) | instid1(VALU_DEP_3)
	v_mov_b32_e32 v9, v20
	v_add_co_u32 v4, vcc_lo, v4, v6
	v_add_nc_u32_e32 v24, 0x100, v22
	v_cmp_gt_i64_e64 s18, s[26:27], 0
	v_add_co_ci_u32_e32 v5, vcc_lo, 0, v5, vcc_lo
	v_add_co_u32 v16, vcc_lo, v16, v15
	v_add_co_ci_u32_e64 v11, null, s21, 0, s5
	s_cselect_b32 s5, -1, 0
	s_cmp_eq_u32 s29, 0
	v_add_co_ci_u32_e32 v14, vcc_lo, 0, v9, vcc_lo
	s_cselect_b32 vcc_lo, -1, 0
	s_and_b32 s38, s3, s18
	s_and_b32 s39, s4, s18
	s_add_u32 s40, s26, -1
	s_addc_u32 s41, s27, -1
	v_dual_mov_b32 v20, v13 :: v_dual_cndmask_b32 v13, v4, v16
	v_cndmask_b32_e32 v14, v5, v14, vcc_lo
	s_and_b32 s18, s26, 7
	s_mov_b32 s19, s30
	v_dual_mov_b32 v4, s30 :: v_dual_mov_b32 v5, s31
	v_cmp_gt_u64_e64 s40, s[40:41], 6
	v_add_lshl_u32 v9, v23, v6, 2
	s_and_b32 s29, s27, 0x7fffffff
	s_and_b32 s28, s26, -8
	v_lshl_add_u32 v23, v6, 5, 0x200
	s_cmp_lg_u64 s[18:19], 0
	s_cselect_b32 s41, -1, 0
	s_branch .LBB68_17
.LBB68_15:                              ;   in Loop: Header=BB68_17 Depth=1
	s_or_b32 exec_lo, exec_lo, s43
.LBB68_16:                              ;   in Loop: Header=BB68_17 Depth=1
	s_delay_alu instid0(SALU_CYCLE_1) | instskip(SKIP_2) | instid1(SALU_CYCLE_1)
	s_or_b32 exec_lo, exec_lo, s42
	s_add_u32 s24, s24, 1
	s_addc_u32 s25, s25, 0
	v_cmp_ge_i64_e64 s30, s[24:25], s[12:13]
	s_barrier
	buffer_gl0_inv
	s_and_b32 vcc_lo, exec_lo, s30
	s_cbranch_vccnz .LBB68_42
.LBB68_17:                              ; =>This Loop Header: Depth=1
                                        ;     Child Loop BB68_28 Depth 2
                                        ;     Child Loop BB68_32 Depth 2
	;; [unrolled: 1-line block ×4, first 2 shown]
	s_and_saveexec_b32 s30, s2
	s_cbranch_execz .LBB68_22
; %bb.18:                               ;   in Loop: Header=BB68_17 Depth=1
	s_lshl_b64 s[42:43], s[24:25], 3
	s_delay_alu instid0(SALU_CYCLE_1)
	s_add_u32 s42, s16, s42
	s_addc_u32 s43, s17, s43
	s_load_b64 s[42:43], s[42:43], 0x0
	s_waitcnt lgkmcnt(0)
	s_sub_u32 s31, s42, s9
	s_subb_u32 s42, s43, 0
	v_mad_u64_u32 v[17:18], null, s31, s26, v[6:7]
	s_mul_i32 s43, s31, s27
	s_mul_i32 s42, s42, s26
	s_delay_alu instid0(SALU_CYCLE_1)
	s_add_i32 s43, s43, s42
	s_delay_alu instid0(VALU_DEP_1) | instid1(SALU_CYCLE_1)
	v_add_nc_u32_e32 v18, s43, v18
	s_delay_alu instid0(VALU_DEP_2) | instskip(SKIP_1) | instid1(VALU_DEP_3)
	v_mul_lo_u32 v25, v17, s23
	v_mad_u64_u32 v[15:16], null, v17, s22, s[20:21]
	v_mul_lo_u32 v26, v18, s22
	v_mad_u64_u32 v[17:18], null, s31, s26, v[10:11]
	s_delay_alu instid0(VALU_DEP_2) | instskip(NEXT) | instid1(VALU_DEP_2)
	v_add3_u32 v16, v26, v16, v25
	v_add_nc_u32_e32 v18, s43, v18
	s_and_saveexec_b32 s31, s3
	s_cbranch_execz .LBB68_20
; %bb.19:                               ;   in Loop: Header=BB68_17 Depth=1
	s_delay_alu instid0(VALU_DEP_3) | instskip(NEXT) | instid1(VALU_DEP_2)
	v_add_co_u32 v25, vcc_lo, v17, v8
	v_add_co_ci_u32_e32 v26, vcc_lo, v18, v20, vcc_lo
	v_add_co_u32 v27, vcc_lo, v15, v2
	v_add_co_ci_u32_e32 v28, vcc_lo, 0, v16, vcc_lo
	s_delay_alu instid0(VALU_DEP_2) | instskip(NEXT) | instid1(VALU_DEP_2)
	v_cndmask_b32_e64 v25, v27, v25, s5
	v_cndmask_b32_e64 v26, v28, v26, s5
	global_load_i8 v25, v[25:26], off
	s_waitcnt vmcnt(0)
	ds_store_b32 v9, v25
.LBB68_20:                              ;   in Loop: Header=BB68_17 Depth=1
	s_or_b32 exec_lo, exec_lo, s31
	s_delay_alu instid0(SALU_CYCLE_1)
	s_and_b32 exec_lo, exec_lo, s4
	s_cbranch_execz .LBB68_22
; %bb.21:                               ;   in Loop: Header=BB68_17 Depth=1
	v_add_co_u32 v17, vcc_lo, v17, v12
	v_add_co_ci_u32_e32 v18, vcc_lo, v18, v21, vcc_lo
	v_add_co_u32 v15, vcc_lo, v15, v0
	v_add_co_ci_u32_e32 v16, vcc_lo, 0, v16, vcc_lo
	s_delay_alu instid0(VALU_DEP_2) | instskip(NEXT) | instid1(VALU_DEP_2)
	v_cndmask_b32_e64 v15, v15, v17, s5
	v_cndmask_b32_e64 v16, v16, v18, s5
	global_load_i8 v15, v[15:16], off
	s_waitcnt vmcnt(0)
	ds_store_b32 v9, v15 offset:256
.LBB68_22:                              ;   in Loop: Header=BB68_17 Depth=1
	s_or_b32 exec_lo, exec_lo, s30
	s_and_saveexec_b32 s30, s37
	s_cbranch_execz .LBB68_24
; %bb.23:                               ;   in Loop: Header=BB68_17 Depth=1
	v_mad_u64_u32 v[15:16], null, s15, s24, v[13:14]
	s_mul_i32 s31, s36, s24
	s_mul_i32 s42, s15, s25
	s_delay_alu instid0(VALU_DEP_1) | instid1(SALU_CYCLE_1)
	v_add3_u32 v16, s42, s31, v16
	global_load_i8 v15, v[15:16], off
	s_waitcnt vmcnt(0)
	ds_store_b32 v19, v15
.LBB68_24:                              ;   in Loop: Header=BB68_17 Depth=1
	s_or_b32 exec_lo, exec_lo, s30
	s_waitcnt lgkmcnt(0)
	s_barrier
	buffer_gl0_inv
	s_and_saveexec_b32 s42, s2
	s_cbranch_execz .LBB68_16
; %bb.25:                               ;   in Loop: Header=BB68_17 Depth=1
	s_and_saveexec_b32 s43, s38
	s_cbranch_execz .LBB68_34
; %bb.26:                               ;   in Loop: Header=BB68_17 Depth=1
	s_and_not1_b32 vcc_lo, exec_lo, s40
	s_cbranch_vccnz .LBB68_30
; %bb.27:                               ;   in Loop: Header=BB68_17 Depth=1
	v_dual_mov_b32 v15, v23 :: v_dual_mov_b32 v16, v22
	s_mov_b64 s[30:31], 0
	s_set_inst_prefetch_distance 0x1
	.p2align	6
.LBB68_28:                              ;   Parent Loop BB68_17 Depth=1
                                        ; =>  This Inner Loop Header: Depth=2
	ds_load_b128 v[25:28], v16
	ds_load_b128 v[29:32], v15
	ds_load_b128 v[33:36], v15 offset:16
	ds_load_b128 v[37:40], v16 offset:16
	s_add_u32 s30, s30, 8
	v_add_nc_u32_e32 v16, 32, v16
	v_add_nc_u32_e32 v15, 32, v15
	s_addc_u32 s31, s31, 0
	s_delay_alu instid0(SALU_CYCLE_1)
	s_cmp_lg_u64 s[28:29], s[30:31]
	s_waitcnt lgkmcnt(2)
	v_mul_lo_u32 v17, v25, v29
	v_mul_lo_u32 v18, v26, v30
	;; [unrolled: 1-line block ×4, first 2 shown]
	s_delay_alu instid0(VALU_DEP_3) | instskip(SKIP_3) | instid1(VALU_DEP_3)
	v_add3_u32 v4, v17, v4, v18
	s_waitcnt lgkmcnt(0)
	v_mul_lo_u32 v17, v37, v33
	v_mul_lo_u32 v18, v38, v34
	v_add3_u32 v4, v25, v4, v26
	v_mul_lo_u32 v25, v39, v35
	v_mul_lo_u32 v26, v40, v36
	s_delay_alu instid0(VALU_DEP_3) | instskip(NEXT) | instid1(VALU_DEP_1)
	v_add3_u32 v4, v17, v4, v18
	v_add3_u32 v4, v25, v4, v26
	s_cbranch_scc1 .LBB68_28
; %bb.29:                               ;   in Loop: Header=BB68_17 Depth=1
	s_set_inst_prefetch_distance 0x2
	s_mov_b64 s[30:31], s[28:29]
	s_and_not1_b32 vcc_lo, exec_lo, s41
	s_cbranch_vccz .LBB68_31
	s_branch .LBB68_34
.LBB68_30:                              ;   in Loop: Header=BB68_17 Depth=1
	s_mov_b64 s[30:31], 0
	s_and_not1_b32 vcc_lo, exec_lo, s41
	s_cbranch_vccnz .LBB68_34
.LBB68_31:                              ;   in Loop: Header=BB68_17 Depth=1
	s_lshl_b32 s30, s30, 2
	s_delay_alu instid0(SALU_CYCLE_1)
	v_add_nc_u32_e32 v17, s30, v22
	v_add_nc_u32_e32 v18, s30, v23
	s_mov_b64 s[30:31], s[18:19]
.LBB68_32:                              ;   Parent Loop BB68_17 Depth=1
                                        ; =>  This Inner Loop Header: Depth=2
	ds_load_b32 v25, v18
	ds_load_b32 v26, v17
	s_add_u32 s30, s30, -1
	s_addc_u32 s31, s31, -1
	v_add_nc_u32_e32 v17, 4, v17
	s_cmp_lg_u64 s[30:31], 0
	s_waitcnt lgkmcnt(0)
	v_mad_u64_u32 v[15:16], null, v26, v25, v[4:5]
	v_mov_b32_e32 v16, v5
	v_add_nc_u32_e32 v18, 4, v18
	s_delay_alu instid0(VALU_DEP_2)
	v_dual_mov_b32 v4, v15 :: v_dual_mov_b32 v5, v16
	s_cbranch_scc1 .LBB68_32
; %bb.33:                               ;   in Loop: Header=BB68_17 Depth=1
	v_dual_mov_b32 v4, v15 :: v_dual_mov_b32 v5, v16
.LBB68_34:                              ;   in Loop: Header=BB68_17 Depth=1
	s_or_b32 exec_lo, exec_lo, s43
	s_and_saveexec_b32 s43, s39
	s_cbranch_execz .LBB68_15
; %bb.35:                               ;   in Loop: Header=BB68_17 Depth=1
	s_and_not1_b32 vcc_lo, exec_lo, s40
	s_cbranch_vccnz .LBB68_39
; %bb.36:                               ;   in Loop: Header=BB68_17 Depth=1
	v_dual_mov_b32 v15, v23 :: v_dual_mov_b32 v16, v24
	s_mov_b64 s[30:31], 0
	s_set_inst_prefetch_distance 0x1
	.p2align	6
.LBB68_37:                              ;   Parent Loop BB68_17 Depth=1
                                        ; =>  This Inner Loop Header: Depth=2
	ds_load_b128 v[25:28], v16
	ds_load_b128 v[29:32], v15
	ds_load_b128 v[33:36], v15 offset:16
	ds_load_b128 v[37:40], v16 offset:16
	s_add_u32 s30, s30, 8
	v_add_nc_u32_e32 v16, 32, v16
	v_add_nc_u32_e32 v15, 32, v15
	s_addc_u32 s31, s31, 0
	s_delay_alu instid0(SALU_CYCLE_1)
	s_cmp_lg_u64 s[28:29], s[30:31]
	s_waitcnt lgkmcnt(2)
	v_mul_lo_u32 v17, v25, v29
	v_mul_lo_u32 v18, v26, v30
	;; [unrolled: 1-line block ×4, first 2 shown]
	s_delay_alu instid0(VALU_DEP_3) | instskip(SKIP_3) | instid1(VALU_DEP_3)
	v_add3_u32 v5, v17, v5, v18
	s_waitcnt lgkmcnt(0)
	v_mul_lo_u32 v17, v37, v33
	v_mul_lo_u32 v18, v38, v34
	v_add3_u32 v5, v25, v5, v26
	v_mul_lo_u32 v25, v39, v35
	v_mul_lo_u32 v26, v40, v36
	s_delay_alu instid0(VALU_DEP_3) | instskip(NEXT) | instid1(VALU_DEP_1)
	v_add3_u32 v5, v17, v5, v18
	v_add3_u32 v5, v25, v5, v26
	s_cbranch_scc1 .LBB68_37
; %bb.38:                               ;   in Loop: Header=BB68_17 Depth=1
	s_set_inst_prefetch_distance 0x2
	s_mov_b64 s[30:31], s[28:29]
	s_and_not1_b32 vcc_lo, exec_lo, s41
	s_cbranch_vccz .LBB68_40
	s_branch .LBB68_15
.LBB68_39:                              ;   in Loop: Header=BB68_17 Depth=1
	s_mov_b64 s[30:31], 0
	s_and_not1_b32 vcc_lo, exec_lo, s41
	s_cbranch_vccnz .LBB68_15
.LBB68_40:                              ;   in Loop: Header=BB68_17 Depth=1
	s_lshl_b32 s30, s30, 2
	s_delay_alu instid0(SALU_CYCLE_1)
	v_add_nc_u32_e32 v15, s30, v24
	v_add_nc_u32_e32 v16, s30, v23
	s_mov_b64 s[30:31], s[18:19]
.LBB68_41:                              ;   Parent Loop BB68_17 Depth=1
                                        ; =>  This Inner Loop Header: Depth=2
	ds_load_b32 v25, v16
	ds_load_b32 v26, v15
	v_add_nc_u32_e32 v15, 4, v15
	s_add_u32 s30, s30, -1
	s_addc_u32 s31, s31, -1
	s_delay_alu instid0(SALU_CYCLE_1) | instskip(SKIP_2) | instid1(VALU_DEP_1)
	s_cmp_lg_u64 s[30:31], 0
	s_waitcnt lgkmcnt(0)
	v_mad_u64_u32 v[17:18], null, v26, v25, v[5:6]
	v_dual_mov_b32 v5, v17 :: v_dual_add_nc_u32 v16, 4, v16
	s_cbranch_scc1 .LBB68_41
	s_branch .LBB68_15
.LBB68_42:
	s_delay_alu instid0(VALU_DEP_1) | instskip(NEXT) | instid1(SALU_CYCLE_1)
	s_and_b32 s2, s35, s2
	s_and_saveexec_b32 s3, s2
	s_cbranch_execz .LBB68_62
; %bb.43:
	v_mad_u64_u32 v[8:9], null, s14, s26, v[6:7]
	s_load_b64 s[2:3], s[0:1], 0x78
	s_cmp_lg_u32 s34, 0
	s_cselect_b32 s4, -1, 0
	s_cmp_lg_u32 s8, 1
	s_cselect_b32 s1, -1, 0
	s_delay_alu instid0(VALU_DEP_1) | instskip(NEXT) | instid1(VALU_DEP_1)
	v_mov_b32_e32 v6, v9
	v_mad_u64_u32 v[9:10], null, s14, s27, v[6:7]
	s_waitcnt lgkmcnt(0)
	v_mul_lo_u32 v10, v8, s3
	v_mad_u64_u32 v[6:7], null, v8, s2, 0
	s_delay_alu instid0(VALU_DEP_3) | instskip(NEXT) | instid1(VALU_DEP_1)
	v_mul_lo_u32 v11, v9, s2
	v_add3_u32 v7, v7, v10, v11
	v_lshlrev_b64 v[10:11], 2, v[8:9]
	s_delay_alu instid0(VALU_DEP_2) | instskip(NEXT) | instid1(VALU_DEP_1)
	v_lshlrev_b64 v[6:7], 2, v[6:7]
	v_add_co_u32 v8, s0, s10, v6
	s_delay_alu instid0(VALU_DEP_1) | instskip(NEXT) | instid1(VALU_DEP_4)
	v_add_co_ci_u32_e64 v9, s0, s11, v7, s0
	v_add_co_u32 v6, s0, s10, v10
	s_delay_alu instid0(VALU_DEP_1)
	v_add_co_ci_u32_e64 v7, s0, s11, v11, s0
	s_mov_b32 s0, exec_lo
	v_cmpx_gt_i64_e64 s[6:7], v[2:3]
	s_cbranch_execz .LBB68_55
; %bb.44:
	s_and_b32 vcc_lo, exec_lo, s4
	s_cbranch_vccz .LBB68_50
; %bb.45:
	s_and_b32 vcc_lo, exec_lo, s1
	s_mov_b32 s5, -1
	s_cbranch_vccz .LBB68_47
; %bb.46:
	v_lshlrev_b64 v[10:11], 2, v[2:3]
	v_mul_lo_u32 v12, v4, s33
	s_mov_b32 s5, 0
	s_delay_alu instid0(VALU_DEP_2) | instskip(NEXT) | instid1(VALU_DEP_3)
	v_add_co_u32 v10, vcc_lo, v8, v10
	v_add_co_ci_u32_e32 v11, vcc_lo, v9, v11, vcc_lo
	global_load_b32 v15, v[10:11], off
	s_waitcnt vmcnt(0)
	v_mad_u64_u32 v[13:14], null, v15, s34, v[12:13]
	global_store_b32 v[10:11], v13, off
.LBB68_47:
	s_and_not1_b32 vcc_lo, exec_lo, s5
	s_cbranch_vccnz .LBB68_49
; %bb.48:
	v_mad_u64_u32 v[10:11], null, v2, s2, 0
	s_delay_alu instid0(VALU_DEP_1) | instskip(NEXT) | instid1(VALU_DEP_1)
	v_mad_u64_u32 v[12:13], null, v2, s3, v[11:12]
	v_mov_b32_e32 v11, v12
	v_mul_lo_u32 v12, v4, s33
	s_delay_alu instid0(VALU_DEP_2) | instskip(NEXT) | instid1(VALU_DEP_1)
	v_lshlrev_b64 v[10:11], 2, v[10:11]
	v_add_co_u32 v10, vcc_lo, v6, v10
	s_delay_alu instid0(VALU_DEP_2)
	v_add_co_ci_u32_e32 v11, vcc_lo, v7, v11, vcc_lo
	global_load_b32 v15, v[10:11], off
	s_waitcnt vmcnt(0)
	v_mad_u64_u32 v[13:14], null, v15, s34, v[12:13]
	global_store_b32 v[10:11], v13, off
.LBB68_49:
	s_cbranch_execz .LBB68_51
	s_branch .LBB68_55
.LBB68_50:
.LBB68_51:
	v_mul_lo_u32 v4, v4, s33
	s_and_b32 vcc_lo, exec_lo, s1
	s_mov_b32 s5, -1
	s_cbranch_vccz .LBB68_53
; %bb.52:
	v_lshlrev_b64 v[10:11], 2, v[2:3]
	s_mov_b32 s5, 0
	s_delay_alu instid0(VALU_DEP_1) | instskip(NEXT) | instid1(VALU_DEP_2)
	v_add_co_u32 v10, vcc_lo, v8, v10
	v_add_co_ci_u32_e32 v11, vcc_lo, v9, v11, vcc_lo
	global_store_b32 v[10:11], v4, off
.LBB68_53:
	s_and_not1_b32 vcc_lo, exec_lo, s5
	s_cbranch_vccnz .LBB68_55
; %bb.54:
	v_mad_u64_u32 v[10:11], null, v2, s2, 0
	s_delay_alu instid0(VALU_DEP_1) | instskip(NEXT) | instid1(VALU_DEP_1)
	v_mov_b32_e32 v3, v11
	v_mad_u64_u32 v[11:12], null, v2, s3, v[3:4]
	s_delay_alu instid0(VALU_DEP_1) | instskip(NEXT) | instid1(VALU_DEP_1)
	v_lshlrev_b64 v[2:3], 2, v[10:11]
	v_add_co_u32 v2, vcc_lo, v6, v2
	s_delay_alu instid0(VALU_DEP_2)
	v_add_co_ci_u32_e32 v3, vcc_lo, v7, v3, vcc_lo
	global_store_b32 v[2:3], v4, off
.LBB68_55:
	s_or_b32 exec_lo, exec_lo, s0
	v_cmp_gt_i64_e32 vcc_lo, s[6:7], v[0:1]
	s_and_b32 exec_lo, exec_lo, vcc_lo
	s_cbranch_execz .LBB68_62
; %bb.56:
	v_cndmask_b32_e64 v2, 0, 1, s1
	s_and_not1_b32 vcc_lo, exec_lo, s4
	s_delay_alu instid0(VALU_DEP_1)
	v_cmp_ne_u32_e64 s0, 1, v2
	s_cbranch_vccnz .LBB68_63
; %bb.57:
	s_delay_alu instid0(VALU_DEP_1)
	s_and_b32 vcc_lo, exec_lo, s0
	s_mov_b32 s0, -1
	s_cbranch_vccnz .LBB68_59
; %bb.58:
	v_lshlrev_b64 v[2:3], 2, v[0:1]
	v_mul_lo_u32 v4, v5, s33
	s_mov_b32 s0, 0
	s_delay_alu instid0(VALU_DEP_2) | instskip(NEXT) | instid1(VALU_DEP_3)
	v_add_co_u32 v2, vcc_lo, v8, v2
	v_add_co_ci_u32_e32 v3, vcc_lo, v9, v3, vcc_lo
	global_load_b32 v12, v[2:3], off
	s_waitcnt vmcnt(0)
	v_mad_u64_u32 v[10:11], null, v12, s34, v[4:5]
	global_store_b32 v[2:3], v10, off
.LBB68_59:
	s_and_not1_b32 vcc_lo, exec_lo, s0
	s_cbranch_vccnz .LBB68_61
; %bb.60:
	v_mad_u64_u32 v[2:3], null, v0, s2, 0
	s_delay_alu instid0(VALU_DEP_1) | instskip(SKIP_1) | instid1(VALU_DEP_2)
	v_mad_u64_u32 v[10:11], null, v0, s3, v[3:4]
	v_mul_lo_u32 v4, v5, s33
	v_mov_b32_e32 v3, v10
	s_delay_alu instid0(VALU_DEP_1) | instskip(NEXT) | instid1(VALU_DEP_1)
	v_lshlrev_b64 v[2:3], 2, v[2:3]
	v_add_co_u32 v2, vcc_lo, v6, v2
	s_delay_alu instid0(VALU_DEP_2)
	v_add_co_ci_u32_e32 v3, vcc_lo, v7, v3, vcc_lo
	global_load_b32 v12, v[2:3], off
	s_waitcnt vmcnt(0)
	v_mad_u64_u32 v[10:11], null, v12, s34, v[4:5]
	global_store_b32 v[2:3], v10, off
.LBB68_61:
	s_cbranch_execz .LBB68_64
.LBB68_62:
	s_nop 0
	s_sendmsg sendmsg(MSG_DEALLOC_VGPRS)
	s_endpgm
.LBB68_63:
.LBB68_64:
	v_mul_lo_u32 v2, v5, s33
	s_and_not1_b32 vcc_lo, exec_lo, s1
	s_mov_b32 s0, -1
	s_cbranch_vccnz .LBB68_66
; %bb.65:
	v_lshlrev_b64 v[3:4], 2, v[0:1]
	s_mov_b32 s0, 0
	s_delay_alu instid0(VALU_DEP_1) | instskip(NEXT) | instid1(VALU_DEP_2)
	v_add_co_u32 v3, vcc_lo, v8, v3
	v_add_co_ci_u32_e32 v4, vcc_lo, v9, v4, vcc_lo
	global_store_b32 v[3:4], v2, off
.LBB68_66:
	s_and_not1_b32 vcc_lo, exec_lo, s0
	s_cbranch_vccnz .LBB68_62
; %bb.67:
	v_mad_u64_u32 v[3:4], null, v0, s2, 0
	s_delay_alu instid0(VALU_DEP_1) | instskip(NEXT) | instid1(VALU_DEP_1)
	v_mov_b32_e32 v1, v4
	v_mad_u64_u32 v[4:5], null, v0, s3, v[1:2]
	s_delay_alu instid0(VALU_DEP_1) | instskip(NEXT) | instid1(VALU_DEP_1)
	v_lshlrev_b64 v[0:1], 2, v[3:4]
	v_add_co_u32 v0, vcc_lo, v6, v0
	s_delay_alu instid0(VALU_DEP_2)
	v_add_co_ci_u32_e32 v1, vcc_lo, v7, v1, vcc_lo
	global_store_b32 v[0:1], v2, off
	s_nop 0
	s_sendmsg sendmsg(MSG_DEALLOC_VGPRS)
	s_endpgm
	.section	.rodata,"a",@progbits
	.p2align	6, 0x0
	.amdhsa_kernel _ZN9rocsparseL31bsrmm_large_blockdim_kernel_extILj8ELj8ELj2EllaaiiEEvb20rocsparse_direction_T3_S2_llNS_24const_host_device_scalarIT7_EEPKT2_PKS2_PKT4_S2_PKT5_llS5_PT6_ll16rocsparse_order_21rocsparse_index_base_b
		.amdhsa_group_segment_fixed_size 768
		.amdhsa_private_segment_fixed_size 0
		.amdhsa_kernarg_size 148
		.amdhsa_user_sgpr_count 14
		.amdhsa_user_sgpr_dispatch_ptr 0
		.amdhsa_user_sgpr_queue_ptr 0
		.amdhsa_user_sgpr_kernarg_segment_ptr 1
		.amdhsa_user_sgpr_dispatch_id 0
		.amdhsa_user_sgpr_private_segment_size 0
		.amdhsa_wavefront_size32 1
		.amdhsa_uses_dynamic_stack 0
		.amdhsa_enable_private_segment 0
		.amdhsa_system_sgpr_workgroup_id_x 1
		.amdhsa_system_sgpr_workgroup_id_y 1
		.amdhsa_system_sgpr_workgroup_id_z 0
		.amdhsa_system_sgpr_workgroup_info 0
		.amdhsa_system_vgpr_workitem_id 1
		.amdhsa_next_free_vgpr 41
		.amdhsa_next_free_sgpr 44
		.amdhsa_reserve_vcc 1
		.amdhsa_float_round_mode_32 0
		.amdhsa_float_round_mode_16_64 0
		.amdhsa_float_denorm_mode_32 3
		.amdhsa_float_denorm_mode_16_64 3
		.amdhsa_dx10_clamp 1
		.amdhsa_ieee_mode 1
		.amdhsa_fp16_overflow 0
		.amdhsa_workgroup_processor_mode 1
		.amdhsa_memory_ordered 1
		.amdhsa_forward_progress 0
		.amdhsa_shared_vgpr_count 0
		.amdhsa_exception_fp_ieee_invalid_op 0
		.amdhsa_exception_fp_denorm_src 0
		.amdhsa_exception_fp_ieee_div_zero 0
		.amdhsa_exception_fp_ieee_overflow 0
		.amdhsa_exception_fp_ieee_underflow 0
		.amdhsa_exception_fp_ieee_inexact 0
		.amdhsa_exception_int_div_zero 0
	.end_amdhsa_kernel
	.section	.text._ZN9rocsparseL31bsrmm_large_blockdim_kernel_extILj8ELj8ELj2EllaaiiEEvb20rocsparse_direction_T3_S2_llNS_24const_host_device_scalarIT7_EEPKT2_PKS2_PKT4_S2_PKT5_llS5_PT6_ll16rocsparse_order_21rocsparse_index_base_b,"axG",@progbits,_ZN9rocsparseL31bsrmm_large_blockdim_kernel_extILj8ELj8ELj2EllaaiiEEvb20rocsparse_direction_T3_S2_llNS_24const_host_device_scalarIT7_EEPKT2_PKS2_PKT4_S2_PKT5_llS5_PT6_ll16rocsparse_order_21rocsparse_index_base_b,comdat
.Lfunc_end68:
	.size	_ZN9rocsparseL31bsrmm_large_blockdim_kernel_extILj8ELj8ELj2EllaaiiEEvb20rocsparse_direction_T3_S2_llNS_24const_host_device_scalarIT7_EEPKT2_PKS2_PKT4_S2_PKT5_llS5_PT6_ll16rocsparse_order_21rocsparse_index_base_b, .Lfunc_end68-_ZN9rocsparseL31bsrmm_large_blockdim_kernel_extILj8ELj8ELj2EllaaiiEEvb20rocsparse_direction_T3_S2_llNS_24const_host_device_scalarIT7_EEPKT2_PKS2_PKT4_S2_PKT5_llS5_PT6_ll16rocsparse_order_21rocsparse_index_base_b
                                        ; -- End function
	.section	.AMDGPU.csdata,"",@progbits
; Kernel info:
; codeLenInByte = 2752
; NumSgprs: 46
; NumVgprs: 41
; ScratchSize: 0
; MemoryBound: 0
; FloatMode: 240
; IeeeMode: 1
; LDSByteSize: 768 bytes/workgroup (compile time only)
; SGPRBlocks: 5
; VGPRBlocks: 5
; NumSGPRsForWavesPerEU: 46
; NumVGPRsForWavesPerEU: 41
; Occupancy: 16
; WaveLimiterHint : 1
; COMPUTE_PGM_RSRC2:SCRATCH_EN: 0
; COMPUTE_PGM_RSRC2:USER_SGPR: 14
; COMPUTE_PGM_RSRC2:TRAP_HANDLER: 0
; COMPUTE_PGM_RSRC2:TGID_X_EN: 1
; COMPUTE_PGM_RSRC2:TGID_Y_EN: 1
; COMPUTE_PGM_RSRC2:TGID_Z_EN: 0
; COMPUTE_PGM_RSRC2:TIDIG_COMP_CNT: 1
	.section	.text._ZN9rocsparseL31bsrmm_large_blockdim_kernel_extILj4ELj16ELj2EllaaiiEEvb20rocsparse_direction_T3_S2_llNS_24const_host_device_scalarIT7_EEPKT2_PKS2_PKT4_S2_PKT5_llS5_PT6_ll16rocsparse_order_21rocsparse_index_base_b,"axG",@progbits,_ZN9rocsparseL31bsrmm_large_blockdim_kernel_extILj4ELj16ELj2EllaaiiEEvb20rocsparse_direction_T3_S2_llNS_24const_host_device_scalarIT7_EEPKT2_PKS2_PKT4_S2_PKT5_llS5_PT6_ll16rocsparse_order_21rocsparse_index_base_b,comdat
	.globl	_ZN9rocsparseL31bsrmm_large_blockdim_kernel_extILj4ELj16ELj2EllaaiiEEvb20rocsparse_direction_T3_S2_llNS_24const_host_device_scalarIT7_EEPKT2_PKS2_PKT4_S2_PKT5_llS5_PT6_ll16rocsparse_order_21rocsparse_index_base_b ; -- Begin function _ZN9rocsparseL31bsrmm_large_blockdim_kernel_extILj4ELj16ELj2EllaaiiEEvb20rocsparse_direction_T3_S2_llNS_24const_host_device_scalarIT7_EEPKT2_PKS2_PKT4_S2_PKT5_llS5_PT6_ll16rocsparse_order_21rocsparse_index_base_b
	.p2align	8
	.type	_ZN9rocsparseL31bsrmm_large_blockdim_kernel_extILj4ELj16ELj2EllaaiiEEvb20rocsparse_direction_T3_S2_llNS_24const_host_device_scalarIT7_EEPKT2_PKS2_PKT4_S2_PKT5_llS5_PT6_ll16rocsparse_order_21rocsparse_index_base_b,@function
_ZN9rocsparseL31bsrmm_large_blockdim_kernel_extILj4ELj16ELj2EllaaiiEEvb20rocsparse_direction_T3_S2_llNS_24const_host_device_scalarIT7_EEPKT2_PKS2_PKT4_S2_PKT5_llS5_PT6_ll16rocsparse_order_21rocsparse_index_base_b: ; @_ZN9rocsparseL31bsrmm_large_blockdim_kernel_extILj4ELj16ELj2EllaaiiEEvb20rocsparse_direction_T3_S2_llNS_24const_host_device_scalarIT7_EEPKT2_PKS2_PKT4_S2_PKT5_llS5_PT6_ll16rocsparse_order_21rocsparse_index_base_b
; %bb.0:
	s_clause 0x1
	s_load_b128 s[8:11], s[0:1], 0x88
	s_load_b64 s[6:7], s[0:1], 0x28
	s_mov_b32 s2, s15
                                        ; implicit-def: $sgpr33
	s_waitcnt lgkmcnt(0)
	s_bitcmp1_b32 s10, 0
	s_mov_b32 s10, -1
	s_cselect_b32 s3, -1, 0
	s_delay_alu instid0(SALU_CYCLE_1) | instskip(NEXT) | instid1(SALU_CYCLE_1)
	s_xor_b32 s3, s3, -1
	s_and_b32 vcc_lo, exec_lo, s3
	s_cbranch_vccnz .LBB69_4
; %bb.1:
	s_load_b64 s[4:5], s[0:1], 0x68
	s_and_not1_b32 vcc_lo, exec_lo, s10
	s_cbranch_vccz .LBB69_5
.LBB69_2:
	s_and_b32 vcc_lo, exec_lo, s3
	s_cbranch_vccz .LBB69_6
.LBB69_3:
	s_waitcnt lgkmcnt(0)
	s_load_b32 s34, s[4:5], 0x0
	s_cbranch_execz .LBB69_7
	s_branch .LBB69_8
.LBB69_4:
	s_load_b32 s33, s[6:7], 0x0
	s_load_b64 s[4:5], s[0:1], 0x68
	s_cbranch_execnz .LBB69_2
.LBB69_5:
	s_waitcnt lgkmcnt(0)
	s_mov_b32 s33, s6
	s_and_b32 vcc_lo, exec_lo, s3
	s_cbranch_vccnz .LBB69_3
.LBB69_6:
                                        ; implicit-def: $sgpr34
.LBB69_7:
	s_waitcnt lgkmcnt(0)
	s_mov_b32 s34, s4
.LBB69_8:
	s_waitcnt lgkmcnt(0)
	s_cmp_eq_u32 s33, 0
	s_cselect_b32 s3, -1, 0
	s_cmp_eq_u32 s34, 1
	s_cselect_b32 s4, -1, 0
	s_delay_alu instid0(SALU_CYCLE_1) | instskip(NEXT) | instid1(SALU_CYCLE_1)
	s_and_b32 s3, s3, s4
	s_and_b32 vcc_lo, exec_lo, s3
	s_cbranch_vccnz .LBB69_62
; %bb.9:
	s_clause 0x1
	s_load_b128 s[4:7], s[0:1], 0x8
	s_load_b64 s[10:11], s[0:1], 0x30
	s_ashr_i32 s15, s14, 31
	s_mov_b64 s[12:13], 0
	s_mov_b64 s[24:25], 0
	s_waitcnt lgkmcnt(0)
	v_cmp_ge_i64_e64 s3, s[14:15], s[4:5]
	v_cmp_lt_i64_e64 s35, s[14:15], s[4:5]
	s_delay_alu instid0(VALU_DEP_2)
	s_and_b32 vcc_lo, exec_lo, s3
	s_cbranch_vccnz .LBB69_11
; %bb.10:
	s_lshl_b64 s[4:5], s[14:15], 3
	s_delay_alu instid0(SALU_CYCLE_1)
	s_add_u32 s4, s10, s4
	s_addc_u32 s5, s11, s5
	s_load_b64 s[4:5], s[4:5], 0x0
	s_waitcnt lgkmcnt(0)
	s_sub_u32 s24, s4, s9
	s_subb_u32 s25, s5, 0
.LBB69_11:
	s_delay_alu instid0(VALU_DEP_1)
	s_and_not1_b32 vcc_lo, exec_lo, s35
	s_cbranch_vccnz .LBB69_13
; %bb.12:
	s_lshl_b64 s[4:5], s[14:15], 3
	s_delay_alu instid0(SALU_CYCLE_1)
	s_add_u32 s4, s10, s4
	s_addc_u32 s5, s11, s5
	s_load_b64 s[4:5], s[4:5], 0x8
	s_waitcnt lgkmcnt(0)
	s_sub_u32 s12, s4, s9
	s_subb_u32 s13, s5, 0
.LBB69_13:
	s_clause 0x1
	s_load_b64 s[26:27], s[0:1], 0x48
	s_load_b64 s[10:11], s[0:1], 0x70
	v_bfe_u32 v15, v0, 10, 10
	v_dual_mov_b32 v3, 0 :: v_dual_and_b32 v6, 0x3ff, v0
	s_mov_b32 s30, 0
	s_delay_alu instid0(VALU_DEP_2) | instskip(SKIP_1) | instid1(VALU_DEP_3)
	v_lshl_add_u32 v2, s2, 5, v15
	v_cmp_ge_i64_e64 s2, s[24:25], s[12:13]
	v_mov_b32_e32 v1, v3
	s_mov_b32 s31, s30
	v_dual_mov_b32 v7, v3 :: v_dual_mov_b32 v4, s30
	v_add_nc_u32_e32 v0, 16, v2
	s_delay_alu instid0(VALU_DEP_4) | instskip(SKIP_2) | instid1(VALU_DEP_3)
	s_and_b32 vcc_lo, exec_lo, s2
	v_cmp_gt_i64_e64 s3, s[6:7], v[2:3]
	v_mov_b32_e32 v5, s31
	v_cmp_gt_i64_e64 s4, s[6:7], v[0:1]
	s_waitcnt lgkmcnt(0)
	v_cmp_gt_i64_e64 s2, s[26:27], v[6:7]
	s_cbranch_vccnz .LBB69_42
; %bb.14:
	s_clause 0x2
	s_load_b64 s[28:29], s[0:1], 0x0
	s_load_b128 s[16:19], s[0:1], 0x38
	s_load_b128 s[20:23], s[0:1], 0x50
	v_dual_mov_b32 v16, v3 :: v_dual_lshlrev_b32 v23, 2, v15
	v_lshl_add_u32 v4, v6, 2, v15
	s_mul_i32 s5, s26, s27
	s_mul_hi_u32 s36, s26, s26
	s_delay_alu instid0(VALU_DEP_2)
	v_cmp_gt_i64_e32 vcc_lo, s[26:27], v[15:16]
	s_add_i32 s36, s36, s5
	v_lshl_add_u32 v19, v4, 2, 0x200
	s_add_i32 s36, s36, s5
	s_mul_i32 s15, s26, s26
	s_and_b32 s37, s2, vcc_lo
	s_waitcnt lgkmcnt(0)
	s_bitcmp1_b32 s28, 0
	v_mad_u64_u32 v[16:17], null, v6, s26, s[18:19]
	v_mad_u64_u32 v[4:5], null, v15, s26, s[18:19]
	;; [unrolled: 1-line block ×4, first 2 shown]
	s_delay_alu instid0(VALU_DEP_4) | instskip(SKIP_3) | instid1(VALU_DEP_4)
	v_mov_b32_e32 v14, v17
	v_add_co_u32 v10, s5, s20, v6
	v_mad_u64_u32 v[17:18], null, v15, s27, v[5:6]
	v_mov_b32_e32 v5, v13
	v_mad_u64_u32 v[20:21], null, v6, s27, v[14:15]
	s_delay_alu instid0(VALU_DEP_4) | instskip(NEXT) | instid1(VALU_DEP_3)
	v_mad_u64_u32 v[13:14], null, v2, s23, v[9:10]
	v_mad_u64_u32 v[21:22], null, v0, s23, v[5:6]
	v_dual_mov_b32 v5, v17 :: v_dual_lshlrev_b32 v22, 4, v15
	s_delay_alu instid0(VALU_DEP_4) | instskip(SKIP_1) | instid1(VALU_DEP_3)
	v_mov_b32_e32 v9, v20
	v_add_co_u32 v4, vcc_lo, v4, v6
	v_add_nc_u32_e32 v24, 0x100, v22
	v_cmp_gt_i64_e64 s18, s[26:27], 0
	v_add_co_ci_u32_e32 v5, vcc_lo, 0, v5, vcc_lo
	v_add_co_u32 v16, vcc_lo, v16, v15
	v_add_co_ci_u32_e64 v11, null, s21, 0, s5
	s_cselect_b32 s5, -1, 0
	s_cmp_eq_u32 s29, 0
	v_add_co_ci_u32_e32 v14, vcc_lo, 0, v9, vcc_lo
	s_cselect_b32 vcc_lo, -1, 0
	s_and_b32 s38, s3, s18
	s_and_b32 s39, s4, s18
	s_add_u32 s40, s26, -1
	s_addc_u32 s41, s27, -1
	v_dual_mov_b32 v20, v13 :: v_dual_cndmask_b32 v13, v4, v16
	v_cndmask_b32_e32 v14, v5, v14, vcc_lo
	s_and_b32 s18, s26, 7
	s_mov_b32 s19, s30
	v_dual_mov_b32 v4, s30 :: v_dual_mov_b32 v5, s31
	v_cmp_gt_u64_e64 s40, s[40:41], 6
	v_add_lshl_u32 v9, v23, v6, 2
	s_and_b32 s29, s27, 0x7fffffff
	s_and_b32 s28, s26, -8
	v_lshl_add_u32 v23, v6, 4, 0x200
	s_cmp_lg_u64 s[18:19], 0
	s_cselect_b32 s41, -1, 0
	s_branch .LBB69_17
.LBB69_15:                              ;   in Loop: Header=BB69_17 Depth=1
	s_or_b32 exec_lo, exec_lo, s43
.LBB69_16:                              ;   in Loop: Header=BB69_17 Depth=1
	s_delay_alu instid0(SALU_CYCLE_1) | instskip(SKIP_2) | instid1(SALU_CYCLE_1)
	s_or_b32 exec_lo, exec_lo, s42
	s_add_u32 s24, s24, 1
	s_addc_u32 s25, s25, 0
	v_cmp_ge_i64_e64 s30, s[24:25], s[12:13]
	s_barrier
	buffer_gl0_inv
	s_and_b32 vcc_lo, exec_lo, s30
	s_cbranch_vccnz .LBB69_42
.LBB69_17:                              ; =>This Loop Header: Depth=1
                                        ;     Child Loop BB69_28 Depth 2
                                        ;     Child Loop BB69_32 Depth 2
	;; [unrolled: 1-line block ×4, first 2 shown]
	s_and_saveexec_b32 s30, s2
	s_cbranch_execz .LBB69_22
; %bb.18:                               ;   in Loop: Header=BB69_17 Depth=1
	s_lshl_b64 s[42:43], s[24:25], 3
	s_delay_alu instid0(SALU_CYCLE_1)
	s_add_u32 s42, s16, s42
	s_addc_u32 s43, s17, s43
	s_load_b64 s[42:43], s[42:43], 0x0
	s_waitcnt lgkmcnt(0)
	s_sub_u32 s31, s42, s9
	s_subb_u32 s42, s43, 0
	v_mad_u64_u32 v[17:18], null, s31, s26, v[6:7]
	s_mul_i32 s43, s31, s27
	s_mul_i32 s42, s42, s26
	s_delay_alu instid0(SALU_CYCLE_1)
	s_add_i32 s43, s43, s42
	s_delay_alu instid0(VALU_DEP_1) | instid1(SALU_CYCLE_1)
	v_add_nc_u32_e32 v18, s43, v18
	s_delay_alu instid0(VALU_DEP_2) | instskip(SKIP_1) | instid1(VALU_DEP_3)
	v_mul_lo_u32 v25, v17, s23
	v_mad_u64_u32 v[15:16], null, v17, s22, s[20:21]
	v_mul_lo_u32 v26, v18, s22
	v_mad_u64_u32 v[17:18], null, s31, s26, v[10:11]
	s_delay_alu instid0(VALU_DEP_2) | instskip(NEXT) | instid1(VALU_DEP_2)
	v_add3_u32 v16, v26, v16, v25
	v_add_nc_u32_e32 v18, s43, v18
	s_and_saveexec_b32 s31, s3
	s_cbranch_execz .LBB69_20
; %bb.19:                               ;   in Loop: Header=BB69_17 Depth=1
	s_delay_alu instid0(VALU_DEP_3) | instskip(NEXT) | instid1(VALU_DEP_2)
	v_add_co_u32 v25, vcc_lo, v17, v8
	v_add_co_ci_u32_e32 v26, vcc_lo, v18, v20, vcc_lo
	v_add_co_u32 v27, vcc_lo, v15, v2
	v_add_co_ci_u32_e32 v28, vcc_lo, 0, v16, vcc_lo
	s_delay_alu instid0(VALU_DEP_2) | instskip(NEXT) | instid1(VALU_DEP_2)
	v_cndmask_b32_e64 v25, v27, v25, s5
	v_cndmask_b32_e64 v26, v28, v26, s5
	global_load_i8 v25, v[25:26], off
	s_waitcnt vmcnt(0)
	ds_store_b32 v9, v25
.LBB69_20:                              ;   in Loop: Header=BB69_17 Depth=1
	s_or_b32 exec_lo, exec_lo, s31
	s_delay_alu instid0(SALU_CYCLE_1)
	s_and_b32 exec_lo, exec_lo, s4
	s_cbranch_execz .LBB69_22
; %bb.21:                               ;   in Loop: Header=BB69_17 Depth=1
	v_add_co_u32 v17, vcc_lo, v17, v12
	v_add_co_ci_u32_e32 v18, vcc_lo, v18, v21, vcc_lo
	v_add_co_u32 v15, vcc_lo, v15, v0
	v_add_co_ci_u32_e32 v16, vcc_lo, 0, v16, vcc_lo
	s_delay_alu instid0(VALU_DEP_2) | instskip(NEXT) | instid1(VALU_DEP_2)
	v_cndmask_b32_e64 v15, v15, v17, s5
	v_cndmask_b32_e64 v16, v16, v18, s5
	global_load_i8 v15, v[15:16], off
	s_waitcnt vmcnt(0)
	ds_store_b32 v9, v15 offset:256
.LBB69_22:                              ;   in Loop: Header=BB69_17 Depth=1
	s_or_b32 exec_lo, exec_lo, s30
	s_and_saveexec_b32 s30, s37
	s_cbranch_execz .LBB69_24
; %bb.23:                               ;   in Loop: Header=BB69_17 Depth=1
	v_mad_u64_u32 v[15:16], null, s15, s24, v[13:14]
	s_mul_i32 s31, s36, s24
	s_mul_i32 s42, s15, s25
	s_delay_alu instid0(VALU_DEP_1) | instid1(SALU_CYCLE_1)
	v_add3_u32 v16, s42, s31, v16
	global_load_i8 v15, v[15:16], off
	s_waitcnt vmcnt(0)
	ds_store_b32 v19, v15
.LBB69_24:                              ;   in Loop: Header=BB69_17 Depth=1
	s_or_b32 exec_lo, exec_lo, s30
	s_waitcnt lgkmcnt(0)
	s_barrier
	buffer_gl0_inv
	s_and_saveexec_b32 s42, s2
	s_cbranch_execz .LBB69_16
; %bb.25:                               ;   in Loop: Header=BB69_17 Depth=1
	s_and_saveexec_b32 s43, s38
	s_cbranch_execz .LBB69_34
; %bb.26:                               ;   in Loop: Header=BB69_17 Depth=1
	s_and_not1_b32 vcc_lo, exec_lo, s40
	s_cbranch_vccnz .LBB69_30
; %bb.27:                               ;   in Loop: Header=BB69_17 Depth=1
	v_dual_mov_b32 v15, v23 :: v_dual_mov_b32 v16, v22
	s_mov_b64 s[30:31], 0
	s_set_inst_prefetch_distance 0x1
	.p2align	6
.LBB69_28:                              ;   Parent Loop BB69_17 Depth=1
                                        ; =>  This Inner Loop Header: Depth=2
	ds_load_b128 v[25:28], v16
	ds_load_b128 v[29:32], v15
	ds_load_b128 v[33:36], v15 offset:16
	ds_load_b128 v[37:40], v16 offset:16
	s_add_u32 s30, s30, 8
	v_add_nc_u32_e32 v16, 32, v16
	v_add_nc_u32_e32 v15, 32, v15
	s_addc_u32 s31, s31, 0
	s_delay_alu instid0(SALU_CYCLE_1)
	s_cmp_lg_u64 s[28:29], s[30:31]
	s_waitcnt lgkmcnt(2)
	v_mul_lo_u32 v17, v25, v29
	v_mul_lo_u32 v18, v26, v30
	v_mul_lo_u32 v25, v27, v31
	v_mul_lo_u32 v26, v28, v32
	s_delay_alu instid0(VALU_DEP_3) | instskip(SKIP_3) | instid1(VALU_DEP_3)
	v_add3_u32 v4, v17, v4, v18
	s_waitcnt lgkmcnt(0)
	v_mul_lo_u32 v17, v37, v33
	v_mul_lo_u32 v18, v38, v34
	v_add3_u32 v4, v25, v4, v26
	v_mul_lo_u32 v25, v39, v35
	v_mul_lo_u32 v26, v40, v36
	s_delay_alu instid0(VALU_DEP_3) | instskip(NEXT) | instid1(VALU_DEP_1)
	v_add3_u32 v4, v17, v4, v18
	v_add3_u32 v4, v25, v4, v26
	s_cbranch_scc1 .LBB69_28
; %bb.29:                               ;   in Loop: Header=BB69_17 Depth=1
	s_set_inst_prefetch_distance 0x2
	s_mov_b64 s[30:31], s[28:29]
	s_and_not1_b32 vcc_lo, exec_lo, s41
	s_cbranch_vccz .LBB69_31
	s_branch .LBB69_34
.LBB69_30:                              ;   in Loop: Header=BB69_17 Depth=1
	s_mov_b64 s[30:31], 0
	s_and_not1_b32 vcc_lo, exec_lo, s41
	s_cbranch_vccnz .LBB69_34
.LBB69_31:                              ;   in Loop: Header=BB69_17 Depth=1
	s_lshl_b32 s30, s30, 2
	s_delay_alu instid0(SALU_CYCLE_1)
	v_add_nc_u32_e32 v17, s30, v22
	v_add_nc_u32_e32 v18, s30, v23
	s_mov_b64 s[30:31], s[18:19]
.LBB69_32:                              ;   Parent Loop BB69_17 Depth=1
                                        ; =>  This Inner Loop Header: Depth=2
	ds_load_b32 v25, v18
	ds_load_b32 v26, v17
	s_add_u32 s30, s30, -1
	s_addc_u32 s31, s31, -1
	v_add_nc_u32_e32 v17, 4, v17
	s_cmp_lg_u64 s[30:31], 0
	s_waitcnt lgkmcnt(0)
	v_mad_u64_u32 v[15:16], null, v26, v25, v[4:5]
	v_mov_b32_e32 v16, v5
	v_add_nc_u32_e32 v18, 4, v18
	s_delay_alu instid0(VALU_DEP_2)
	v_dual_mov_b32 v4, v15 :: v_dual_mov_b32 v5, v16
	s_cbranch_scc1 .LBB69_32
; %bb.33:                               ;   in Loop: Header=BB69_17 Depth=1
	v_dual_mov_b32 v4, v15 :: v_dual_mov_b32 v5, v16
.LBB69_34:                              ;   in Loop: Header=BB69_17 Depth=1
	s_or_b32 exec_lo, exec_lo, s43
	s_and_saveexec_b32 s43, s39
	s_cbranch_execz .LBB69_15
; %bb.35:                               ;   in Loop: Header=BB69_17 Depth=1
	s_and_not1_b32 vcc_lo, exec_lo, s40
	s_cbranch_vccnz .LBB69_39
; %bb.36:                               ;   in Loop: Header=BB69_17 Depth=1
	v_dual_mov_b32 v15, v23 :: v_dual_mov_b32 v16, v24
	s_mov_b64 s[30:31], 0
	s_set_inst_prefetch_distance 0x1
	.p2align	6
.LBB69_37:                              ;   Parent Loop BB69_17 Depth=1
                                        ; =>  This Inner Loop Header: Depth=2
	ds_load_b128 v[25:28], v16
	ds_load_b128 v[29:32], v15
	ds_load_b128 v[33:36], v15 offset:16
	ds_load_b128 v[37:40], v16 offset:16
	s_add_u32 s30, s30, 8
	v_add_nc_u32_e32 v16, 32, v16
	v_add_nc_u32_e32 v15, 32, v15
	s_addc_u32 s31, s31, 0
	s_delay_alu instid0(SALU_CYCLE_1)
	s_cmp_lg_u64 s[28:29], s[30:31]
	s_waitcnt lgkmcnt(2)
	v_mul_lo_u32 v17, v25, v29
	v_mul_lo_u32 v18, v26, v30
	;; [unrolled: 1-line block ×4, first 2 shown]
	s_delay_alu instid0(VALU_DEP_3) | instskip(SKIP_3) | instid1(VALU_DEP_3)
	v_add3_u32 v5, v17, v5, v18
	s_waitcnt lgkmcnt(0)
	v_mul_lo_u32 v17, v37, v33
	v_mul_lo_u32 v18, v38, v34
	v_add3_u32 v5, v25, v5, v26
	v_mul_lo_u32 v25, v39, v35
	v_mul_lo_u32 v26, v40, v36
	s_delay_alu instid0(VALU_DEP_3) | instskip(NEXT) | instid1(VALU_DEP_1)
	v_add3_u32 v5, v17, v5, v18
	v_add3_u32 v5, v25, v5, v26
	s_cbranch_scc1 .LBB69_37
; %bb.38:                               ;   in Loop: Header=BB69_17 Depth=1
	s_set_inst_prefetch_distance 0x2
	s_mov_b64 s[30:31], s[28:29]
	s_and_not1_b32 vcc_lo, exec_lo, s41
	s_cbranch_vccz .LBB69_40
	s_branch .LBB69_15
.LBB69_39:                              ;   in Loop: Header=BB69_17 Depth=1
	s_mov_b64 s[30:31], 0
	s_and_not1_b32 vcc_lo, exec_lo, s41
	s_cbranch_vccnz .LBB69_15
.LBB69_40:                              ;   in Loop: Header=BB69_17 Depth=1
	s_lshl_b32 s30, s30, 2
	s_delay_alu instid0(SALU_CYCLE_1)
	v_add_nc_u32_e32 v15, s30, v24
	v_add_nc_u32_e32 v16, s30, v23
	s_mov_b64 s[30:31], s[18:19]
.LBB69_41:                              ;   Parent Loop BB69_17 Depth=1
                                        ; =>  This Inner Loop Header: Depth=2
	ds_load_b32 v25, v16
	ds_load_b32 v26, v15
	v_add_nc_u32_e32 v15, 4, v15
	s_add_u32 s30, s30, -1
	s_addc_u32 s31, s31, -1
	s_delay_alu instid0(SALU_CYCLE_1) | instskip(SKIP_2) | instid1(VALU_DEP_1)
	s_cmp_lg_u64 s[30:31], 0
	s_waitcnt lgkmcnt(0)
	v_mad_u64_u32 v[17:18], null, v26, v25, v[5:6]
	v_dual_mov_b32 v5, v17 :: v_dual_add_nc_u32 v16, 4, v16
	s_cbranch_scc1 .LBB69_41
	s_branch .LBB69_15
.LBB69_42:
	s_delay_alu instid0(VALU_DEP_1) | instskip(NEXT) | instid1(SALU_CYCLE_1)
	s_and_b32 s2, s35, s2
	s_and_saveexec_b32 s3, s2
	s_cbranch_execz .LBB69_62
; %bb.43:
	v_mad_u64_u32 v[8:9], null, s14, s26, v[6:7]
	s_load_b64 s[2:3], s[0:1], 0x78
	s_cmp_lg_u32 s34, 0
	s_cselect_b32 s4, -1, 0
	s_cmp_lg_u32 s8, 1
	s_cselect_b32 s1, -1, 0
	s_delay_alu instid0(VALU_DEP_1) | instskip(NEXT) | instid1(VALU_DEP_1)
	v_mov_b32_e32 v6, v9
	v_mad_u64_u32 v[9:10], null, s14, s27, v[6:7]
	s_waitcnt lgkmcnt(0)
	v_mul_lo_u32 v10, v8, s3
	v_mad_u64_u32 v[6:7], null, v8, s2, 0
	s_delay_alu instid0(VALU_DEP_3) | instskip(NEXT) | instid1(VALU_DEP_1)
	v_mul_lo_u32 v11, v9, s2
	v_add3_u32 v7, v7, v10, v11
	v_lshlrev_b64 v[10:11], 2, v[8:9]
	s_delay_alu instid0(VALU_DEP_2) | instskip(NEXT) | instid1(VALU_DEP_1)
	v_lshlrev_b64 v[6:7], 2, v[6:7]
	v_add_co_u32 v8, s0, s10, v6
	s_delay_alu instid0(VALU_DEP_1) | instskip(NEXT) | instid1(VALU_DEP_4)
	v_add_co_ci_u32_e64 v9, s0, s11, v7, s0
	v_add_co_u32 v6, s0, s10, v10
	s_delay_alu instid0(VALU_DEP_1)
	v_add_co_ci_u32_e64 v7, s0, s11, v11, s0
	s_mov_b32 s0, exec_lo
	v_cmpx_gt_i64_e64 s[6:7], v[2:3]
	s_cbranch_execz .LBB69_55
; %bb.44:
	s_and_b32 vcc_lo, exec_lo, s4
	s_cbranch_vccz .LBB69_50
; %bb.45:
	s_and_b32 vcc_lo, exec_lo, s1
	s_mov_b32 s5, -1
	s_cbranch_vccz .LBB69_47
; %bb.46:
	v_lshlrev_b64 v[10:11], 2, v[2:3]
	v_mul_lo_u32 v12, v4, s33
	s_mov_b32 s5, 0
	s_delay_alu instid0(VALU_DEP_2) | instskip(NEXT) | instid1(VALU_DEP_3)
	v_add_co_u32 v10, vcc_lo, v8, v10
	v_add_co_ci_u32_e32 v11, vcc_lo, v9, v11, vcc_lo
	global_load_b32 v15, v[10:11], off
	s_waitcnt vmcnt(0)
	v_mad_u64_u32 v[13:14], null, v15, s34, v[12:13]
	global_store_b32 v[10:11], v13, off
.LBB69_47:
	s_and_not1_b32 vcc_lo, exec_lo, s5
	s_cbranch_vccnz .LBB69_49
; %bb.48:
	v_mad_u64_u32 v[10:11], null, v2, s2, 0
	s_delay_alu instid0(VALU_DEP_1) | instskip(NEXT) | instid1(VALU_DEP_1)
	v_mad_u64_u32 v[12:13], null, v2, s3, v[11:12]
	v_mov_b32_e32 v11, v12
	v_mul_lo_u32 v12, v4, s33
	s_delay_alu instid0(VALU_DEP_2) | instskip(NEXT) | instid1(VALU_DEP_1)
	v_lshlrev_b64 v[10:11], 2, v[10:11]
	v_add_co_u32 v10, vcc_lo, v6, v10
	s_delay_alu instid0(VALU_DEP_2)
	v_add_co_ci_u32_e32 v11, vcc_lo, v7, v11, vcc_lo
	global_load_b32 v15, v[10:11], off
	s_waitcnt vmcnt(0)
	v_mad_u64_u32 v[13:14], null, v15, s34, v[12:13]
	global_store_b32 v[10:11], v13, off
.LBB69_49:
	s_cbranch_execz .LBB69_51
	s_branch .LBB69_55
.LBB69_50:
.LBB69_51:
	v_mul_lo_u32 v4, v4, s33
	s_and_b32 vcc_lo, exec_lo, s1
	s_mov_b32 s5, -1
	s_cbranch_vccz .LBB69_53
; %bb.52:
	v_lshlrev_b64 v[10:11], 2, v[2:3]
	s_mov_b32 s5, 0
	s_delay_alu instid0(VALU_DEP_1) | instskip(NEXT) | instid1(VALU_DEP_2)
	v_add_co_u32 v10, vcc_lo, v8, v10
	v_add_co_ci_u32_e32 v11, vcc_lo, v9, v11, vcc_lo
	global_store_b32 v[10:11], v4, off
.LBB69_53:
	s_and_not1_b32 vcc_lo, exec_lo, s5
	s_cbranch_vccnz .LBB69_55
; %bb.54:
	v_mad_u64_u32 v[10:11], null, v2, s2, 0
	s_delay_alu instid0(VALU_DEP_1) | instskip(NEXT) | instid1(VALU_DEP_1)
	v_mov_b32_e32 v3, v11
	v_mad_u64_u32 v[11:12], null, v2, s3, v[3:4]
	s_delay_alu instid0(VALU_DEP_1) | instskip(NEXT) | instid1(VALU_DEP_1)
	v_lshlrev_b64 v[2:3], 2, v[10:11]
	v_add_co_u32 v2, vcc_lo, v6, v2
	s_delay_alu instid0(VALU_DEP_2)
	v_add_co_ci_u32_e32 v3, vcc_lo, v7, v3, vcc_lo
	global_store_b32 v[2:3], v4, off
.LBB69_55:
	s_or_b32 exec_lo, exec_lo, s0
	v_cmp_gt_i64_e32 vcc_lo, s[6:7], v[0:1]
	s_and_b32 exec_lo, exec_lo, vcc_lo
	s_cbranch_execz .LBB69_62
; %bb.56:
	v_cndmask_b32_e64 v2, 0, 1, s1
	s_and_not1_b32 vcc_lo, exec_lo, s4
	s_delay_alu instid0(VALU_DEP_1)
	v_cmp_ne_u32_e64 s0, 1, v2
	s_cbranch_vccnz .LBB69_63
; %bb.57:
	s_delay_alu instid0(VALU_DEP_1)
	s_and_b32 vcc_lo, exec_lo, s0
	s_mov_b32 s0, -1
	s_cbranch_vccnz .LBB69_59
; %bb.58:
	v_lshlrev_b64 v[2:3], 2, v[0:1]
	v_mul_lo_u32 v4, v5, s33
	s_mov_b32 s0, 0
	s_delay_alu instid0(VALU_DEP_2) | instskip(NEXT) | instid1(VALU_DEP_3)
	v_add_co_u32 v2, vcc_lo, v8, v2
	v_add_co_ci_u32_e32 v3, vcc_lo, v9, v3, vcc_lo
	global_load_b32 v12, v[2:3], off
	s_waitcnt vmcnt(0)
	v_mad_u64_u32 v[10:11], null, v12, s34, v[4:5]
	global_store_b32 v[2:3], v10, off
.LBB69_59:
	s_and_not1_b32 vcc_lo, exec_lo, s0
	s_cbranch_vccnz .LBB69_61
; %bb.60:
	v_mad_u64_u32 v[2:3], null, v0, s2, 0
	s_delay_alu instid0(VALU_DEP_1) | instskip(SKIP_1) | instid1(VALU_DEP_2)
	v_mad_u64_u32 v[10:11], null, v0, s3, v[3:4]
	v_mul_lo_u32 v4, v5, s33
	v_mov_b32_e32 v3, v10
	s_delay_alu instid0(VALU_DEP_1) | instskip(NEXT) | instid1(VALU_DEP_1)
	v_lshlrev_b64 v[2:3], 2, v[2:3]
	v_add_co_u32 v2, vcc_lo, v6, v2
	s_delay_alu instid0(VALU_DEP_2)
	v_add_co_ci_u32_e32 v3, vcc_lo, v7, v3, vcc_lo
	global_load_b32 v12, v[2:3], off
	s_waitcnt vmcnt(0)
	v_mad_u64_u32 v[10:11], null, v12, s34, v[4:5]
	global_store_b32 v[2:3], v10, off
.LBB69_61:
	s_cbranch_execz .LBB69_64
.LBB69_62:
	s_nop 0
	s_sendmsg sendmsg(MSG_DEALLOC_VGPRS)
	s_endpgm
.LBB69_63:
.LBB69_64:
	v_mul_lo_u32 v2, v5, s33
	s_and_not1_b32 vcc_lo, exec_lo, s1
	s_mov_b32 s0, -1
	s_cbranch_vccnz .LBB69_66
; %bb.65:
	v_lshlrev_b64 v[3:4], 2, v[0:1]
	s_mov_b32 s0, 0
	s_delay_alu instid0(VALU_DEP_1) | instskip(NEXT) | instid1(VALU_DEP_2)
	v_add_co_u32 v3, vcc_lo, v8, v3
	v_add_co_ci_u32_e32 v4, vcc_lo, v9, v4, vcc_lo
	global_store_b32 v[3:4], v2, off
.LBB69_66:
	s_and_not1_b32 vcc_lo, exec_lo, s0
	s_cbranch_vccnz .LBB69_62
; %bb.67:
	v_mad_u64_u32 v[3:4], null, v0, s2, 0
	s_delay_alu instid0(VALU_DEP_1) | instskip(NEXT) | instid1(VALU_DEP_1)
	v_mov_b32_e32 v1, v4
	v_mad_u64_u32 v[4:5], null, v0, s3, v[1:2]
	s_delay_alu instid0(VALU_DEP_1) | instskip(NEXT) | instid1(VALU_DEP_1)
	v_lshlrev_b64 v[0:1], 2, v[3:4]
	v_add_co_u32 v0, vcc_lo, v6, v0
	s_delay_alu instid0(VALU_DEP_2)
	v_add_co_ci_u32_e32 v1, vcc_lo, v7, v1, vcc_lo
	global_store_b32 v[0:1], v2, off
	s_nop 0
	s_sendmsg sendmsg(MSG_DEALLOC_VGPRS)
	s_endpgm
	.section	.rodata,"a",@progbits
	.p2align	6, 0x0
	.amdhsa_kernel _ZN9rocsparseL31bsrmm_large_blockdim_kernel_extILj4ELj16ELj2EllaaiiEEvb20rocsparse_direction_T3_S2_llNS_24const_host_device_scalarIT7_EEPKT2_PKS2_PKT4_S2_PKT5_llS5_PT6_ll16rocsparse_order_21rocsparse_index_base_b
		.amdhsa_group_segment_fixed_size 576
		.amdhsa_private_segment_fixed_size 0
		.amdhsa_kernarg_size 148
		.amdhsa_user_sgpr_count 14
		.amdhsa_user_sgpr_dispatch_ptr 0
		.amdhsa_user_sgpr_queue_ptr 0
		.amdhsa_user_sgpr_kernarg_segment_ptr 1
		.amdhsa_user_sgpr_dispatch_id 0
		.amdhsa_user_sgpr_private_segment_size 0
		.amdhsa_wavefront_size32 1
		.amdhsa_uses_dynamic_stack 0
		.amdhsa_enable_private_segment 0
		.amdhsa_system_sgpr_workgroup_id_x 1
		.amdhsa_system_sgpr_workgroup_id_y 1
		.amdhsa_system_sgpr_workgroup_id_z 0
		.amdhsa_system_sgpr_workgroup_info 0
		.amdhsa_system_vgpr_workitem_id 1
		.amdhsa_next_free_vgpr 41
		.amdhsa_next_free_sgpr 44
		.amdhsa_reserve_vcc 1
		.amdhsa_float_round_mode_32 0
		.amdhsa_float_round_mode_16_64 0
		.amdhsa_float_denorm_mode_32 3
		.amdhsa_float_denorm_mode_16_64 3
		.amdhsa_dx10_clamp 1
		.amdhsa_ieee_mode 1
		.amdhsa_fp16_overflow 0
		.amdhsa_workgroup_processor_mode 1
		.amdhsa_memory_ordered 1
		.amdhsa_forward_progress 0
		.amdhsa_shared_vgpr_count 0
		.amdhsa_exception_fp_ieee_invalid_op 0
		.amdhsa_exception_fp_denorm_src 0
		.amdhsa_exception_fp_ieee_div_zero 0
		.amdhsa_exception_fp_ieee_overflow 0
		.amdhsa_exception_fp_ieee_underflow 0
		.amdhsa_exception_fp_ieee_inexact 0
		.amdhsa_exception_int_div_zero 0
	.end_amdhsa_kernel
	.section	.text._ZN9rocsparseL31bsrmm_large_blockdim_kernel_extILj4ELj16ELj2EllaaiiEEvb20rocsparse_direction_T3_S2_llNS_24const_host_device_scalarIT7_EEPKT2_PKS2_PKT4_S2_PKT5_llS5_PT6_ll16rocsparse_order_21rocsparse_index_base_b,"axG",@progbits,_ZN9rocsparseL31bsrmm_large_blockdim_kernel_extILj4ELj16ELj2EllaaiiEEvb20rocsparse_direction_T3_S2_llNS_24const_host_device_scalarIT7_EEPKT2_PKS2_PKT4_S2_PKT5_llS5_PT6_ll16rocsparse_order_21rocsparse_index_base_b,comdat
.Lfunc_end69:
	.size	_ZN9rocsparseL31bsrmm_large_blockdim_kernel_extILj4ELj16ELj2EllaaiiEEvb20rocsparse_direction_T3_S2_llNS_24const_host_device_scalarIT7_EEPKT2_PKS2_PKT4_S2_PKT5_llS5_PT6_ll16rocsparse_order_21rocsparse_index_base_b, .Lfunc_end69-_ZN9rocsparseL31bsrmm_large_blockdim_kernel_extILj4ELj16ELj2EllaaiiEEvb20rocsparse_direction_T3_S2_llNS_24const_host_device_scalarIT7_EEPKT2_PKS2_PKT4_S2_PKT5_llS5_PT6_ll16rocsparse_order_21rocsparse_index_base_b
                                        ; -- End function
	.section	.AMDGPU.csdata,"",@progbits
; Kernel info:
; codeLenInByte = 2752
; NumSgprs: 46
; NumVgprs: 41
; ScratchSize: 0
; MemoryBound: 0
; FloatMode: 240
; IeeeMode: 1
; LDSByteSize: 576 bytes/workgroup (compile time only)
; SGPRBlocks: 5
; VGPRBlocks: 5
; NumSGPRsForWavesPerEU: 46
; NumVGPRsForWavesPerEU: 41
; Occupancy: 16
; WaveLimiterHint : 1
; COMPUTE_PGM_RSRC2:SCRATCH_EN: 0
; COMPUTE_PGM_RSRC2:USER_SGPR: 14
; COMPUTE_PGM_RSRC2:TRAP_HANDLER: 0
; COMPUTE_PGM_RSRC2:TGID_X_EN: 1
; COMPUTE_PGM_RSRC2:TGID_Y_EN: 1
; COMPUTE_PGM_RSRC2:TGID_Z_EN: 0
; COMPUTE_PGM_RSRC2:TIDIG_COMP_CNT: 1
	.section	.text._ZN9rocsparseL31bsrmm_large_blockdim_kernel_extILj16ELj16ELj2EllaaiiEEvb20rocsparse_direction_T3_S2_llNS_24const_host_device_scalarIT7_EEPKT2_PKS2_PKT4_S2_PKT5_llS5_PT6_ll16rocsparse_order_21rocsparse_index_base_b,"axG",@progbits,_ZN9rocsparseL31bsrmm_large_blockdim_kernel_extILj16ELj16ELj2EllaaiiEEvb20rocsparse_direction_T3_S2_llNS_24const_host_device_scalarIT7_EEPKT2_PKS2_PKT4_S2_PKT5_llS5_PT6_ll16rocsparse_order_21rocsparse_index_base_b,comdat
	.globl	_ZN9rocsparseL31bsrmm_large_blockdim_kernel_extILj16ELj16ELj2EllaaiiEEvb20rocsparse_direction_T3_S2_llNS_24const_host_device_scalarIT7_EEPKT2_PKS2_PKT4_S2_PKT5_llS5_PT6_ll16rocsparse_order_21rocsparse_index_base_b ; -- Begin function _ZN9rocsparseL31bsrmm_large_blockdim_kernel_extILj16ELj16ELj2EllaaiiEEvb20rocsparse_direction_T3_S2_llNS_24const_host_device_scalarIT7_EEPKT2_PKS2_PKT4_S2_PKT5_llS5_PT6_ll16rocsparse_order_21rocsparse_index_base_b
	.p2align	8
	.type	_ZN9rocsparseL31bsrmm_large_blockdim_kernel_extILj16ELj16ELj2EllaaiiEEvb20rocsparse_direction_T3_S2_llNS_24const_host_device_scalarIT7_EEPKT2_PKS2_PKT4_S2_PKT5_llS5_PT6_ll16rocsparse_order_21rocsparse_index_base_b,@function
_ZN9rocsparseL31bsrmm_large_blockdim_kernel_extILj16ELj16ELj2EllaaiiEEvb20rocsparse_direction_T3_S2_llNS_24const_host_device_scalarIT7_EEPKT2_PKS2_PKT4_S2_PKT5_llS5_PT6_ll16rocsparse_order_21rocsparse_index_base_b: ; @_ZN9rocsparseL31bsrmm_large_blockdim_kernel_extILj16ELj16ELj2EllaaiiEEvb20rocsparse_direction_T3_S2_llNS_24const_host_device_scalarIT7_EEPKT2_PKS2_PKT4_S2_PKT5_llS5_PT6_ll16rocsparse_order_21rocsparse_index_base_b
; %bb.0:
	s_clause 0x1
	s_load_b128 s[8:11], s[0:1], 0x88
	s_load_b64 s[6:7], s[0:1], 0x28
	s_mov_b32 s2, s15
                                        ; implicit-def: $sgpr33
	s_waitcnt lgkmcnt(0)
	s_bitcmp1_b32 s10, 0
	s_mov_b32 s10, -1
	s_cselect_b32 s3, -1, 0
	s_delay_alu instid0(SALU_CYCLE_1) | instskip(NEXT) | instid1(SALU_CYCLE_1)
	s_xor_b32 s3, s3, -1
	s_and_b32 vcc_lo, exec_lo, s3
	s_cbranch_vccnz .LBB70_4
; %bb.1:
	s_load_b64 s[4:5], s[0:1], 0x68
	s_and_not1_b32 vcc_lo, exec_lo, s10
	s_cbranch_vccz .LBB70_5
.LBB70_2:
	s_and_b32 vcc_lo, exec_lo, s3
	s_cbranch_vccz .LBB70_6
.LBB70_3:
	s_waitcnt lgkmcnt(0)
	s_load_b32 s34, s[4:5], 0x0
	s_cbranch_execz .LBB70_7
	s_branch .LBB70_8
.LBB70_4:
	s_load_b32 s33, s[6:7], 0x0
	s_load_b64 s[4:5], s[0:1], 0x68
	s_cbranch_execnz .LBB70_2
.LBB70_5:
	s_waitcnt lgkmcnt(0)
	s_mov_b32 s33, s6
	s_and_b32 vcc_lo, exec_lo, s3
	s_cbranch_vccnz .LBB70_3
.LBB70_6:
                                        ; implicit-def: $sgpr34
.LBB70_7:
	s_waitcnt lgkmcnt(0)
	s_mov_b32 s34, s4
.LBB70_8:
	s_waitcnt lgkmcnt(0)
	s_cmp_eq_u32 s33, 0
	s_cselect_b32 s3, -1, 0
	s_cmp_eq_u32 s34, 1
	s_cselect_b32 s4, -1, 0
	s_delay_alu instid0(SALU_CYCLE_1) | instskip(NEXT) | instid1(SALU_CYCLE_1)
	s_and_b32 s3, s3, s4
	s_and_b32 vcc_lo, exec_lo, s3
	s_cbranch_vccnz .LBB70_62
; %bb.9:
	s_clause 0x1
	s_load_b128 s[4:7], s[0:1], 0x8
	s_load_b64 s[10:11], s[0:1], 0x30
	s_ashr_i32 s15, s14, 31
	s_mov_b64 s[12:13], 0
	s_mov_b64 s[24:25], 0
	s_waitcnt lgkmcnt(0)
	v_cmp_ge_i64_e64 s3, s[14:15], s[4:5]
	v_cmp_lt_i64_e64 s35, s[14:15], s[4:5]
	s_delay_alu instid0(VALU_DEP_2)
	s_and_b32 vcc_lo, exec_lo, s3
	s_cbranch_vccnz .LBB70_11
; %bb.10:
	s_lshl_b64 s[4:5], s[14:15], 3
	s_delay_alu instid0(SALU_CYCLE_1)
	s_add_u32 s4, s10, s4
	s_addc_u32 s5, s11, s5
	s_load_b64 s[4:5], s[4:5], 0x0
	s_waitcnt lgkmcnt(0)
	s_sub_u32 s24, s4, s9
	s_subb_u32 s25, s5, 0
.LBB70_11:
	s_delay_alu instid0(VALU_DEP_1)
	s_and_not1_b32 vcc_lo, exec_lo, s35
	s_cbranch_vccnz .LBB70_13
; %bb.12:
	s_lshl_b64 s[4:5], s[14:15], 3
	s_delay_alu instid0(SALU_CYCLE_1)
	s_add_u32 s4, s10, s4
	s_addc_u32 s5, s11, s5
	s_load_b64 s[4:5], s[4:5], 0x8
	s_waitcnt lgkmcnt(0)
	s_sub_u32 s12, s4, s9
	s_subb_u32 s13, s5, 0
.LBB70_13:
	s_clause 0x1
	s_load_b64 s[26:27], s[0:1], 0x48
	s_load_b64 s[10:11], s[0:1], 0x70
	v_bfe_u32 v15, v0, 10, 10
	v_dual_mov_b32 v3, 0 :: v_dual_and_b32 v6, 0x3ff, v0
	s_mov_b32 s30, 0
	s_delay_alu instid0(VALU_DEP_2) | instskip(SKIP_1) | instid1(VALU_DEP_3)
	v_lshl_add_u32 v2, s2, 5, v15
	v_cmp_ge_i64_e64 s2, s[24:25], s[12:13]
	v_mov_b32_e32 v1, v3
	s_mov_b32 s31, s30
	v_dual_mov_b32 v7, v3 :: v_dual_mov_b32 v4, s30
	v_add_nc_u32_e32 v0, 16, v2
	s_delay_alu instid0(VALU_DEP_4) | instskip(SKIP_2) | instid1(VALU_DEP_3)
	s_and_b32 vcc_lo, exec_lo, s2
	v_cmp_gt_i64_e64 s3, s[6:7], v[2:3]
	v_mov_b32_e32 v5, s31
	v_cmp_gt_i64_e64 s4, s[6:7], v[0:1]
	s_waitcnt lgkmcnt(0)
	v_cmp_gt_i64_e64 s2, s[26:27], v[6:7]
	s_cbranch_vccnz .LBB70_42
; %bb.14:
	s_clause 0x2
	s_load_b64 s[28:29], s[0:1], 0x0
	s_load_b128 s[16:19], s[0:1], 0x38
	s_load_b128 s[20:23], s[0:1], 0x50
	v_dual_mov_b32 v16, v3 :: v_dual_lshlrev_b32 v23, 4, v15
	v_lshl_add_u32 v4, v6, 4, v15
	s_mul_i32 s5, s26, s27
	s_mul_hi_u32 s36, s26, s26
	s_delay_alu instid0(VALU_DEP_2)
	v_cmp_gt_i64_e32 vcc_lo, s[26:27], v[15:16]
	s_add_i32 s36, s36, s5
	v_lshl_add_u32 v19, v4, 2, 0x800
	s_add_i32 s36, s36, s5
	s_mul_i32 s15, s26, s26
	s_and_b32 s37, s2, vcc_lo
	s_waitcnt lgkmcnt(0)
	s_bitcmp1_b32 s28, 0
	v_mad_u64_u32 v[16:17], null, v6, s26, s[18:19]
	v_mad_u64_u32 v[4:5], null, v15, s26, s[18:19]
	;; [unrolled: 1-line block ×4, first 2 shown]
	s_delay_alu instid0(VALU_DEP_4) | instskip(SKIP_3) | instid1(VALU_DEP_4)
	v_mov_b32_e32 v14, v17
	v_add_co_u32 v10, s5, s20, v6
	v_mad_u64_u32 v[17:18], null, v15, s27, v[5:6]
	v_mov_b32_e32 v5, v13
	v_mad_u64_u32 v[20:21], null, v6, s27, v[14:15]
	s_delay_alu instid0(VALU_DEP_4) | instskip(NEXT) | instid1(VALU_DEP_3)
	v_mad_u64_u32 v[13:14], null, v2, s23, v[9:10]
	v_mad_u64_u32 v[21:22], null, v0, s23, v[5:6]
	v_dual_mov_b32 v5, v17 :: v_dual_lshlrev_b32 v22, 6, v15
	s_delay_alu instid0(VALU_DEP_4) | instskip(SKIP_1) | instid1(VALU_DEP_3)
	v_mov_b32_e32 v9, v20
	v_add_co_u32 v4, vcc_lo, v4, v6
	v_add_nc_u32_e32 v24, 0x400, v22
	v_cmp_gt_i64_e64 s18, s[26:27], 0
	v_add_co_ci_u32_e32 v5, vcc_lo, 0, v5, vcc_lo
	v_add_co_u32 v16, vcc_lo, v16, v15
	v_add_co_ci_u32_e64 v11, null, s21, 0, s5
	s_cselect_b32 s5, -1, 0
	s_cmp_eq_u32 s29, 0
	v_add_co_ci_u32_e32 v14, vcc_lo, 0, v9, vcc_lo
	s_cselect_b32 vcc_lo, -1, 0
	s_and_b32 s38, s3, s18
	s_and_b32 s39, s4, s18
	s_add_u32 s40, s26, -1
	s_addc_u32 s41, s27, -1
	v_dual_mov_b32 v20, v13 :: v_dual_cndmask_b32 v13, v4, v16
	v_cndmask_b32_e32 v14, v5, v14, vcc_lo
	s_and_b32 s18, s26, 7
	s_mov_b32 s19, s30
	v_dual_mov_b32 v4, s30 :: v_dual_mov_b32 v5, s31
	v_cmp_gt_u64_e64 s40, s[40:41], 6
	v_add_lshl_u32 v9, v23, v6, 2
	s_and_b32 s29, s27, 0x7fffffff
	s_and_b32 s28, s26, -8
	v_lshl_add_u32 v23, v6, 6, 0x800
	s_cmp_lg_u64 s[18:19], 0
	s_cselect_b32 s41, -1, 0
	s_branch .LBB70_17
.LBB70_15:                              ;   in Loop: Header=BB70_17 Depth=1
	s_or_b32 exec_lo, exec_lo, s43
.LBB70_16:                              ;   in Loop: Header=BB70_17 Depth=1
	s_delay_alu instid0(SALU_CYCLE_1) | instskip(SKIP_2) | instid1(SALU_CYCLE_1)
	s_or_b32 exec_lo, exec_lo, s42
	s_add_u32 s24, s24, 1
	s_addc_u32 s25, s25, 0
	v_cmp_ge_i64_e64 s30, s[24:25], s[12:13]
	s_barrier
	buffer_gl0_inv
	s_and_b32 vcc_lo, exec_lo, s30
	s_cbranch_vccnz .LBB70_42
.LBB70_17:                              ; =>This Loop Header: Depth=1
                                        ;     Child Loop BB70_28 Depth 2
                                        ;     Child Loop BB70_32 Depth 2
	;; [unrolled: 1-line block ×4, first 2 shown]
	s_and_saveexec_b32 s30, s2
	s_cbranch_execz .LBB70_22
; %bb.18:                               ;   in Loop: Header=BB70_17 Depth=1
	s_lshl_b64 s[42:43], s[24:25], 3
	s_delay_alu instid0(SALU_CYCLE_1)
	s_add_u32 s42, s16, s42
	s_addc_u32 s43, s17, s43
	s_load_b64 s[42:43], s[42:43], 0x0
	s_waitcnt lgkmcnt(0)
	s_sub_u32 s31, s42, s9
	s_subb_u32 s42, s43, 0
	v_mad_u64_u32 v[17:18], null, s31, s26, v[6:7]
	s_mul_i32 s43, s31, s27
	s_mul_i32 s42, s42, s26
	s_delay_alu instid0(SALU_CYCLE_1)
	s_add_i32 s43, s43, s42
	s_delay_alu instid0(VALU_DEP_1) | instid1(SALU_CYCLE_1)
	v_add_nc_u32_e32 v18, s43, v18
	s_delay_alu instid0(VALU_DEP_2) | instskip(SKIP_1) | instid1(VALU_DEP_3)
	v_mul_lo_u32 v25, v17, s23
	v_mad_u64_u32 v[15:16], null, v17, s22, s[20:21]
	v_mul_lo_u32 v26, v18, s22
	v_mad_u64_u32 v[17:18], null, s31, s26, v[10:11]
	s_delay_alu instid0(VALU_DEP_2) | instskip(NEXT) | instid1(VALU_DEP_2)
	v_add3_u32 v16, v26, v16, v25
	v_add_nc_u32_e32 v18, s43, v18
	s_and_saveexec_b32 s31, s3
	s_cbranch_execz .LBB70_20
; %bb.19:                               ;   in Loop: Header=BB70_17 Depth=1
	s_delay_alu instid0(VALU_DEP_3) | instskip(NEXT) | instid1(VALU_DEP_2)
	v_add_co_u32 v25, vcc_lo, v17, v8
	v_add_co_ci_u32_e32 v26, vcc_lo, v18, v20, vcc_lo
	v_add_co_u32 v27, vcc_lo, v15, v2
	v_add_co_ci_u32_e32 v28, vcc_lo, 0, v16, vcc_lo
	s_delay_alu instid0(VALU_DEP_2) | instskip(NEXT) | instid1(VALU_DEP_2)
	v_cndmask_b32_e64 v25, v27, v25, s5
	v_cndmask_b32_e64 v26, v28, v26, s5
	global_load_i8 v25, v[25:26], off
	s_waitcnt vmcnt(0)
	ds_store_b32 v9, v25
.LBB70_20:                              ;   in Loop: Header=BB70_17 Depth=1
	s_or_b32 exec_lo, exec_lo, s31
	s_delay_alu instid0(SALU_CYCLE_1)
	s_and_b32 exec_lo, exec_lo, s4
	s_cbranch_execz .LBB70_22
; %bb.21:                               ;   in Loop: Header=BB70_17 Depth=1
	v_add_co_u32 v17, vcc_lo, v17, v12
	v_add_co_ci_u32_e32 v18, vcc_lo, v18, v21, vcc_lo
	v_add_co_u32 v15, vcc_lo, v15, v0
	v_add_co_ci_u32_e32 v16, vcc_lo, 0, v16, vcc_lo
	s_delay_alu instid0(VALU_DEP_2) | instskip(NEXT) | instid1(VALU_DEP_2)
	v_cndmask_b32_e64 v15, v15, v17, s5
	v_cndmask_b32_e64 v16, v16, v18, s5
	global_load_i8 v15, v[15:16], off
	s_waitcnt vmcnt(0)
	ds_store_b32 v9, v15 offset:1024
.LBB70_22:                              ;   in Loop: Header=BB70_17 Depth=1
	s_or_b32 exec_lo, exec_lo, s30
	s_and_saveexec_b32 s30, s37
	s_cbranch_execz .LBB70_24
; %bb.23:                               ;   in Loop: Header=BB70_17 Depth=1
	v_mad_u64_u32 v[15:16], null, s15, s24, v[13:14]
	s_mul_i32 s31, s36, s24
	s_mul_i32 s42, s15, s25
	s_delay_alu instid0(VALU_DEP_1) | instid1(SALU_CYCLE_1)
	v_add3_u32 v16, s42, s31, v16
	global_load_i8 v15, v[15:16], off
	s_waitcnt vmcnt(0)
	ds_store_b32 v19, v15
.LBB70_24:                              ;   in Loop: Header=BB70_17 Depth=1
	s_or_b32 exec_lo, exec_lo, s30
	s_waitcnt lgkmcnt(0)
	s_barrier
	buffer_gl0_inv
	s_and_saveexec_b32 s42, s2
	s_cbranch_execz .LBB70_16
; %bb.25:                               ;   in Loop: Header=BB70_17 Depth=1
	s_and_saveexec_b32 s43, s38
	s_cbranch_execz .LBB70_34
; %bb.26:                               ;   in Loop: Header=BB70_17 Depth=1
	s_and_not1_b32 vcc_lo, exec_lo, s40
	s_cbranch_vccnz .LBB70_30
; %bb.27:                               ;   in Loop: Header=BB70_17 Depth=1
	v_dual_mov_b32 v15, v23 :: v_dual_mov_b32 v16, v22
	s_mov_b64 s[30:31], 0
	s_set_inst_prefetch_distance 0x1
	.p2align	6
.LBB70_28:                              ;   Parent Loop BB70_17 Depth=1
                                        ; =>  This Inner Loop Header: Depth=2
	ds_load_b128 v[25:28], v16
	ds_load_b128 v[29:32], v15
	ds_load_b128 v[33:36], v15 offset:16
	ds_load_b128 v[37:40], v16 offset:16
	s_add_u32 s30, s30, 8
	v_add_nc_u32_e32 v16, 32, v16
	v_add_nc_u32_e32 v15, 32, v15
	s_addc_u32 s31, s31, 0
	s_delay_alu instid0(SALU_CYCLE_1)
	s_cmp_lg_u64 s[28:29], s[30:31]
	s_waitcnt lgkmcnt(2)
	v_mul_lo_u32 v17, v25, v29
	v_mul_lo_u32 v18, v26, v30
	;; [unrolled: 1-line block ×4, first 2 shown]
	s_delay_alu instid0(VALU_DEP_3) | instskip(SKIP_3) | instid1(VALU_DEP_3)
	v_add3_u32 v4, v17, v4, v18
	s_waitcnt lgkmcnt(0)
	v_mul_lo_u32 v17, v37, v33
	v_mul_lo_u32 v18, v38, v34
	v_add3_u32 v4, v25, v4, v26
	v_mul_lo_u32 v25, v39, v35
	v_mul_lo_u32 v26, v40, v36
	s_delay_alu instid0(VALU_DEP_3) | instskip(NEXT) | instid1(VALU_DEP_1)
	v_add3_u32 v4, v17, v4, v18
	v_add3_u32 v4, v25, v4, v26
	s_cbranch_scc1 .LBB70_28
; %bb.29:                               ;   in Loop: Header=BB70_17 Depth=1
	s_set_inst_prefetch_distance 0x2
	s_mov_b64 s[30:31], s[28:29]
	s_and_not1_b32 vcc_lo, exec_lo, s41
	s_cbranch_vccz .LBB70_31
	s_branch .LBB70_34
.LBB70_30:                              ;   in Loop: Header=BB70_17 Depth=1
	s_mov_b64 s[30:31], 0
	s_and_not1_b32 vcc_lo, exec_lo, s41
	s_cbranch_vccnz .LBB70_34
.LBB70_31:                              ;   in Loop: Header=BB70_17 Depth=1
	s_lshl_b32 s30, s30, 2
	s_delay_alu instid0(SALU_CYCLE_1)
	v_add_nc_u32_e32 v17, s30, v22
	v_add_nc_u32_e32 v18, s30, v23
	s_mov_b64 s[30:31], s[18:19]
.LBB70_32:                              ;   Parent Loop BB70_17 Depth=1
                                        ; =>  This Inner Loop Header: Depth=2
	ds_load_b32 v25, v18
	ds_load_b32 v26, v17
	s_add_u32 s30, s30, -1
	s_addc_u32 s31, s31, -1
	v_add_nc_u32_e32 v17, 4, v17
	s_cmp_lg_u64 s[30:31], 0
	s_waitcnt lgkmcnt(0)
	v_mad_u64_u32 v[15:16], null, v26, v25, v[4:5]
	v_mov_b32_e32 v16, v5
	v_add_nc_u32_e32 v18, 4, v18
	s_delay_alu instid0(VALU_DEP_2)
	v_dual_mov_b32 v4, v15 :: v_dual_mov_b32 v5, v16
	s_cbranch_scc1 .LBB70_32
; %bb.33:                               ;   in Loop: Header=BB70_17 Depth=1
	v_dual_mov_b32 v4, v15 :: v_dual_mov_b32 v5, v16
.LBB70_34:                              ;   in Loop: Header=BB70_17 Depth=1
	s_or_b32 exec_lo, exec_lo, s43
	s_and_saveexec_b32 s43, s39
	s_cbranch_execz .LBB70_15
; %bb.35:                               ;   in Loop: Header=BB70_17 Depth=1
	s_and_not1_b32 vcc_lo, exec_lo, s40
	s_cbranch_vccnz .LBB70_39
; %bb.36:                               ;   in Loop: Header=BB70_17 Depth=1
	v_dual_mov_b32 v15, v23 :: v_dual_mov_b32 v16, v24
	s_mov_b64 s[30:31], 0
	s_set_inst_prefetch_distance 0x1
	.p2align	6
.LBB70_37:                              ;   Parent Loop BB70_17 Depth=1
                                        ; =>  This Inner Loop Header: Depth=2
	ds_load_b128 v[25:28], v16
	ds_load_b128 v[29:32], v15
	ds_load_b128 v[33:36], v15 offset:16
	ds_load_b128 v[37:40], v16 offset:16
	s_add_u32 s30, s30, 8
	v_add_nc_u32_e32 v16, 32, v16
	v_add_nc_u32_e32 v15, 32, v15
	s_addc_u32 s31, s31, 0
	s_delay_alu instid0(SALU_CYCLE_1)
	s_cmp_lg_u64 s[28:29], s[30:31]
	s_waitcnt lgkmcnt(2)
	v_mul_lo_u32 v17, v25, v29
	v_mul_lo_u32 v18, v26, v30
	;; [unrolled: 1-line block ×4, first 2 shown]
	s_delay_alu instid0(VALU_DEP_3) | instskip(SKIP_3) | instid1(VALU_DEP_3)
	v_add3_u32 v5, v17, v5, v18
	s_waitcnt lgkmcnt(0)
	v_mul_lo_u32 v17, v37, v33
	v_mul_lo_u32 v18, v38, v34
	v_add3_u32 v5, v25, v5, v26
	v_mul_lo_u32 v25, v39, v35
	v_mul_lo_u32 v26, v40, v36
	s_delay_alu instid0(VALU_DEP_3) | instskip(NEXT) | instid1(VALU_DEP_1)
	v_add3_u32 v5, v17, v5, v18
	v_add3_u32 v5, v25, v5, v26
	s_cbranch_scc1 .LBB70_37
; %bb.38:                               ;   in Loop: Header=BB70_17 Depth=1
	s_set_inst_prefetch_distance 0x2
	s_mov_b64 s[30:31], s[28:29]
	s_and_not1_b32 vcc_lo, exec_lo, s41
	s_cbranch_vccz .LBB70_40
	s_branch .LBB70_15
.LBB70_39:                              ;   in Loop: Header=BB70_17 Depth=1
	s_mov_b64 s[30:31], 0
	s_and_not1_b32 vcc_lo, exec_lo, s41
	s_cbranch_vccnz .LBB70_15
.LBB70_40:                              ;   in Loop: Header=BB70_17 Depth=1
	s_lshl_b32 s30, s30, 2
	s_delay_alu instid0(SALU_CYCLE_1)
	v_add_nc_u32_e32 v15, s30, v24
	v_add_nc_u32_e32 v16, s30, v23
	s_mov_b64 s[30:31], s[18:19]
.LBB70_41:                              ;   Parent Loop BB70_17 Depth=1
                                        ; =>  This Inner Loop Header: Depth=2
	ds_load_b32 v25, v16
	ds_load_b32 v26, v15
	v_add_nc_u32_e32 v15, 4, v15
	s_add_u32 s30, s30, -1
	s_addc_u32 s31, s31, -1
	s_delay_alu instid0(SALU_CYCLE_1) | instskip(SKIP_2) | instid1(VALU_DEP_1)
	s_cmp_lg_u64 s[30:31], 0
	s_waitcnt lgkmcnt(0)
	v_mad_u64_u32 v[17:18], null, v26, v25, v[5:6]
	v_dual_mov_b32 v5, v17 :: v_dual_add_nc_u32 v16, 4, v16
	s_cbranch_scc1 .LBB70_41
	s_branch .LBB70_15
.LBB70_42:
	s_delay_alu instid0(VALU_DEP_1) | instskip(NEXT) | instid1(SALU_CYCLE_1)
	s_and_b32 s2, s35, s2
	s_and_saveexec_b32 s3, s2
	s_cbranch_execz .LBB70_62
; %bb.43:
	v_mad_u64_u32 v[8:9], null, s14, s26, v[6:7]
	s_load_b64 s[2:3], s[0:1], 0x78
	s_cmp_lg_u32 s34, 0
	s_cselect_b32 s4, -1, 0
	s_cmp_lg_u32 s8, 1
	s_cselect_b32 s1, -1, 0
	s_delay_alu instid0(VALU_DEP_1) | instskip(NEXT) | instid1(VALU_DEP_1)
	v_mov_b32_e32 v6, v9
	v_mad_u64_u32 v[9:10], null, s14, s27, v[6:7]
	s_waitcnt lgkmcnt(0)
	v_mul_lo_u32 v10, v8, s3
	v_mad_u64_u32 v[6:7], null, v8, s2, 0
	s_delay_alu instid0(VALU_DEP_3) | instskip(NEXT) | instid1(VALU_DEP_1)
	v_mul_lo_u32 v11, v9, s2
	v_add3_u32 v7, v7, v10, v11
	v_lshlrev_b64 v[10:11], 2, v[8:9]
	s_delay_alu instid0(VALU_DEP_2) | instskip(NEXT) | instid1(VALU_DEP_1)
	v_lshlrev_b64 v[6:7], 2, v[6:7]
	v_add_co_u32 v8, s0, s10, v6
	s_delay_alu instid0(VALU_DEP_1) | instskip(NEXT) | instid1(VALU_DEP_4)
	v_add_co_ci_u32_e64 v9, s0, s11, v7, s0
	v_add_co_u32 v6, s0, s10, v10
	s_delay_alu instid0(VALU_DEP_1)
	v_add_co_ci_u32_e64 v7, s0, s11, v11, s0
	s_mov_b32 s0, exec_lo
	v_cmpx_gt_i64_e64 s[6:7], v[2:3]
	s_cbranch_execz .LBB70_55
; %bb.44:
	s_and_b32 vcc_lo, exec_lo, s4
	s_cbranch_vccz .LBB70_50
; %bb.45:
	s_and_b32 vcc_lo, exec_lo, s1
	s_mov_b32 s5, -1
	s_cbranch_vccz .LBB70_47
; %bb.46:
	v_lshlrev_b64 v[10:11], 2, v[2:3]
	v_mul_lo_u32 v12, v4, s33
	s_mov_b32 s5, 0
	s_delay_alu instid0(VALU_DEP_2) | instskip(NEXT) | instid1(VALU_DEP_3)
	v_add_co_u32 v10, vcc_lo, v8, v10
	v_add_co_ci_u32_e32 v11, vcc_lo, v9, v11, vcc_lo
	global_load_b32 v15, v[10:11], off
	s_waitcnt vmcnt(0)
	v_mad_u64_u32 v[13:14], null, v15, s34, v[12:13]
	global_store_b32 v[10:11], v13, off
.LBB70_47:
	s_and_not1_b32 vcc_lo, exec_lo, s5
	s_cbranch_vccnz .LBB70_49
; %bb.48:
	v_mad_u64_u32 v[10:11], null, v2, s2, 0
	s_delay_alu instid0(VALU_DEP_1) | instskip(NEXT) | instid1(VALU_DEP_1)
	v_mad_u64_u32 v[12:13], null, v2, s3, v[11:12]
	v_mov_b32_e32 v11, v12
	v_mul_lo_u32 v12, v4, s33
	s_delay_alu instid0(VALU_DEP_2) | instskip(NEXT) | instid1(VALU_DEP_1)
	v_lshlrev_b64 v[10:11], 2, v[10:11]
	v_add_co_u32 v10, vcc_lo, v6, v10
	s_delay_alu instid0(VALU_DEP_2)
	v_add_co_ci_u32_e32 v11, vcc_lo, v7, v11, vcc_lo
	global_load_b32 v15, v[10:11], off
	s_waitcnt vmcnt(0)
	v_mad_u64_u32 v[13:14], null, v15, s34, v[12:13]
	global_store_b32 v[10:11], v13, off
.LBB70_49:
	s_cbranch_execz .LBB70_51
	s_branch .LBB70_55
.LBB70_50:
.LBB70_51:
	v_mul_lo_u32 v4, v4, s33
	s_and_b32 vcc_lo, exec_lo, s1
	s_mov_b32 s5, -1
	s_cbranch_vccz .LBB70_53
; %bb.52:
	v_lshlrev_b64 v[10:11], 2, v[2:3]
	s_mov_b32 s5, 0
	s_delay_alu instid0(VALU_DEP_1) | instskip(NEXT) | instid1(VALU_DEP_2)
	v_add_co_u32 v10, vcc_lo, v8, v10
	v_add_co_ci_u32_e32 v11, vcc_lo, v9, v11, vcc_lo
	global_store_b32 v[10:11], v4, off
.LBB70_53:
	s_and_not1_b32 vcc_lo, exec_lo, s5
	s_cbranch_vccnz .LBB70_55
; %bb.54:
	v_mad_u64_u32 v[10:11], null, v2, s2, 0
	s_delay_alu instid0(VALU_DEP_1) | instskip(NEXT) | instid1(VALU_DEP_1)
	v_mov_b32_e32 v3, v11
	v_mad_u64_u32 v[11:12], null, v2, s3, v[3:4]
	s_delay_alu instid0(VALU_DEP_1) | instskip(NEXT) | instid1(VALU_DEP_1)
	v_lshlrev_b64 v[2:3], 2, v[10:11]
	v_add_co_u32 v2, vcc_lo, v6, v2
	s_delay_alu instid0(VALU_DEP_2)
	v_add_co_ci_u32_e32 v3, vcc_lo, v7, v3, vcc_lo
	global_store_b32 v[2:3], v4, off
.LBB70_55:
	s_or_b32 exec_lo, exec_lo, s0
	v_cmp_gt_i64_e32 vcc_lo, s[6:7], v[0:1]
	s_and_b32 exec_lo, exec_lo, vcc_lo
	s_cbranch_execz .LBB70_62
; %bb.56:
	v_cndmask_b32_e64 v2, 0, 1, s1
	s_and_not1_b32 vcc_lo, exec_lo, s4
	s_delay_alu instid0(VALU_DEP_1)
	v_cmp_ne_u32_e64 s0, 1, v2
	s_cbranch_vccnz .LBB70_63
; %bb.57:
	s_delay_alu instid0(VALU_DEP_1)
	s_and_b32 vcc_lo, exec_lo, s0
	s_mov_b32 s0, -1
	s_cbranch_vccnz .LBB70_59
; %bb.58:
	v_lshlrev_b64 v[2:3], 2, v[0:1]
	v_mul_lo_u32 v4, v5, s33
	s_mov_b32 s0, 0
	s_delay_alu instid0(VALU_DEP_2) | instskip(NEXT) | instid1(VALU_DEP_3)
	v_add_co_u32 v2, vcc_lo, v8, v2
	v_add_co_ci_u32_e32 v3, vcc_lo, v9, v3, vcc_lo
	global_load_b32 v12, v[2:3], off
	s_waitcnt vmcnt(0)
	v_mad_u64_u32 v[10:11], null, v12, s34, v[4:5]
	global_store_b32 v[2:3], v10, off
.LBB70_59:
	s_and_not1_b32 vcc_lo, exec_lo, s0
	s_cbranch_vccnz .LBB70_61
; %bb.60:
	v_mad_u64_u32 v[2:3], null, v0, s2, 0
	s_delay_alu instid0(VALU_DEP_1) | instskip(SKIP_1) | instid1(VALU_DEP_2)
	v_mad_u64_u32 v[10:11], null, v0, s3, v[3:4]
	v_mul_lo_u32 v4, v5, s33
	v_mov_b32_e32 v3, v10
	s_delay_alu instid0(VALU_DEP_1) | instskip(NEXT) | instid1(VALU_DEP_1)
	v_lshlrev_b64 v[2:3], 2, v[2:3]
	v_add_co_u32 v2, vcc_lo, v6, v2
	s_delay_alu instid0(VALU_DEP_2)
	v_add_co_ci_u32_e32 v3, vcc_lo, v7, v3, vcc_lo
	global_load_b32 v12, v[2:3], off
	s_waitcnt vmcnt(0)
	v_mad_u64_u32 v[10:11], null, v12, s34, v[4:5]
	global_store_b32 v[2:3], v10, off
.LBB70_61:
	s_cbranch_execz .LBB70_64
.LBB70_62:
	s_nop 0
	s_sendmsg sendmsg(MSG_DEALLOC_VGPRS)
	s_endpgm
.LBB70_63:
.LBB70_64:
	v_mul_lo_u32 v2, v5, s33
	s_and_not1_b32 vcc_lo, exec_lo, s1
	s_mov_b32 s0, -1
	s_cbranch_vccnz .LBB70_66
; %bb.65:
	v_lshlrev_b64 v[3:4], 2, v[0:1]
	s_mov_b32 s0, 0
	s_delay_alu instid0(VALU_DEP_1) | instskip(NEXT) | instid1(VALU_DEP_2)
	v_add_co_u32 v3, vcc_lo, v8, v3
	v_add_co_ci_u32_e32 v4, vcc_lo, v9, v4, vcc_lo
	global_store_b32 v[3:4], v2, off
.LBB70_66:
	s_and_not1_b32 vcc_lo, exec_lo, s0
	s_cbranch_vccnz .LBB70_62
; %bb.67:
	v_mad_u64_u32 v[3:4], null, v0, s2, 0
	s_delay_alu instid0(VALU_DEP_1) | instskip(NEXT) | instid1(VALU_DEP_1)
	v_mov_b32_e32 v1, v4
	v_mad_u64_u32 v[4:5], null, v0, s3, v[1:2]
	s_delay_alu instid0(VALU_DEP_1) | instskip(NEXT) | instid1(VALU_DEP_1)
	v_lshlrev_b64 v[0:1], 2, v[3:4]
	v_add_co_u32 v0, vcc_lo, v6, v0
	s_delay_alu instid0(VALU_DEP_2)
	v_add_co_ci_u32_e32 v1, vcc_lo, v7, v1, vcc_lo
	global_store_b32 v[0:1], v2, off
	s_nop 0
	s_sendmsg sendmsg(MSG_DEALLOC_VGPRS)
	s_endpgm
	.section	.rodata,"a",@progbits
	.p2align	6, 0x0
	.amdhsa_kernel _ZN9rocsparseL31bsrmm_large_blockdim_kernel_extILj16ELj16ELj2EllaaiiEEvb20rocsparse_direction_T3_S2_llNS_24const_host_device_scalarIT7_EEPKT2_PKS2_PKT4_S2_PKT5_llS5_PT6_ll16rocsparse_order_21rocsparse_index_base_b
		.amdhsa_group_segment_fixed_size 3072
		.amdhsa_private_segment_fixed_size 0
		.amdhsa_kernarg_size 148
		.amdhsa_user_sgpr_count 14
		.amdhsa_user_sgpr_dispatch_ptr 0
		.amdhsa_user_sgpr_queue_ptr 0
		.amdhsa_user_sgpr_kernarg_segment_ptr 1
		.amdhsa_user_sgpr_dispatch_id 0
		.amdhsa_user_sgpr_private_segment_size 0
		.amdhsa_wavefront_size32 1
		.amdhsa_uses_dynamic_stack 0
		.amdhsa_enable_private_segment 0
		.amdhsa_system_sgpr_workgroup_id_x 1
		.amdhsa_system_sgpr_workgroup_id_y 1
		.amdhsa_system_sgpr_workgroup_id_z 0
		.amdhsa_system_sgpr_workgroup_info 0
		.amdhsa_system_vgpr_workitem_id 1
		.amdhsa_next_free_vgpr 41
		.amdhsa_next_free_sgpr 44
		.amdhsa_reserve_vcc 1
		.amdhsa_float_round_mode_32 0
		.amdhsa_float_round_mode_16_64 0
		.amdhsa_float_denorm_mode_32 3
		.amdhsa_float_denorm_mode_16_64 3
		.amdhsa_dx10_clamp 1
		.amdhsa_ieee_mode 1
		.amdhsa_fp16_overflow 0
		.amdhsa_workgroup_processor_mode 1
		.amdhsa_memory_ordered 1
		.amdhsa_forward_progress 0
		.amdhsa_shared_vgpr_count 0
		.amdhsa_exception_fp_ieee_invalid_op 0
		.amdhsa_exception_fp_denorm_src 0
		.amdhsa_exception_fp_ieee_div_zero 0
		.amdhsa_exception_fp_ieee_overflow 0
		.amdhsa_exception_fp_ieee_underflow 0
		.amdhsa_exception_fp_ieee_inexact 0
		.amdhsa_exception_int_div_zero 0
	.end_amdhsa_kernel
	.section	.text._ZN9rocsparseL31bsrmm_large_blockdim_kernel_extILj16ELj16ELj2EllaaiiEEvb20rocsparse_direction_T3_S2_llNS_24const_host_device_scalarIT7_EEPKT2_PKS2_PKT4_S2_PKT5_llS5_PT6_ll16rocsparse_order_21rocsparse_index_base_b,"axG",@progbits,_ZN9rocsparseL31bsrmm_large_blockdim_kernel_extILj16ELj16ELj2EllaaiiEEvb20rocsparse_direction_T3_S2_llNS_24const_host_device_scalarIT7_EEPKT2_PKS2_PKT4_S2_PKT5_llS5_PT6_ll16rocsparse_order_21rocsparse_index_base_b,comdat
.Lfunc_end70:
	.size	_ZN9rocsparseL31bsrmm_large_blockdim_kernel_extILj16ELj16ELj2EllaaiiEEvb20rocsparse_direction_T3_S2_llNS_24const_host_device_scalarIT7_EEPKT2_PKS2_PKT4_S2_PKT5_llS5_PT6_ll16rocsparse_order_21rocsparse_index_base_b, .Lfunc_end70-_ZN9rocsparseL31bsrmm_large_blockdim_kernel_extILj16ELj16ELj2EllaaiiEEvb20rocsparse_direction_T3_S2_llNS_24const_host_device_scalarIT7_EEPKT2_PKS2_PKT4_S2_PKT5_llS5_PT6_ll16rocsparse_order_21rocsparse_index_base_b
                                        ; -- End function
	.section	.AMDGPU.csdata,"",@progbits
; Kernel info:
; codeLenInByte = 2752
; NumSgprs: 46
; NumVgprs: 41
; ScratchSize: 0
; MemoryBound: 0
; FloatMode: 240
; IeeeMode: 1
; LDSByteSize: 3072 bytes/workgroup (compile time only)
; SGPRBlocks: 5
; VGPRBlocks: 5
; NumSGPRsForWavesPerEU: 46
; NumVGPRsForWavesPerEU: 41
; Occupancy: 16
; WaveLimiterHint : 1
; COMPUTE_PGM_RSRC2:SCRATCH_EN: 0
; COMPUTE_PGM_RSRC2:USER_SGPR: 14
; COMPUTE_PGM_RSRC2:TRAP_HANDLER: 0
; COMPUTE_PGM_RSRC2:TGID_X_EN: 1
; COMPUTE_PGM_RSRC2:TGID_Y_EN: 1
; COMPUTE_PGM_RSRC2:TGID_Z_EN: 0
; COMPUTE_PGM_RSRC2:TIDIG_COMP_CNT: 1
	.section	.text._ZN9rocsparseL31bsrmm_large_blockdim_kernel_extILj32ELj32ELj2EllaaiiEEvb20rocsparse_direction_T3_S2_llNS_24const_host_device_scalarIT7_EEPKT2_PKS2_PKT4_S2_PKT5_llS5_PT6_ll16rocsparse_order_21rocsparse_index_base_b,"axG",@progbits,_ZN9rocsparseL31bsrmm_large_blockdim_kernel_extILj32ELj32ELj2EllaaiiEEvb20rocsparse_direction_T3_S2_llNS_24const_host_device_scalarIT7_EEPKT2_PKS2_PKT4_S2_PKT5_llS5_PT6_ll16rocsparse_order_21rocsparse_index_base_b,comdat
	.globl	_ZN9rocsparseL31bsrmm_large_blockdim_kernel_extILj32ELj32ELj2EllaaiiEEvb20rocsparse_direction_T3_S2_llNS_24const_host_device_scalarIT7_EEPKT2_PKS2_PKT4_S2_PKT5_llS5_PT6_ll16rocsparse_order_21rocsparse_index_base_b ; -- Begin function _ZN9rocsparseL31bsrmm_large_blockdim_kernel_extILj32ELj32ELj2EllaaiiEEvb20rocsparse_direction_T3_S2_llNS_24const_host_device_scalarIT7_EEPKT2_PKS2_PKT4_S2_PKT5_llS5_PT6_ll16rocsparse_order_21rocsparse_index_base_b
	.p2align	8
	.type	_ZN9rocsparseL31bsrmm_large_blockdim_kernel_extILj32ELj32ELj2EllaaiiEEvb20rocsparse_direction_T3_S2_llNS_24const_host_device_scalarIT7_EEPKT2_PKS2_PKT4_S2_PKT5_llS5_PT6_ll16rocsparse_order_21rocsparse_index_base_b,@function
_ZN9rocsparseL31bsrmm_large_blockdim_kernel_extILj32ELj32ELj2EllaaiiEEvb20rocsparse_direction_T3_S2_llNS_24const_host_device_scalarIT7_EEPKT2_PKS2_PKT4_S2_PKT5_llS5_PT6_ll16rocsparse_order_21rocsparse_index_base_b: ; @_ZN9rocsparseL31bsrmm_large_blockdim_kernel_extILj32ELj32ELj2EllaaiiEEvb20rocsparse_direction_T3_S2_llNS_24const_host_device_scalarIT7_EEPKT2_PKS2_PKT4_S2_PKT5_llS5_PT6_ll16rocsparse_order_21rocsparse_index_base_b
; %bb.0:
	s_clause 0x1
	s_load_b128 s[8:11], s[0:1], 0x88
	s_load_b64 s[6:7], s[0:1], 0x28
	s_mov_b32 s2, s15
                                        ; implicit-def: $sgpr33
	s_waitcnt lgkmcnt(0)
	s_bitcmp1_b32 s10, 0
	s_mov_b32 s10, -1
	s_cselect_b32 s3, -1, 0
	s_delay_alu instid0(SALU_CYCLE_1) | instskip(NEXT) | instid1(SALU_CYCLE_1)
	s_xor_b32 s3, s3, -1
	s_and_b32 vcc_lo, exec_lo, s3
	s_cbranch_vccnz .LBB71_4
; %bb.1:
	s_load_b64 s[4:5], s[0:1], 0x68
	s_and_not1_b32 vcc_lo, exec_lo, s10
	s_cbranch_vccz .LBB71_5
.LBB71_2:
	s_and_b32 vcc_lo, exec_lo, s3
	s_cbranch_vccz .LBB71_6
.LBB71_3:
	s_waitcnt lgkmcnt(0)
	s_load_b32 s34, s[4:5], 0x0
	s_cbranch_execz .LBB71_7
	s_branch .LBB71_8
.LBB71_4:
	s_load_b32 s33, s[6:7], 0x0
	s_load_b64 s[4:5], s[0:1], 0x68
	s_cbranch_execnz .LBB71_2
.LBB71_5:
	s_waitcnt lgkmcnt(0)
	s_mov_b32 s33, s6
	s_and_b32 vcc_lo, exec_lo, s3
	s_cbranch_vccnz .LBB71_3
.LBB71_6:
                                        ; implicit-def: $sgpr34
.LBB71_7:
	s_waitcnt lgkmcnt(0)
	s_mov_b32 s34, s4
.LBB71_8:
	s_waitcnt lgkmcnt(0)
	s_cmp_eq_u32 s33, 0
	s_cselect_b32 s3, -1, 0
	s_cmp_eq_u32 s34, 1
	s_cselect_b32 s4, -1, 0
	s_delay_alu instid0(SALU_CYCLE_1) | instskip(NEXT) | instid1(SALU_CYCLE_1)
	s_and_b32 s3, s3, s4
	s_and_b32 vcc_lo, exec_lo, s3
	s_cbranch_vccnz .LBB71_62
; %bb.9:
	s_clause 0x1
	s_load_b128 s[4:7], s[0:1], 0x8
	s_load_b64 s[10:11], s[0:1], 0x30
	s_ashr_i32 s15, s14, 31
	s_mov_b64 s[12:13], 0
	s_mov_b64 s[24:25], 0
	s_waitcnt lgkmcnt(0)
	v_cmp_ge_i64_e64 s3, s[14:15], s[4:5]
	v_cmp_lt_i64_e64 s35, s[14:15], s[4:5]
	s_delay_alu instid0(VALU_DEP_2)
	s_and_b32 vcc_lo, exec_lo, s3
	s_cbranch_vccnz .LBB71_11
; %bb.10:
	s_lshl_b64 s[4:5], s[14:15], 3
	s_delay_alu instid0(SALU_CYCLE_1)
	s_add_u32 s4, s10, s4
	s_addc_u32 s5, s11, s5
	s_load_b64 s[4:5], s[4:5], 0x0
	s_waitcnt lgkmcnt(0)
	s_sub_u32 s24, s4, s9
	s_subb_u32 s25, s5, 0
.LBB71_11:
	s_delay_alu instid0(VALU_DEP_1)
	s_and_not1_b32 vcc_lo, exec_lo, s35
	s_cbranch_vccnz .LBB71_13
; %bb.12:
	s_lshl_b64 s[4:5], s[14:15], 3
	s_delay_alu instid0(SALU_CYCLE_1)
	s_add_u32 s4, s10, s4
	s_addc_u32 s5, s11, s5
	s_load_b64 s[4:5], s[4:5], 0x8
	s_waitcnt lgkmcnt(0)
	s_sub_u32 s12, s4, s9
	s_subb_u32 s13, s5, 0
.LBB71_13:
	s_clause 0x1
	s_load_b64 s[26:27], s[0:1], 0x48
	s_load_b64 s[10:11], s[0:1], 0x70
	v_bfe_u32 v15, v0, 10, 10
	v_dual_mov_b32 v3, 0 :: v_dual_and_b32 v6, 0x3ff, v0
	s_mov_b32 s30, 0
	s_delay_alu instid0(VALU_DEP_2) | instskip(SKIP_1) | instid1(VALU_DEP_3)
	v_lshl_add_u32 v2, s2, 6, v15
	v_cmp_ge_i64_e64 s2, s[24:25], s[12:13]
	v_mov_b32_e32 v1, v3
	s_mov_b32 s31, s30
	v_dual_mov_b32 v7, v3 :: v_dual_mov_b32 v4, s30
	v_add_nc_u32_e32 v0, 32, v2
	s_delay_alu instid0(VALU_DEP_4) | instskip(SKIP_2) | instid1(VALU_DEP_3)
	s_and_b32 vcc_lo, exec_lo, s2
	v_cmp_gt_i64_e64 s3, s[6:7], v[2:3]
	v_mov_b32_e32 v5, s31
	v_cmp_gt_i64_e64 s4, s[6:7], v[0:1]
	s_waitcnt lgkmcnt(0)
	v_cmp_gt_i64_e64 s2, s[26:27], v[6:7]
	s_cbranch_vccnz .LBB71_42
; %bb.14:
	s_clause 0x2
	s_load_b64 s[28:29], s[0:1], 0x0
	s_load_b128 s[16:19], s[0:1], 0x38
	s_load_b128 s[20:23], s[0:1], 0x50
	v_dual_mov_b32 v16, v3 :: v_dual_lshlrev_b32 v23, 5, v15
	v_lshl_add_u32 v4, v6, 5, v15
	s_mul_i32 s5, s26, s27
	s_mul_hi_u32 s36, s26, s26
	s_delay_alu instid0(VALU_DEP_2)
	v_cmp_gt_i64_e32 vcc_lo, s[26:27], v[15:16]
	s_add_i32 s36, s36, s5
	v_lshl_add_u32 v19, v4, 2, 0x2000
	s_add_i32 s36, s36, s5
	s_mul_i32 s15, s26, s26
	s_and_b32 s37, s2, vcc_lo
	s_waitcnt lgkmcnt(0)
	s_bitcmp1_b32 s28, 0
	v_mad_u64_u32 v[16:17], null, v6, s26, s[18:19]
	v_mad_u64_u32 v[4:5], null, v15, s26, s[18:19]
	;; [unrolled: 1-line block ×4, first 2 shown]
	s_delay_alu instid0(VALU_DEP_4) | instskip(SKIP_3) | instid1(VALU_DEP_4)
	v_mov_b32_e32 v14, v17
	v_add_co_u32 v10, s5, s20, v6
	v_mad_u64_u32 v[17:18], null, v15, s27, v[5:6]
	v_mov_b32_e32 v5, v13
	v_mad_u64_u32 v[20:21], null, v6, s27, v[14:15]
	s_delay_alu instid0(VALU_DEP_4) | instskip(NEXT) | instid1(VALU_DEP_3)
	v_mad_u64_u32 v[13:14], null, v2, s23, v[9:10]
	v_mad_u64_u32 v[21:22], null, v0, s23, v[5:6]
	v_dual_mov_b32 v5, v17 :: v_dual_lshlrev_b32 v22, 7, v15
	s_delay_alu instid0(VALU_DEP_4) | instskip(SKIP_1) | instid1(VALU_DEP_3)
	v_mov_b32_e32 v9, v20
	v_add_co_u32 v4, vcc_lo, v4, v6
	v_add_nc_u32_e32 v24, 0x1000, v22
	v_cmp_gt_i64_e64 s18, s[26:27], 0
	v_add_co_ci_u32_e32 v5, vcc_lo, 0, v5, vcc_lo
	v_add_co_u32 v16, vcc_lo, v16, v15
	v_add_co_ci_u32_e64 v11, null, s21, 0, s5
	s_cselect_b32 s5, -1, 0
	s_cmp_eq_u32 s29, 0
	v_add_co_ci_u32_e32 v14, vcc_lo, 0, v9, vcc_lo
	s_cselect_b32 vcc_lo, -1, 0
	s_and_b32 s38, s3, s18
	s_and_b32 s39, s4, s18
	s_add_u32 s40, s26, -1
	s_addc_u32 s41, s27, -1
	v_dual_mov_b32 v20, v13 :: v_dual_cndmask_b32 v13, v4, v16
	v_cndmask_b32_e32 v14, v5, v14, vcc_lo
	s_and_b32 s18, s26, 7
	s_mov_b32 s19, s30
	v_dual_mov_b32 v4, s30 :: v_dual_mov_b32 v5, s31
	v_cmp_gt_u64_e64 s40, s[40:41], 6
	v_add_lshl_u32 v9, v23, v6, 2
	s_and_b32 s29, s27, 0x7fffffff
	s_and_b32 s28, s26, -8
	v_lshl_add_u32 v23, v6, 7, 0x2000
	s_cmp_lg_u64 s[18:19], 0
	s_cselect_b32 s41, -1, 0
	s_branch .LBB71_17
.LBB71_15:                              ;   in Loop: Header=BB71_17 Depth=1
	s_or_b32 exec_lo, exec_lo, s43
.LBB71_16:                              ;   in Loop: Header=BB71_17 Depth=1
	s_delay_alu instid0(SALU_CYCLE_1) | instskip(SKIP_2) | instid1(SALU_CYCLE_1)
	s_or_b32 exec_lo, exec_lo, s42
	s_add_u32 s24, s24, 1
	s_addc_u32 s25, s25, 0
	v_cmp_ge_i64_e64 s30, s[24:25], s[12:13]
	s_barrier
	buffer_gl0_inv
	s_and_b32 vcc_lo, exec_lo, s30
	s_cbranch_vccnz .LBB71_42
.LBB71_17:                              ; =>This Loop Header: Depth=1
                                        ;     Child Loop BB71_28 Depth 2
                                        ;     Child Loop BB71_32 Depth 2
	;; [unrolled: 1-line block ×4, first 2 shown]
	s_and_saveexec_b32 s30, s2
	s_cbranch_execz .LBB71_22
; %bb.18:                               ;   in Loop: Header=BB71_17 Depth=1
	s_lshl_b64 s[42:43], s[24:25], 3
	s_delay_alu instid0(SALU_CYCLE_1)
	s_add_u32 s42, s16, s42
	s_addc_u32 s43, s17, s43
	s_load_b64 s[42:43], s[42:43], 0x0
	s_waitcnt lgkmcnt(0)
	s_sub_u32 s31, s42, s9
	s_subb_u32 s42, s43, 0
	v_mad_u64_u32 v[17:18], null, s31, s26, v[6:7]
	s_mul_i32 s43, s31, s27
	s_mul_i32 s42, s42, s26
	s_delay_alu instid0(SALU_CYCLE_1)
	s_add_i32 s43, s43, s42
	s_delay_alu instid0(VALU_DEP_1) | instid1(SALU_CYCLE_1)
	v_add_nc_u32_e32 v18, s43, v18
	s_delay_alu instid0(VALU_DEP_2) | instskip(SKIP_1) | instid1(VALU_DEP_3)
	v_mul_lo_u32 v25, v17, s23
	v_mad_u64_u32 v[15:16], null, v17, s22, s[20:21]
	v_mul_lo_u32 v26, v18, s22
	v_mad_u64_u32 v[17:18], null, s31, s26, v[10:11]
	s_delay_alu instid0(VALU_DEP_2) | instskip(NEXT) | instid1(VALU_DEP_2)
	v_add3_u32 v16, v26, v16, v25
	v_add_nc_u32_e32 v18, s43, v18
	s_and_saveexec_b32 s31, s3
	s_cbranch_execz .LBB71_20
; %bb.19:                               ;   in Loop: Header=BB71_17 Depth=1
	s_delay_alu instid0(VALU_DEP_3) | instskip(NEXT) | instid1(VALU_DEP_2)
	v_add_co_u32 v25, vcc_lo, v17, v8
	v_add_co_ci_u32_e32 v26, vcc_lo, v18, v20, vcc_lo
	v_add_co_u32 v27, vcc_lo, v15, v2
	v_add_co_ci_u32_e32 v28, vcc_lo, 0, v16, vcc_lo
	s_delay_alu instid0(VALU_DEP_2) | instskip(NEXT) | instid1(VALU_DEP_2)
	v_cndmask_b32_e64 v25, v27, v25, s5
	v_cndmask_b32_e64 v26, v28, v26, s5
	global_load_i8 v25, v[25:26], off
	s_waitcnt vmcnt(0)
	ds_store_b32 v9, v25
.LBB71_20:                              ;   in Loop: Header=BB71_17 Depth=1
	s_or_b32 exec_lo, exec_lo, s31
	s_delay_alu instid0(SALU_CYCLE_1)
	s_and_b32 exec_lo, exec_lo, s4
	s_cbranch_execz .LBB71_22
; %bb.21:                               ;   in Loop: Header=BB71_17 Depth=1
	v_add_co_u32 v17, vcc_lo, v17, v12
	v_add_co_ci_u32_e32 v18, vcc_lo, v18, v21, vcc_lo
	v_add_co_u32 v15, vcc_lo, v15, v0
	v_add_co_ci_u32_e32 v16, vcc_lo, 0, v16, vcc_lo
	s_delay_alu instid0(VALU_DEP_2) | instskip(NEXT) | instid1(VALU_DEP_2)
	v_cndmask_b32_e64 v15, v15, v17, s5
	v_cndmask_b32_e64 v16, v16, v18, s5
	global_load_i8 v15, v[15:16], off
	s_waitcnt vmcnt(0)
	ds_store_b32 v9, v15 offset:4096
.LBB71_22:                              ;   in Loop: Header=BB71_17 Depth=1
	s_or_b32 exec_lo, exec_lo, s30
	s_and_saveexec_b32 s30, s37
	s_cbranch_execz .LBB71_24
; %bb.23:                               ;   in Loop: Header=BB71_17 Depth=1
	v_mad_u64_u32 v[15:16], null, s15, s24, v[13:14]
	s_mul_i32 s31, s36, s24
	s_mul_i32 s42, s15, s25
	s_delay_alu instid0(VALU_DEP_1) | instid1(SALU_CYCLE_1)
	v_add3_u32 v16, s42, s31, v16
	global_load_i8 v15, v[15:16], off
	s_waitcnt vmcnt(0)
	ds_store_b32 v19, v15
.LBB71_24:                              ;   in Loop: Header=BB71_17 Depth=1
	s_or_b32 exec_lo, exec_lo, s30
	s_waitcnt lgkmcnt(0)
	s_barrier
	buffer_gl0_inv
	s_and_saveexec_b32 s42, s2
	s_cbranch_execz .LBB71_16
; %bb.25:                               ;   in Loop: Header=BB71_17 Depth=1
	s_and_saveexec_b32 s43, s38
	s_cbranch_execz .LBB71_34
; %bb.26:                               ;   in Loop: Header=BB71_17 Depth=1
	s_and_not1_b32 vcc_lo, exec_lo, s40
	s_cbranch_vccnz .LBB71_30
; %bb.27:                               ;   in Loop: Header=BB71_17 Depth=1
	v_dual_mov_b32 v15, v23 :: v_dual_mov_b32 v16, v22
	s_mov_b64 s[30:31], 0
	s_set_inst_prefetch_distance 0x1
	.p2align	6
.LBB71_28:                              ;   Parent Loop BB71_17 Depth=1
                                        ; =>  This Inner Loop Header: Depth=2
	ds_load_b128 v[25:28], v16
	ds_load_b128 v[29:32], v15
	ds_load_b128 v[33:36], v15 offset:16
	ds_load_b128 v[37:40], v16 offset:16
	s_add_u32 s30, s30, 8
	v_add_nc_u32_e32 v16, 32, v16
	v_add_nc_u32_e32 v15, 32, v15
	s_addc_u32 s31, s31, 0
	s_delay_alu instid0(SALU_CYCLE_1)
	s_cmp_lg_u64 s[28:29], s[30:31]
	s_waitcnt lgkmcnt(2)
	v_mul_lo_u32 v17, v25, v29
	v_mul_lo_u32 v18, v26, v30
	;; [unrolled: 1-line block ×4, first 2 shown]
	s_delay_alu instid0(VALU_DEP_3) | instskip(SKIP_3) | instid1(VALU_DEP_3)
	v_add3_u32 v4, v17, v4, v18
	s_waitcnt lgkmcnt(0)
	v_mul_lo_u32 v17, v37, v33
	v_mul_lo_u32 v18, v38, v34
	v_add3_u32 v4, v25, v4, v26
	v_mul_lo_u32 v25, v39, v35
	v_mul_lo_u32 v26, v40, v36
	s_delay_alu instid0(VALU_DEP_3) | instskip(NEXT) | instid1(VALU_DEP_1)
	v_add3_u32 v4, v17, v4, v18
	v_add3_u32 v4, v25, v4, v26
	s_cbranch_scc1 .LBB71_28
; %bb.29:                               ;   in Loop: Header=BB71_17 Depth=1
	s_set_inst_prefetch_distance 0x2
	s_mov_b64 s[30:31], s[28:29]
	s_and_not1_b32 vcc_lo, exec_lo, s41
	s_cbranch_vccz .LBB71_31
	s_branch .LBB71_34
.LBB71_30:                              ;   in Loop: Header=BB71_17 Depth=1
	s_mov_b64 s[30:31], 0
	s_and_not1_b32 vcc_lo, exec_lo, s41
	s_cbranch_vccnz .LBB71_34
.LBB71_31:                              ;   in Loop: Header=BB71_17 Depth=1
	s_lshl_b32 s30, s30, 2
	s_delay_alu instid0(SALU_CYCLE_1)
	v_add_nc_u32_e32 v17, s30, v22
	v_add_nc_u32_e32 v18, s30, v23
	s_mov_b64 s[30:31], s[18:19]
.LBB71_32:                              ;   Parent Loop BB71_17 Depth=1
                                        ; =>  This Inner Loop Header: Depth=2
	ds_load_b32 v25, v18
	ds_load_b32 v26, v17
	s_add_u32 s30, s30, -1
	s_addc_u32 s31, s31, -1
	v_add_nc_u32_e32 v17, 4, v17
	s_cmp_lg_u64 s[30:31], 0
	s_waitcnt lgkmcnt(0)
	v_mad_u64_u32 v[15:16], null, v26, v25, v[4:5]
	v_mov_b32_e32 v16, v5
	v_add_nc_u32_e32 v18, 4, v18
	s_delay_alu instid0(VALU_DEP_2)
	v_dual_mov_b32 v4, v15 :: v_dual_mov_b32 v5, v16
	s_cbranch_scc1 .LBB71_32
; %bb.33:                               ;   in Loop: Header=BB71_17 Depth=1
	v_dual_mov_b32 v4, v15 :: v_dual_mov_b32 v5, v16
.LBB71_34:                              ;   in Loop: Header=BB71_17 Depth=1
	s_or_b32 exec_lo, exec_lo, s43
	s_and_saveexec_b32 s43, s39
	s_cbranch_execz .LBB71_15
; %bb.35:                               ;   in Loop: Header=BB71_17 Depth=1
	s_and_not1_b32 vcc_lo, exec_lo, s40
	s_cbranch_vccnz .LBB71_39
; %bb.36:                               ;   in Loop: Header=BB71_17 Depth=1
	v_dual_mov_b32 v15, v23 :: v_dual_mov_b32 v16, v24
	s_mov_b64 s[30:31], 0
	s_set_inst_prefetch_distance 0x1
	.p2align	6
.LBB71_37:                              ;   Parent Loop BB71_17 Depth=1
                                        ; =>  This Inner Loop Header: Depth=2
	ds_load_b128 v[25:28], v16
	ds_load_b128 v[29:32], v15
	ds_load_b128 v[33:36], v15 offset:16
	ds_load_b128 v[37:40], v16 offset:16
	s_add_u32 s30, s30, 8
	v_add_nc_u32_e32 v16, 32, v16
	v_add_nc_u32_e32 v15, 32, v15
	s_addc_u32 s31, s31, 0
	s_delay_alu instid0(SALU_CYCLE_1)
	s_cmp_lg_u64 s[28:29], s[30:31]
	s_waitcnt lgkmcnt(2)
	v_mul_lo_u32 v17, v25, v29
	v_mul_lo_u32 v18, v26, v30
	;; [unrolled: 1-line block ×4, first 2 shown]
	s_delay_alu instid0(VALU_DEP_3) | instskip(SKIP_3) | instid1(VALU_DEP_3)
	v_add3_u32 v5, v17, v5, v18
	s_waitcnt lgkmcnt(0)
	v_mul_lo_u32 v17, v37, v33
	v_mul_lo_u32 v18, v38, v34
	v_add3_u32 v5, v25, v5, v26
	v_mul_lo_u32 v25, v39, v35
	v_mul_lo_u32 v26, v40, v36
	s_delay_alu instid0(VALU_DEP_3) | instskip(NEXT) | instid1(VALU_DEP_1)
	v_add3_u32 v5, v17, v5, v18
	v_add3_u32 v5, v25, v5, v26
	s_cbranch_scc1 .LBB71_37
; %bb.38:                               ;   in Loop: Header=BB71_17 Depth=1
	s_set_inst_prefetch_distance 0x2
	s_mov_b64 s[30:31], s[28:29]
	s_and_not1_b32 vcc_lo, exec_lo, s41
	s_cbranch_vccz .LBB71_40
	s_branch .LBB71_15
.LBB71_39:                              ;   in Loop: Header=BB71_17 Depth=1
	s_mov_b64 s[30:31], 0
	s_and_not1_b32 vcc_lo, exec_lo, s41
	s_cbranch_vccnz .LBB71_15
.LBB71_40:                              ;   in Loop: Header=BB71_17 Depth=1
	s_lshl_b32 s30, s30, 2
	s_delay_alu instid0(SALU_CYCLE_1)
	v_add_nc_u32_e32 v15, s30, v24
	v_add_nc_u32_e32 v16, s30, v23
	s_mov_b64 s[30:31], s[18:19]
.LBB71_41:                              ;   Parent Loop BB71_17 Depth=1
                                        ; =>  This Inner Loop Header: Depth=2
	ds_load_b32 v25, v16
	ds_load_b32 v26, v15
	v_add_nc_u32_e32 v15, 4, v15
	s_add_u32 s30, s30, -1
	s_addc_u32 s31, s31, -1
	s_delay_alu instid0(SALU_CYCLE_1) | instskip(SKIP_2) | instid1(VALU_DEP_1)
	s_cmp_lg_u64 s[30:31], 0
	s_waitcnt lgkmcnt(0)
	v_mad_u64_u32 v[17:18], null, v26, v25, v[5:6]
	v_dual_mov_b32 v5, v17 :: v_dual_add_nc_u32 v16, 4, v16
	s_cbranch_scc1 .LBB71_41
	s_branch .LBB71_15
.LBB71_42:
	s_delay_alu instid0(VALU_DEP_1) | instskip(NEXT) | instid1(SALU_CYCLE_1)
	s_and_b32 s2, s35, s2
	s_and_saveexec_b32 s3, s2
	s_cbranch_execz .LBB71_62
; %bb.43:
	v_mad_u64_u32 v[8:9], null, s14, s26, v[6:7]
	s_load_b64 s[2:3], s[0:1], 0x78
	s_cmp_lg_u32 s34, 0
	s_cselect_b32 s4, -1, 0
	s_cmp_lg_u32 s8, 1
	s_cselect_b32 s1, -1, 0
	s_delay_alu instid0(VALU_DEP_1) | instskip(NEXT) | instid1(VALU_DEP_1)
	v_mov_b32_e32 v6, v9
	v_mad_u64_u32 v[9:10], null, s14, s27, v[6:7]
	s_waitcnt lgkmcnt(0)
	v_mul_lo_u32 v10, v8, s3
	v_mad_u64_u32 v[6:7], null, v8, s2, 0
	s_delay_alu instid0(VALU_DEP_3) | instskip(NEXT) | instid1(VALU_DEP_1)
	v_mul_lo_u32 v11, v9, s2
	v_add3_u32 v7, v7, v10, v11
	v_lshlrev_b64 v[10:11], 2, v[8:9]
	s_delay_alu instid0(VALU_DEP_2) | instskip(NEXT) | instid1(VALU_DEP_1)
	v_lshlrev_b64 v[6:7], 2, v[6:7]
	v_add_co_u32 v8, s0, s10, v6
	s_delay_alu instid0(VALU_DEP_1) | instskip(NEXT) | instid1(VALU_DEP_4)
	v_add_co_ci_u32_e64 v9, s0, s11, v7, s0
	v_add_co_u32 v6, s0, s10, v10
	s_delay_alu instid0(VALU_DEP_1)
	v_add_co_ci_u32_e64 v7, s0, s11, v11, s0
	s_mov_b32 s0, exec_lo
	v_cmpx_gt_i64_e64 s[6:7], v[2:3]
	s_cbranch_execz .LBB71_55
; %bb.44:
	s_and_b32 vcc_lo, exec_lo, s4
	s_cbranch_vccz .LBB71_50
; %bb.45:
	s_and_b32 vcc_lo, exec_lo, s1
	s_mov_b32 s5, -1
	s_cbranch_vccz .LBB71_47
; %bb.46:
	v_lshlrev_b64 v[10:11], 2, v[2:3]
	v_mul_lo_u32 v12, v4, s33
	s_mov_b32 s5, 0
	s_delay_alu instid0(VALU_DEP_2) | instskip(NEXT) | instid1(VALU_DEP_3)
	v_add_co_u32 v10, vcc_lo, v8, v10
	v_add_co_ci_u32_e32 v11, vcc_lo, v9, v11, vcc_lo
	global_load_b32 v15, v[10:11], off
	s_waitcnt vmcnt(0)
	v_mad_u64_u32 v[13:14], null, v15, s34, v[12:13]
	global_store_b32 v[10:11], v13, off
.LBB71_47:
	s_and_not1_b32 vcc_lo, exec_lo, s5
	s_cbranch_vccnz .LBB71_49
; %bb.48:
	v_mad_u64_u32 v[10:11], null, v2, s2, 0
	s_delay_alu instid0(VALU_DEP_1) | instskip(NEXT) | instid1(VALU_DEP_1)
	v_mad_u64_u32 v[12:13], null, v2, s3, v[11:12]
	v_mov_b32_e32 v11, v12
	v_mul_lo_u32 v12, v4, s33
	s_delay_alu instid0(VALU_DEP_2) | instskip(NEXT) | instid1(VALU_DEP_1)
	v_lshlrev_b64 v[10:11], 2, v[10:11]
	v_add_co_u32 v10, vcc_lo, v6, v10
	s_delay_alu instid0(VALU_DEP_2)
	v_add_co_ci_u32_e32 v11, vcc_lo, v7, v11, vcc_lo
	global_load_b32 v15, v[10:11], off
	s_waitcnt vmcnt(0)
	v_mad_u64_u32 v[13:14], null, v15, s34, v[12:13]
	global_store_b32 v[10:11], v13, off
.LBB71_49:
	s_cbranch_execz .LBB71_51
	s_branch .LBB71_55
.LBB71_50:
.LBB71_51:
	v_mul_lo_u32 v4, v4, s33
	s_and_b32 vcc_lo, exec_lo, s1
	s_mov_b32 s5, -1
	s_cbranch_vccz .LBB71_53
; %bb.52:
	v_lshlrev_b64 v[10:11], 2, v[2:3]
	s_mov_b32 s5, 0
	s_delay_alu instid0(VALU_DEP_1) | instskip(NEXT) | instid1(VALU_DEP_2)
	v_add_co_u32 v10, vcc_lo, v8, v10
	v_add_co_ci_u32_e32 v11, vcc_lo, v9, v11, vcc_lo
	global_store_b32 v[10:11], v4, off
.LBB71_53:
	s_and_not1_b32 vcc_lo, exec_lo, s5
	s_cbranch_vccnz .LBB71_55
; %bb.54:
	v_mad_u64_u32 v[10:11], null, v2, s2, 0
	s_delay_alu instid0(VALU_DEP_1) | instskip(NEXT) | instid1(VALU_DEP_1)
	v_mov_b32_e32 v3, v11
	v_mad_u64_u32 v[11:12], null, v2, s3, v[3:4]
	s_delay_alu instid0(VALU_DEP_1) | instskip(NEXT) | instid1(VALU_DEP_1)
	v_lshlrev_b64 v[2:3], 2, v[10:11]
	v_add_co_u32 v2, vcc_lo, v6, v2
	s_delay_alu instid0(VALU_DEP_2)
	v_add_co_ci_u32_e32 v3, vcc_lo, v7, v3, vcc_lo
	global_store_b32 v[2:3], v4, off
.LBB71_55:
	s_or_b32 exec_lo, exec_lo, s0
	v_cmp_gt_i64_e32 vcc_lo, s[6:7], v[0:1]
	s_and_b32 exec_lo, exec_lo, vcc_lo
	s_cbranch_execz .LBB71_62
; %bb.56:
	v_cndmask_b32_e64 v2, 0, 1, s1
	s_and_not1_b32 vcc_lo, exec_lo, s4
	s_delay_alu instid0(VALU_DEP_1)
	v_cmp_ne_u32_e64 s0, 1, v2
	s_cbranch_vccnz .LBB71_63
; %bb.57:
	s_delay_alu instid0(VALU_DEP_1)
	s_and_b32 vcc_lo, exec_lo, s0
	s_mov_b32 s0, -1
	s_cbranch_vccnz .LBB71_59
; %bb.58:
	v_lshlrev_b64 v[2:3], 2, v[0:1]
	v_mul_lo_u32 v4, v5, s33
	s_mov_b32 s0, 0
	s_delay_alu instid0(VALU_DEP_2) | instskip(NEXT) | instid1(VALU_DEP_3)
	v_add_co_u32 v2, vcc_lo, v8, v2
	v_add_co_ci_u32_e32 v3, vcc_lo, v9, v3, vcc_lo
	global_load_b32 v12, v[2:3], off
	s_waitcnt vmcnt(0)
	v_mad_u64_u32 v[10:11], null, v12, s34, v[4:5]
	global_store_b32 v[2:3], v10, off
.LBB71_59:
	s_and_not1_b32 vcc_lo, exec_lo, s0
	s_cbranch_vccnz .LBB71_61
; %bb.60:
	v_mad_u64_u32 v[2:3], null, v0, s2, 0
	s_delay_alu instid0(VALU_DEP_1) | instskip(SKIP_1) | instid1(VALU_DEP_2)
	v_mad_u64_u32 v[10:11], null, v0, s3, v[3:4]
	v_mul_lo_u32 v4, v5, s33
	v_mov_b32_e32 v3, v10
	s_delay_alu instid0(VALU_DEP_1) | instskip(NEXT) | instid1(VALU_DEP_1)
	v_lshlrev_b64 v[2:3], 2, v[2:3]
	v_add_co_u32 v2, vcc_lo, v6, v2
	s_delay_alu instid0(VALU_DEP_2)
	v_add_co_ci_u32_e32 v3, vcc_lo, v7, v3, vcc_lo
	global_load_b32 v12, v[2:3], off
	s_waitcnt vmcnt(0)
	v_mad_u64_u32 v[10:11], null, v12, s34, v[4:5]
	global_store_b32 v[2:3], v10, off
.LBB71_61:
	s_cbranch_execz .LBB71_64
.LBB71_62:
	s_nop 0
	s_sendmsg sendmsg(MSG_DEALLOC_VGPRS)
	s_endpgm
.LBB71_63:
.LBB71_64:
	v_mul_lo_u32 v2, v5, s33
	s_and_not1_b32 vcc_lo, exec_lo, s1
	s_mov_b32 s0, -1
	s_cbranch_vccnz .LBB71_66
; %bb.65:
	v_lshlrev_b64 v[3:4], 2, v[0:1]
	s_mov_b32 s0, 0
	s_delay_alu instid0(VALU_DEP_1) | instskip(NEXT) | instid1(VALU_DEP_2)
	v_add_co_u32 v3, vcc_lo, v8, v3
	v_add_co_ci_u32_e32 v4, vcc_lo, v9, v4, vcc_lo
	global_store_b32 v[3:4], v2, off
.LBB71_66:
	s_and_not1_b32 vcc_lo, exec_lo, s0
	s_cbranch_vccnz .LBB71_62
; %bb.67:
	v_mad_u64_u32 v[3:4], null, v0, s2, 0
	s_delay_alu instid0(VALU_DEP_1) | instskip(NEXT) | instid1(VALU_DEP_1)
	v_mov_b32_e32 v1, v4
	v_mad_u64_u32 v[4:5], null, v0, s3, v[1:2]
	s_delay_alu instid0(VALU_DEP_1) | instskip(NEXT) | instid1(VALU_DEP_1)
	v_lshlrev_b64 v[0:1], 2, v[3:4]
	v_add_co_u32 v0, vcc_lo, v6, v0
	s_delay_alu instid0(VALU_DEP_2)
	v_add_co_ci_u32_e32 v1, vcc_lo, v7, v1, vcc_lo
	global_store_b32 v[0:1], v2, off
	s_nop 0
	s_sendmsg sendmsg(MSG_DEALLOC_VGPRS)
	s_endpgm
	.section	.rodata,"a",@progbits
	.p2align	6, 0x0
	.amdhsa_kernel _ZN9rocsparseL31bsrmm_large_blockdim_kernel_extILj32ELj32ELj2EllaaiiEEvb20rocsparse_direction_T3_S2_llNS_24const_host_device_scalarIT7_EEPKT2_PKS2_PKT4_S2_PKT5_llS5_PT6_ll16rocsparse_order_21rocsparse_index_base_b
		.amdhsa_group_segment_fixed_size 12288
		.amdhsa_private_segment_fixed_size 0
		.amdhsa_kernarg_size 148
		.amdhsa_user_sgpr_count 14
		.amdhsa_user_sgpr_dispatch_ptr 0
		.amdhsa_user_sgpr_queue_ptr 0
		.amdhsa_user_sgpr_kernarg_segment_ptr 1
		.amdhsa_user_sgpr_dispatch_id 0
		.amdhsa_user_sgpr_private_segment_size 0
		.amdhsa_wavefront_size32 1
		.amdhsa_uses_dynamic_stack 0
		.amdhsa_enable_private_segment 0
		.amdhsa_system_sgpr_workgroup_id_x 1
		.amdhsa_system_sgpr_workgroup_id_y 1
		.amdhsa_system_sgpr_workgroup_id_z 0
		.amdhsa_system_sgpr_workgroup_info 0
		.amdhsa_system_vgpr_workitem_id 1
		.amdhsa_next_free_vgpr 41
		.amdhsa_next_free_sgpr 44
		.amdhsa_reserve_vcc 1
		.amdhsa_float_round_mode_32 0
		.amdhsa_float_round_mode_16_64 0
		.amdhsa_float_denorm_mode_32 3
		.amdhsa_float_denorm_mode_16_64 3
		.amdhsa_dx10_clamp 1
		.amdhsa_ieee_mode 1
		.amdhsa_fp16_overflow 0
		.amdhsa_workgroup_processor_mode 1
		.amdhsa_memory_ordered 1
		.amdhsa_forward_progress 0
		.amdhsa_shared_vgpr_count 0
		.amdhsa_exception_fp_ieee_invalid_op 0
		.amdhsa_exception_fp_denorm_src 0
		.amdhsa_exception_fp_ieee_div_zero 0
		.amdhsa_exception_fp_ieee_overflow 0
		.amdhsa_exception_fp_ieee_underflow 0
		.amdhsa_exception_fp_ieee_inexact 0
		.amdhsa_exception_int_div_zero 0
	.end_amdhsa_kernel
	.section	.text._ZN9rocsparseL31bsrmm_large_blockdim_kernel_extILj32ELj32ELj2EllaaiiEEvb20rocsparse_direction_T3_S2_llNS_24const_host_device_scalarIT7_EEPKT2_PKS2_PKT4_S2_PKT5_llS5_PT6_ll16rocsparse_order_21rocsparse_index_base_b,"axG",@progbits,_ZN9rocsparseL31bsrmm_large_blockdim_kernel_extILj32ELj32ELj2EllaaiiEEvb20rocsparse_direction_T3_S2_llNS_24const_host_device_scalarIT7_EEPKT2_PKS2_PKT4_S2_PKT5_llS5_PT6_ll16rocsparse_order_21rocsparse_index_base_b,comdat
.Lfunc_end71:
	.size	_ZN9rocsparseL31bsrmm_large_blockdim_kernel_extILj32ELj32ELj2EllaaiiEEvb20rocsparse_direction_T3_S2_llNS_24const_host_device_scalarIT7_EEPKT2_PKS2_PKT4_S2_PKT5_llS5_PT6_ll16rocsparse_order_21rocsparse_index_base_b, .Lfunc_end71-_ZN9rocsparseL31bsrmm_large_blockdim_kernel_extILj32ELj32ELj2EllaaiiEEvb20rocsparse_direction_T3_S2_llNS_24const_host_device_scalarIT7_EEPKT2_PKS2_PKT4_S2_PKT5_llS5_PT6_ll16rocsparse_order_21rocsparse_index_base_b
                                        ; -- End function
	.section	.AMDGPU.csdata,"",@progbits
; Kernel info:
; codeLenInByte = 2752
; NumSgprs: 46
; NumVgprs: 41
; ScratchSize: 0
; MemoryBound: 0
; FloatMode: 240
; IeeeMode: 1
; LDSByteSize: 12288 bytes/workgroup (compile time only)
; SGPRBlocks: 5
; VGPRBlocks: 5
; NumSGPRsForWavesPerEU: 46
; NumVGPRsForWavesPerEU: 41
; Occupancy: 16
; WaveLimiterHint : 1
; COMPUTE_PGM_RSRC2:SCRATCH_EN: 0
; COMPUTE_PGM_RSRC2:USER_SGPR: 14
; COMPUTE_PGM_RSRC2:TRAP_HANDLER: 0
; COMPUTE_PGM_RSRC2:TGID_X_EN: 1
; COMPUTE_PGM_RSRC2:TGID_Y_EN: 1
; COMPUTE_PGM_RSRC2:TGID_Z_EN: 0
; COMPUTE_PGM_RSRC2:TIDIG_COMP_CNT: 1
	.section	.text._ZN9rocsparseL31bsrmm_large_blockdim_kernel_extILj8ELj8ELj2EiiaaffEEvb20rocsparse_direction_T3_S2_llNS_24const_host_device_scalarIT7_EEPKT2_PKS2_PKT4_S2_PKT5_llS5_PT6_ll16rocsparse_order_21rocsparse_index_base_b,"axG",@progbits,_ZN9rocsparseL31bsrmm_large_blockdim_kernel_extILj8ELj8ELj2EiiaaffEEvb20rocsparse_direction_T3_S2_llNS_24const_host_device_scalarIT7_EEPKT2_PKS2_PKT4_S2_PKT5_llS5_PT6_ll16rocsparse_order_21rocsparse_index_base_b,comdat
	.globl	_ZN9rocsparseL31bsrmm_large_blockdim_kernel_extILj8ELj8ELj2EiiaaffEEvb20rocsparse_direction_T3_S2_llNS_24const_host_device_scalarIT7_EEPKT2_PKS2_PKT4_S2_PKT5_llS5_PT6_ll16rocsparse_order_21rocsparse_index_base_b ; -- Begin function _ZN9rocsparseL31bsrmm_large_blockdim_kernel_extILj8ELj8ELj2EiiaaffEEvb20rocsparse_direction_T3_S2_llNS_24const_host_device_scalarIT7_EEPKT2_PKS2_PKT4_S2_PKT5_llS5_PT6_ll16rocsparse_order_21rocsparse_index_base_b
	.p2align	8
	.type	_ZN9rocsparseL31bsrmm_large_blockdim_kernel_extILj8ELj8ELj2EiiaaffEEvb20rocsparse_direction_T3_S2_llNS_24const_host_device_scalarIT7_EEPKT2_PKS2_PKT4_S2_PKT5_llS5_PT6_ll16rocsparse_order_21rocsparse_index_base_b,@function
_ZN9rocsparseL31bsrmm_large_blockdim_kernel_extILj8ELj8ELj2EiiaaffEEvb20rocsparse_direction_T3_S2_llNS_24const_host_device_scalarIT7_EEPKT2_PKS2_PKT4_S2_PKT5_llS5_PT6_ll16rocsparse_order_21rocsparse_index_base_b: ; @_ZN9rocsparseL31bsrmm_large_blockdim_kernel_extILj8ELj8ELj2EiiaaffEEvb20rocsparse_direction_T3_S2_llNS_24const_host_device_scalarIT7_EEPKT2_PKS2_PKT4_S2_PKT5_llS5_PT6_ll16rocsparse_order_21rocsparse_index_base_b
; %bb.0:
	s_clause 0x2
	s_load_b128 s[16:19], s[0:1], 0x80
	s_load_b64 s[6:7], s[0:1], 0x20
	s_load_b64 s[12:13], s[0:1], 0x60
	s_mov_b32 s2, s15
	s_waitcnt lgkmcnt(0)
	s_bitcmp1_b32 s18, 0
	s_cselect_b32 s3, -1, 0
	s_delay_alu instid0(SALU_CYCLE_1)
	s_and_b32 vcc_lo, exec_lo, s3
	s_xor_b32 s3, s3, -1
	s_cbranch_vccnz .LBB72_2
; %bb.1:
	s_load_b32 s6, s[6:7], 0x0
.LBB72_2:
	s_and_not1_b32 vcc_lo, exec_lo, s3
	s_cbranch_vccnz .LBB72_4
; %bb.3:
	s_load_b32 s12, s[12:13], 0x0
.LBB72_4:
	s_waitcnt lgkmcnt(0)
	v_cmp_eq_f32_e64 s3, s6, 0
	v_cmp_eq_f32_e64 s4, s12, 1.0
	s_mov_b32 s18, 0
	s_delay_alu instid0(VALU_DEP_1) | instskip(NEXT) | instid1(SALU_CYCLE_1)
	s_and_b32 s3, s3, s4
	s_and_b32 vcc_lo, exec_lo, s3
	s_cbranch_vccnz .LBB72_57
; %bb.5:
	s_clause 0x1
	s_load_b128 s[8:11], s[0:1], 0x0
	s_load_b64 s[4:5], s[0:1], 0x28
	s_waitcnt lgkmcnt(0)
	s_cmp_lt_i32 s14, s10
	s_cselect_b32 s7, -1, 0
	s_cmp_ge_i32 s14, s10
	s_cbranch_scc1 .LBB72_7
; %bb.6:
	s_ashr_i32 s15, s14, 31
	s_delay_alu instid0(SALU_CYCLE_1) | instskip(NEXT) | instid1(SALU_CYCLE_1)
	s_lshl_b64 s[18:19], s[14:15], 2
	s_add_u32 s18, s4, s18
	s_addc_u32 s19, s5, s19
	s_load_b32 s3, s[18:19], 0x0
	s_waitcnt lgkmcnt(0)
	s_sub_i32 s18, s3, s17
.LBB72_7:
	s_mov_b32 s20, 0
	s_and_not1_b32 vcc_lo, exec_lo, s7
	s_mov_b32 s13, 0
	s_cbranch_vccnz .LBB72_9
; %bb.8:
	s_ashr_i32 s15, s14, 31
	s_delay_alu instid0(SALU_CYCLE_1) | instskip(NEXT) | instid1(SALU_CYCLE_1)
	s_lshl_b64 s[22:23], s[14:15], 2
	s_add_u32 s4, s4, s22
	s_addc_u32 s5, s5, s23
	s_load_b32 s3, s[4:5], 0x4
	s_waitcnt lgkmcnt(0)
	s_sub_i32 s13, s3, s17
.LBB72_9:
	s_clause 0x1
	s_load_b32 s10, s[0:1], 0x40
	s_load_b64 s[28:29], s[0:1], 0x68
	v_bfe_u32 v10, v0, 10, 10
	s_mov_b32 s21, s20
	v_dual_mov_b32 v1, s20 :: v_dual_and_b32 v4, 0x3ff, v0
	v_mov_b32_e32 v2, s21
	s_delay_alu instid0(VALU_DEP_3) | instskip(SKIP_1) | instid1(VALU_DEP_1)
	v_lshl_add_u32 v3, s2, 4, v10
	s_cmp_ge_i32 s18, s13
	v_add_nc_u32_e32 v0, 8, v3
	v_cmp_gt_i32_e64 s3, s11, v3
	s_delay_alu instid0(VALU_DEP_2)
	v_cmp_gt_i32_e64 s4, s11, v0
	s_waitcnt lgkmcnt(0)
	v_cmp_gt_i32_e64 s2, s10, v4
	s_cbranch_scc1 .LBB72_37
; %bb.10:
	s_clause 0x1
	s_load_b128 s[20:23], s[0:1], 0x48
	s_load_b128 s[24:27], s[0:1], 0x30
	v_cmp_gt_i32_e32 vcc_lo, s10, v10
	v_mad_u64_u32 v[1:2], null, v10, s10, v[4:5]
	v_mad_u64_u32 v[16:17], null, v4, s10, v[10:11]
	v_ashrrev_i32_e32 v13, 31, v0
	s_mov_b32 s34, 0
	v_ashrrev_i32_e32 v12, 31, v3
	s_and_b32 s15, s2, vcc_lo
	s_bitcmp1_b32 s8, 0
	s_mov_b32 s35, s34
	v_lshlrev_b32_e32 v9, 3, v10
	s_cselect_b32 s5, -1, 0
	s_cmp_eq_u32 s9, 0
	v_lshl_add_u32 v2, v4, 3, v10
	s_cselect_b32 vcc_lo, -1, 0
	v_add_lshl_u32 v15, v9, v4, 2
	v_dual_cndmask_b32 v9, v1, v16 :: v_dual_lshlrev_b32 v16, 5, v10
	s_waitcnt lgkmcnt(0)
	v_mul_lo_u32 v18, v0, s23
	v_mul_lo_u32 v19, v13, s22
	v_mad_u64_u32 v[7:8], null, v0, s22, 0
	v_mul_lo_u32 v11, v3, s23
	v_mul_lo_u32 v17, v12, s22
	v_mad_u64_u32 v[5:6], null, v3, s22, 0
	s_add_i32 s9, s10, -1
	s_and_b32 s8, s10, 7
	s_cmp_gt_u32 s9, 6
	v_lshl_add_u32 v14, v2, 2, 0x200
	v_add3_u32 v8, v8, v18, v19
	v_dual_mov_b32 v1, s34 :: v_dual_add_nc_u32 v18, 0x100, v16
	s_delay_alu instid0(VALU_DEP_4)
	v_add3_u32 v6, v6, v11, v17
	s_cselect_b32 s9, -1, 0
	s_and_b32 s30, s10, -8
	v_lshl_add_u32 v17, v4, 5, 0x200
	v_mov_b32_e32 v2, s35
	s_cmp_lg_u32 s8, 0
	s_mul_i32 s33, s10, s10
	s_cselect_b32 s31, -1, 0
	s_branch .LBB72_13
.LBB72_11:                              ;   in Loop: Header=BB72_13 Depth=1
	s_or_b32 exec_lo, exec_lo, s34
.LBB72_12:                              ;   in Loop: Header=BB72_13 Depth=1
	s_delay_alu instid0(SALU_CYCLE_1) | instskip(SKIP_1) | instid1(SALU_CYCLE_1)
	s_or_b32 exec_lo, exec_lo, s19
	s_add_i32 s18, s18, 1
	s_cmp_ge_i32 s18, s13
	s_barrier
	buffer_gl0_inv
	s_cbranch_scc1 .LBB72_37
.LBB72_13:                              ; =>This Loop Header: Depth=1
                                        ;     Child Loop BB72_24 Depth 2
                                        ;     Child Loop BB72_28 Depth 2
	;; [unrolled: 1-line block ×4, first 2 shown]
	s_and_saveexec_b32 s34, s2
	s_cbranch_execz .LBB72_18
; %bb.14:                               ;   in Loop: Header=BB72_13 Depth=1
	s_ashr_i32 s19, s18, 31
	s_delay_alu instid0(SALU_CYCLE_1) | instskip(NEXT) | instid1(SALU_CYCLE_1)
	s_lshl_b64 s[36:37], s[18:19], 2
	s_add_u32 s36, s24, s36
	s_addc_u32 s37, s25, s37
	s_load_b32 s19, s[36:37], 0x0
	s_waitcnt lgkmcnt(0)
	s_sub_i32 s19, s19, s17
	s_delay_alu instid0(SALU_CYCLE_1) | instskip(NEXT) | instid1(VALU_DEP_1)
	v_mad_u64_u32 v[19:20], null, s19, s10, v[4:5]
	v_ashrrev_i32_e32 v20, 31, v19
	v_mul_lo_u32 v21, v19, s23
	v_mad_u64_u32 v[10:11], null, v19, s22, s[20:21]
	v_add_co_u32 v19, vcc_lo, s20, v19
	s_delay_alu instid0(VALU_DEP_4) | instskip(SKIP_1) | instid1(VALU_DEP_2)
	v_mul_lo_u32 v22, v20, s22
	v_add_co_ci_u32_e32 v20, vcc_lo, s21, v20, vcc_lo
	v_add3_u32 v11, v22, v11, v21
	s_and_saveexec_b32 s19, s3
	s_cbranch_execz .LBB72_16
; %bb.15:                               ;   in Loop: Header=BB72_13 Depth=1
	v_add_co_u32 v21, vcc_lo, v19, v5
	v_add_co_ci_u32_e32 v22, vcc_lo, v20, v6, vcc_lo
	v_add_co_u32 v23, vcc_lo, v10, v3
	v_add_co_ci_u32_e32 v24, vcc_lo, v11, v12, vcc_lo
	s_delay_alu instid0(VALU_DEP_2) | instskip(NEXT) | instid1(VALU_DEP_2)
	v_cndmask_b32_e64 v21, v23, v21, s5
	v_cndmask_b32_e64 v22, v24, v22, s5
	global_load_i8 v21, v[21:22], off
	s_waitcnt vmcnt(0)
	v_cvt_f32_i32_e32 v21, v21
	ds_store_b32 v15, v21
.LBB72_16:                              ;   in Loop: Header=BB72_13 Depth=1
	s_or_b32 exec_lo, exec_lo, s19
	s_delay_alu instid0(SALU_CYCLE_1)
	s_and_b32 exec_lo, exec_lo, s4
	s_cbranch_execz .LBB72_18
; %bb.17:                               ;   in Loop: Header=BB72_13 Depth=1
	v_add_co_u32 v19, vcc_lo, v19, v7
	v_add_co_ci_u32_e32 v20, vcc_lo, v20, v8, vcc_lo
	v_add_co_u32 v10, vcc_lo, v10, v0
	v_add_co_ci_u32_e32 v11, vcc_lo, v11, v13, vcc_lo
	s_delay_alu instid0(VALU_DEP_2) | instskip(NEXT) | instid1(VALU_DEP_2)
	v_cndmask_b32_e64 v10, v10, v19, s5
	v_cndmask_b32_e64 v11, v11, v20, s5
	global_load_i8 v10, v[10:11], off
	s_waitcnt vmcnt(0)
	v_cvt_f32_i32_e32 v10, v10
	ds_store_b32 v15, v10 offset:256
.LBB72_18:                              ;   in Loop: Header=BB72_13 Depth=1
	s_or_b32 exec_lo, exec_lo, s34
	s_and_saveexec_b32 s19, s15
	s_cbranch_execz .LBB72_20
; %bb.19:                               ;   in Loop: Header=BB72_13 Depth=1
	v_mad_u64_u32 v[10:11], null, s33, s18, v[9:10]
	s_delay_alu instid0(VALU_DEP_1) | instskip(SKIP_1) | instid1(VALU_DEP_2)
	v_ashrrev_i32_e32 v11, 31, v10
	v_add_co_u32 v10, vcc_lo, s26, v10
	v_add_co_ci_u32_e32 v11, vcc_lo, s27, v11, vcc_lo
	global_load_i8 v10, v[10:11], off
	s_waitcnt vmcnt(0)
	v_cvt_f32_i32_e32 v10, v10
	ds_store_b32 v14, v10
.LBB72_20:                              ;   in Loop: Header=BB72_13 Depth=1
	s_or_b32 exec_lo, exec_lo, s19
	s_waitcnt lgkmcnt(0)
	s_barrier
	buffer_gl0_inv
	s_and_saveexec_b32 s19, s2
	s_cbranch_execz .LBB72_12
; %bb.21:                               ;   in Loop: Header=BB72_13 Depth=1
	s_and_saveexec_b32 s34, s3
	s_cbranch_execz .LBB72_29
; %bb.22:                               ;   in Loop: Header=BB72_13 Depth=1
	s_and_not1_b32 vcc_lo, exec_lo, s9
	s_cbranch_vccnz .LBB72_26
; %bb.23:                               ;   in Loop: Header=BB72_13 Depth=1
	v_dual_mov_b32 v10, v17 :: v_dual_mov_b32 v11, v16
	s_mov_b32 s35, 0
	.p2align	6
.LBB72_24:                              ;   Parent Loop BB72_13 Depth=1
                                        ; =>  This Inner Loop Header: Depth=2
	ds_load_b128 v[19:22], v11
	ds_load_b128 v[23:26], v10
	ds_load_b128 v[27:30], v10 offset:16
	ds_load_b128 v[31:34], v11 offset:16
	v_add_nc_u32_e32 v11, 32, v11
	s_add_i32 s35, s35, 8
	v_add_nc_u32_e32 v10, 32, v10
	s_cmp_lg_u32 s30, s35
	s_waitcnt lgkmcnt(2)
	v_fma_f32 v1, v23, v19, v1
	s_delay_alu instid0(VALU_DEP_1) | instskip(NEXT) | instid1(VALU_DEP_1)
	v_fmac_f32_e32 v1, v24, v20
	v_fmac_f32_e32 v1, v25, v21
	s_delay_alu instid0(VALU_DEP_1) | instskip(SKIP_1) | instid1(VALU_DEP_1)
	v_fmac_f32_e32 v1, v26, v22
	s_waitcnt lgkmcnt(0)
	v_fmac_f32_e32 v1, v27, v31
	s_delay_alu instid0(VALU_DEP_1) | instskip(NEXT) | instid1(VALU_DEP_1)
	v_fmac_f32_e32 v1, v28, v32
	v_fmac_f32_e32 v1, v29, v33
	s_delay_alu instid0(VALU_DEP_1)
	v_fmac_f32_e32 v1, v30, v34
	s_cbranch_scc1 .LBB72_24
; %bb.25:                               ;   in Loop: Header=BB72_13 Depth=1
	s_mov_b32 s35, s30
	s_and_not1_b32 vcc_lo, exec_lo, s31
	s_cbranch_vccz .LBB72_27
	s_branch .LBB72_29
.LBB72_26:                              ;   in Loop: Header=BB72_13 Depth=1
	s_mov_b32 s35, 0
	s_and_not1_b32 vcc_lo, exec_lo, s31
	s_cbranch_vccnz .LBB72_29
.LBB72_27:                              ;   in Loop: Header=BB72_13 Depth=1
	s_lshl_b32 s35, s35, 2
	s_delay_alu instid0(SALU_CYCLE_1)
	v_add_nc_u32_e32 v10, s35, v16
	v_add_nc_u32_e32 v11, s35, v17
	s_mov_b32 s35, s8
.LBB72_28:                              ;   Parent Loop BB72_13 Depth=1
                                        ; =>  This Inner Loop Header: Depth=2
	ds_load_b32 v19, v11
	ds_load_b32 v20, v10
	v_add_nc_u32_e32 v10, 4, v10
	v_add_nc_u32_e32 v11, 4, v11
	s_add_i32 s35, s35, -1
	s_delay_alu instid0(SALU_CYCLE_1)
	s_cmp_lg_u32 s35, 0
	s_waitcnt lgkmcnt(0)
	v_fma_f32 v1, v19, v20, v1
	s_cbranch_scc1 .LBB72_28
.LBB72_29:                              ;   in Loop: Header=BB72_13 Depth=1
	s_or_b32 exec_lo, exec_lo, s34
	s_and_saveexec_b32 s34, s4
	s_cbranch_execz .LBB72_11
; %bb.30:                               ;   in Loop: Header=BB72_13 Depth=1
	s_and_not1_b32 vcc_lo, exec_lo, s9
	s_cbranch_vccnz .LBB72_34
; %bb.31:                               ;   in Loop: Header=BB72_13 Depth=1
	v_dual_mov_b32 v10, v17 :: v_dual_mov_b32 v11, v18
	s_mov_b32 s35, 0
	.p2align	6
.LBB72_32:                              ;   Parent Loop BB72_13 Depth=1
                                        ; =>  This Inner Loop Header: Depth=2
	ds_load_b128 v[19:22], v11
	ds_load_b128 v[23:26], v10
	ds_load_b128 v[27:30], v10 offset:16
	ds_load_b128 v[31:34], v11 offset:16
	v_add_nc_u32_e32 v10, 32, v10
	s_add_i32 s35, s35, 8
	v_add_nc_u32_e32 v11, 32, v11
	s_cmp_lg_u32 s30, s35
	s_waitcnt lgkmcnt(2)
	v_fma_f32 v2, v23, v19, v2
	s_delay_alu instid0(VALU_DEP_1) | instskip(NEXT) | instid1(VALU_DEP_1)
	v_fmac_f32_e32 v2, v24, v20
	v_fmac_f32_e32 v2, v25, v21
	s_delay_alu instid0(VALU_DEP_1) | instskip(SKIP_1) | instid1(VALU_DEP_1)
	v_fmac_f32_e32 v2, v26, v22
	s_waitcnt lgkmcnt(0)
	v_fmac_f32_e32 v2, v27, v31
	s_delay_alu instid0(VALU_DEP_1) | instskip(NEXT) | instid1(VALU_DEP_1)
	v_fmac_f32_e32 v2, v28, v32
	v_fmac_f32_e32 v2, v29, v33
	s_delay_alu instid0(VALU_DEP_1)
	v_fmac_f32_e32 v2, v30, v34
	s_cbranch_scc1 .LBB72_32
; %bb.33:                               ;   in Loop: Header=BB72_13 Depth=1
	s_mov_b32 s35, s30
	s_and_not1_b32 vcc_lo, exec_lo, s31
	s_cbranch_vccz .LBB72_35
	s_branch .LBB72_11
.LBB72_34:                              ;   in Loop: Header=BB72_13 Depth=1
	s_mov_b32 s35, 0
	s_and_not1_b32 vcc_lo, exec_lo, s31
	s_cbranch_vccnz .LBB72_11
.LBB72_35:                              ;   in Loop: Header=BB72_13 Depth=1
	s_lshl_b32 s35, s35, 2
	s_delay_alu instid0(SALU_CYCLE_1)
	v_add_nc_u32_e32 v10, s35, v18
	v_add_nc_u32_e32 v11, s35, v17
	s_mov_b32 s35, s8
.LBB72_36:                              ;   Parent Loop BB72_13 Depth=1
                                        ; =>  This Inner Loop Header: Depth=2
	ds_load_b32 v19, v11
	ds_load_b32 v20, v10
	v_add_nc_u32_e32 v10, 4, v10
	v_add_nc_u32_e32 v11, 4, v11
	s_add_i32 s35, s35, -1
	s_delay_alu instid0(SALU_CYCLE_1)
	s_cmp_lg_u32 s35, 0
	s_waitcnt lgkmcnt(0)
	v_fma_f32 v2, v19, v20, v2
	s_cbranch_scc1 .LBB72_36
	s_branch .LBB72_11
.LBB72_37:
	s_delay_alu instid0(VALU_DEP_1) | instskip(NEXT) | instid1(SALU_CYCLE_1)
	s_and_b32 s2, s7, s2
	s_and_saveexec_b32 s3, s2
	s_cbranch_execz .LBB72_57
; %bb.38:
	s_load_b64 s[2:3], s[0:1], 0x70
	v_mad_u64_u32 v[5:6], null, s14, s10, v[4:5]
	v_cmp_neq_f32_e64 s4, s12, 0
	s_cmp_lg_u32 s16, 1
	s_mov_b32 s0, exec_lo
	s_cselect_b32 s1, -1, 0
	s_delay_alu instid0(VALU_DEP_2) | instskip(SKIP_1) | instid1(VALU_DEP_1)
	v_ashrrev_i32_e32 v6, 31, v5
	s_waitcnt lgkmcnt(0)
	v_mul_lo_u32 v4, v6, s2
	v_mul_lo_u32 v9, v5, s3
	v_mad_u64_u32 v[7:8], null, v5, s2, 0
	v_lshlrev_b64 v[5:6], 2, v[5:6]
	s_delay_alu instid0(VALU_DEP_1) | instskip(NEXT) | instid1(VALU_DEP_3)
	v_add_co_u32 v5, vcc_lo, s28, v5
	v_add3_u32 v8, v8, v9, v4
	s_delay_alu instid0(VALU_DEP_3) | instskip(NEXT) | instid1(VALU_DEP_2)
	v_add_co_ci_u32_e32 v6, vcc_lo, s29, v6, vcc_lo
	v_lshlrev_b64 v[7:8], 2, v[7:8]
	s_delay_alu instid0(VALU_DEP_1) | instskip(NEXT) | instid1(VALU_DEP_2)
	v_add_co_u32 v7, vcc_lo, s28, v7
	v_add_co_ci_u32_e32 v8, vcc_lo, s29, v8, vcc_lo
	v_cmpx_gt_i32_e64 s11, v3
	s_cbranch_execz .LBB72_50
; %bb.39:
	v_ashrrev_i32_e32 v4, 31, v3
	s_and_b32 vcc_lo, exec_lo, s4
	s_cbranch_vccz .LBB72_45
; %bb.40:
	s_and_b32 vcc_lo, exec_lo, s1
	s_mov_b32 s5, -1
	s_cbranch_vccz .LBB72_42
; %bb.41:
	v_lshlrev_b64 v[9:10], 2, v[3:4]
	v_mul_f32_e32 v12, s6, v1
	s_mov_b32 s5, 0
	s_delay_alu instid0(VALU_DEP_2) | instskip(NEXT) | instid1(VALU_DEP_3)
	v_add_co_u32 v9, vcc_lo, v7, v9
	v_add_co_ci_u32_e32 v10, vcc_lo, v8, v10, vcc_lo
	global_load_b32 v11, v[9:10], off
	s_waitcnt vmcnt(0)
	v_fmac_f32_e32 v12, s12, v11
	global_store_b32 v[9:10], v12, off
.LBB72_42:
	s_and_not1_b32 vcc_lo, exec_lo, s5
	s_cbranch_vccnz .LBB72_44
; %bb.43:
	v_mul_lo_u32 v11, v4, s2
	v_mul_lo_u32 v12, v3, s3
	v_mad_u64_u32 v[9:10], null, v3, s2, 0
	s_delay_alu instid0(VALU_DEP_1) | instskip(SKIP_1) | instid1(VALU_DEP_2)
	v_add3_u32 v10, v10, v12, v11
	v_mul_f32_e32 v12, s6, v1
	v_lshlrev_b64 v[9:10], 2, v[9:10]
	s_delay_alu instid0(VALU_DEP_1) | instskip(NEXT) | instid1(VALU_DEP_2)
	v_add_co_u32 v9, vcc_lo, v5, v9
	v_add_co_ci_u32_e32 v10, vcc_lo, v6, v10, vcc_lo
	global_load_b32 v11, v[9:10], off
	s_waitcnt vmcnt(0)
	v_fmac_f32_e32 v12, s12, v11
	global_store_b32 v[9:10], v12, off
.LBB72_44:
	s_cbranch_execz .LBB72_46
	s_branch .LBB72_50
.LBB72_45:
.LBB72_46:
	v_mul_f32_e32 v1, s6, v1
	s_and_b32 vcc_lo, exec_lo, s1
	s_mov_b32 s5, -1
	s_cbranch_vccz .LBB72_48
; %bb.47:
	v_lshlrev_b64 v[9:10], 2, v[3:4]
	s_mov_b32 s5, 0
	s_delay_alu instid0(VALU_DEP_1) | instskip(NEXT) | instid1(VALU_DEP_2)
	v_add_co_u32 v9, vcc_lo, v7, v9
	v_add_co_ci_u32_e32 v10, vcc_lo, v8, v10, vcc_lo
	global_store_b32 v[9:10], v1, off
.LBB72_48:
	s_and_not1_b32 vcc_lo, exec_lo, s5
	s_cbranch_vccnz .LBB72_50
; %bb.49:
	v_mul_lo_u32 v4, v4, s2
	v_mul_lo_u32 v11, v3, s3
	v_mad_u64_u32 v[9:10], null, v3, s2, 0
	s_delay_alu instid0(VALU_DEP_1) | instskip(NEXT) | instid1(VALU_DEP_1)
	v_add3_u32 v10, v10, v11, v4
	v_lshlrev_b64 v[3:4], 2, v[9:10]
	s_delay_alu instid0(VALU_DEP_1) | instskip(NEXT) | instid1(VALU_DEP_2)
	v_add_co_u32 v3, vcc_lo, v5, v3
	v_add_co_ci_u32_e32 v4, vcc_lo, v6, v4, vcc_lo
	global_store_b32 v[3:4], v1, off
.LBB72_50:
	s_or_b32 exec_lo, exec_lo, s0
	v_cmp_gt_i32_e32 vcc_lo, s11, v0
	s_and_b32 exec_lo, exec_lo, vcc_lo
	s_cbranch_execz .LBB72_57
; %bb.51:
	v_cndmask_b32_e64 v3, 0, 1, s1
	v_ashrrev_i32_e32 v1, 31, v0
	s_and_not1_b32 vcc_lo, exec_lo, s4
	s_delay_alu instid0(VALU_DEP_2)
	v_cmp_ne_u32_e64 s0, 1, v3
	s_cbranch_vccnz .LBB72_58
; %bb.52:
	s_delay_alu instid0(VALU_DEP_1)
	s_and_b32 vcc_lo, exec_lo, s0
	s_mov_b32 s0, -1
	s_cbranch_vccnz .LBB72_54
; %bb.53:
	v_lshlrev_b64 v[3:4], 2, v[0:1]
	v_mul_f32_e32 v10, s6, v2
	s_mov_b32 s0, 0
	s_delay_alu instid0(VALU_DEP_2) | instskip(NEXT) | instid1(VALU_DEP_3)
	v_add_co_u32 v3, vcc_lo, v7, v3
	v_add_co_ci_u32_e32 v4, vcc_lo, v8, v4, vcc_lo
	global_load_b32 v9, v[3:4], off
	s_waitcnt vmcnt(0)
	v_fmac_f32_e32 v10, s12, v9
	global_store_b32 v[3:4], v10, off
.LBB72_54:
	s_and_not1_b32 vcc_lo, exec_lo, s0
	s_cbranch_vccnz .LBB72_56
; %bb.55:
	v_mul_lo_u32 v9, v1, s2
	v_mul_lo_u32 v10, v0, s3
	v_mad_u64_u32 v[3:4], null, v0, s2, 0
	s_delay_alu instid0(VALU_DEP_1) | instskip(SKIP_1) | instid1(VALU_DEP_2)
	v_add3_u32 v4, v4, v10, v9
	v_mul_f32_e32 v10, s6, v2
	v_lshlrev_b64 v[3:4], 2, v[3:4]
	s_delay_alu instid0(VALU_DEP_1) | instskip(NEXT) | instid1(VALU_DEP_2)
	v_add_co_u32 v3, vcc_lo, v5, v3
	v_add_co_ci_u32_e32 v4, vcc_lo, v6, v4, vcc_lo
	global_load_b32 v9, v[3:4], off
	s_waitcnt vmcnt(0)
	v_fmac_f32_e32 v10, s12, v9
	global_store_b32 v[3:4], v10, off
.LBB72_56:
	s_cbranch_execz .LBB72_59
.LBB72_57:
	s_nop 0
	s_sendmsg sendmsg(MSG_DEALLOC_VGPRS)
	s_endpgm
.LBB72_58:
.LBB72_59:
	v_mul_f32_e32 v2, s6, v2
	s_and_not1_b32 vcc_lo, exec_lo, s1
	s_mov_b32 s0, -1
	s_cbranch_vccnz .LBB72_61
; %bb.60:
	v_lshlrev_b64 v[3:4], 2, v[0:1]
	s_mov_b32 s0, 0
	s_delay_alu instid0(VALU_DEP_1) | instskip(NEXT) | instid1(VALU_DEP_2)
	v_add_co_u32 v3, vcc_lo, v7, v3
	v_add_co_ci_u32_e32 v4, vcc_lo, v8, v4, vcc_lo
	global_store_b32 v[3:4], v2, off
.LBB72_61:
	s_and_not1_b32 vcc_lo, exec_lo, s0
	s_cbranch_vccnz .LBB72_57
; %bb.62:
	v_mul_lo_u32 v1, v1, s2
	v_mul_lo_u32 v7, v0, s3
	v_mad_u64_u32 v[3:4], null, v0, s2, 0
	s_delay_alu instid0(VALU_DEP_1) | instskip(NEXT) | instid1(VALU_DEP_1)
	v_add3_u32 v4, v4, v7, v1
	v_lshlrev_b64 v[0:1], 2, v[3:4]
	s_delay_alu instid0(VALU_DEP_1) | instskip(NEXT) | instid1(VALU_DEP_2)
	v_add_co_u32 v0, vcc_lo, v5, v0
	v_add_co_ci_u32_e32 v1, vcc_lo, v6, v1, vcc_lo
	global_store_b32 v[0:1], v2, off
	s_nop 0
	s_sendmsg sendmsg(MSG_DEALLOC_VGPRS)
	s_endpgm
	.section	.rodata,"a",@progbits
	.p2align	6, 0x0
	.amdhsa_kernel _ZN9rocsparseL31bsrmm_large_blockdim_kernel_extILj8ELj8ELj2EiiaaffEEvb20rocsparse_direction_T3_S2_llNS_24const_host_device_scalarIT7_EEPKT2_PKS2_PKT4_S2_PKT5_llS5_PT6_ll16rocsparse_order_21rocsparse_index_base_b
		.amdhsa_group_segment_fixed_size 768
		.amdhsa_private_segment_fixed_size 0
		.amdhsa_kernarg_size 140
		.amdhsa_user_sgpr_count 14
		.amdhsa_user_sgpr_dispatch_ptr 0
		.amdhsa_user_sgpr_queue_ptr 0
		.amdhsa_user_sgpr_kernarg_segment_ptr 1
		.amdhsa_user_sgpr_dispatch_id 0
		.amdhsa_user_sgpr_private_segment_size 0
		.amdhsa_wavefront_size32 1
		.amdhsa_uses_dynamic_stack 0
		.amdhsa_enable_private_segment 0
		.amdhsa_system_sgpr_workgroup_id_x 1
		.amdhsa_system_sgpr_workgroup_id_y 1
		.amdhsa_system_sgpr_workgroup_id_z 0
		.amdhsa_system_sgpr_workgroup_info 0
		.amdhsa_system_vgpr_workitem_id 1
		.amdhsa_next_free_vgpr 35
		.amdhsa_next_free_sgpr 38
		.amdhsa_reserve_vcc 1
		.amdhsa_float_round_mode_32 0
		.amdhsa_float_round_mode_16_64 0
		.amdhsa_float_denorm_mode_32 3
		.amdhsa_float_denorm_mode_16_64 3
		.amdhsa_dx10_clamp 1
		.amdhsa_ieee_mode 1
		.amdhsa_fp16_overflow 0
		.amdhsa_workgroup_processor_mode 1
		.amdhsa_memory_ordered 1
		.amdhsa_forward_progress 0
		.amdhsa_shared_vgpr_count 0
		.amdhsa_exception_fp_ieee_invalid_op 0
		.amdhsa_exception_fp_denorm_src 0
		.amdhsa_exception_fp_ieee_div_zero 0
		.amdhsa_exception_fp_ieee_overflow 0
		.amdhsa_exception_fp_ieee_underflow 0
		.amdhsa_exception_fp_ieee_inexact 0
		.amdhsa_exception_int_div_zero 0
	.end_amdhsa_kernel
	.section	.text._ZN9rocsparseL31bsrmm_large_blockdim_kernel_extILj8ELj8ELj2EiiaaffEEvb20rocsparse_direction_T3_S2_llNS_24const_host_device_scalarIT7_EEPKT2_PKS2_PKT4_S2_PKT5_llS5_PT6_ll16rocsparse_order_21rocsparse_index_base_b,"axG",@progbits,_ZN9rocsparseL31bsrmm_large_blockdim_kernel_extILj8ELj8ELj2EiiaaffEEvb20rocsparse_direction_T3_S2_llNS_24const_host_device_scalarIT7_EEPKT2_PKS2_PKT4_S2_PKT5_llS5_PT6_ll16rocsparse_order_21rocsparse_index_base_b,comdat
.Lfunc_end72:
	.size	_ZN9rocsparseL31bsrmm_large_blockdim_kernel_extILj8ELj8ELj2EiiaaffEEvb20rocsparse_direction_T3_S2_llNS_24const_host_device_scalarIT7_EEPKT2_PKS2_PKT4_S2_PKT5_llS5_PT6_ll16rocsparse_order_21rocsparse_index_base_b, .Lfunc_end72-_ZN9rocsparseL31bsrmm_large_blockdim_kernel_extILj8ELj8ELj2EiiaaffEEvb20rocsparse_direction_T3_S2_llNS_24const_host_device_scalarIT7_EEPKT2_PKS2_PKT4_S2_PKT5_llS5_PT6_ll16rocsparse_order_21rocsparse_index_base_b
                                        ; -- End function
	.section	.AMDGPU.csdata,"",@progbits
; Kernel info:
; codeLenInByte = 2336
; NumSgprs: 40
; NumVgprs: 35
; ScratchSize: 0
; MemoryBound: 0
; FloatMode: 240
; IeeeMode: 1
; LDSByteSize: 768 bytes/workgroup (compile time only)
; SGPRBlocks: 4
; VGPRBlocks: 4
; NumSGPRsForWavesPerEU: 40
; NumVGPRsForWavesPerEU: 35
; Occupancy: 16
; WaveLimiterHint : 1
; COMPUTE_PGM_RSRC2:SCRATCH_EN: 0
; COMPUTE_PGM_RSRC2:USER_SGPR: 14
; COMPUTE_PGM_RSRC2:TRAP_HANDLER: 0
; COMPUTE_PGM_RSRC2:TGID_X_EN: 1
; COMPUTE_PGM_RSRC2:TGID_Y_EN: 1
; COMPUTE_PGM_RSRC2:TGID_Z_EN: 0
; COMPUTE_PGM_RSRC2:TIDIG_COMP_CNT: 1
	.section	.text._ZN9rocsparseL31bsrmm_large_blockdim_kernel_extILj4ELj16ELj2EiiaaffEEvb20rocsparse_direction_T3_S2_llNS_24const_host_device_scalarIT7_EEPKT2_PKS2_PKT4_S2_PKT5_llS5_PT6_ll16rocsparse_order_21rocsparse_index_base_b,"axG",@progbits,_ZN9rocsparseL31bsrmm_large_blockdim_kernel_extILj4ELj16ELj2EiiaaffEEvb20rocsparse_direction_T3_S2_llNS_24const_host_device_scalarIT7_EEPKT2_PKS2_PKT4_S2_PKT5_llS5_PT6_ll16rocsparse_order_21rocsparse_index_base_b,comdat
	.globl	_ZN9rocsparseL31bsrmm_large_blockdim_kernel_extILj4ELj16ELj2EiiaaffEEvb20rocsparse_direction_T3_S2_llNS_24const_host_device_scalarIT7_EEPKT2_PKS2_PKT4_S2_PKT5_llS5_PT6_ll16rocsparse_order_21rocsparse_index_base_b ; -- Begin function _ZN9rocsparseL31bsrmm_large_blockdim_kernel_extILj4ELj16ELj2EiiaaffEEvb20rocsparse_direction_T3_S2_llNS_24const_host_device_scalarIT7_EEPKT2_PKS2_PKT4_S2_PKT5_llS5_PT6_ll16rocsparse_order_21rocsparse_index_base_b
	.p2align	8
	.type	_ZN9rocsparseL31bsrmm_large_blockdim_kernel_extILj4ELj16ELj2EiiaaffEEvb20rocsparse_direction_T3_S2_llNS_24const_host_device_scalarIT7_EEPKT2_PKS2_PKT4_S2_PKT5_llS5_PT6_ll16rocsparse_order_21rocsparse_index_base_b,@function
_ZN9rocsparseL31bsrmm_large_blockdim_kernel_extILj4ELj16ELj2EiiaaffEEvb20rocsparse_direction_T3_S2_llNS_24const_host_device_scalarIT7_EEPKT2_PKS2_PKT4_S2_PKT5_llS5_PT6_ll16rocsparse_order_21rocsparse_index_base_b: ; @_ZN9rocsparseL31bsrmm_large_blockdim_kernel_extILj4ELj16ELj2EiiaaffEEvb20rocsparse_direction_T3_S2_llNS_24const_host_device_scalarIT7_EEPKT2_PKS2_PKT4_S2_PKT5_llS5_PT6_ll16rocsparse_order_21rocsparse_index_base_b
; %bb.0:
	s_clause 0x2
	s_load_b128 s[16:19], s[0:1], 0x80
	s_load_b64 s[6:7], s[0:1], 0x20
	s_load_b64 s[12:13], s[0:1], 0x60
	s_mov_b32 s2, s15
	s_waitcnt lgkmcnt(0)
	s_bitcmp1_b32 s18, 0
	s_cselect_b32 s3, -1, 0
	s_delay_alu instid0(SALU_CYCLE_1)
	s_and_b32 vcc_lo, exec_lo, s3
	s_xor_b32 s3, s3, -1
	s_cbranch_vccnz .LBB73_2
; %bb.1:
	s_load_b32 s6, s[6:7], 0x0
.LBB73_2:
	s_and_not1_b32 vcc_lo, exec_lo, s3
	s_cbranch_vccnz .LBB73_4
; %bb.3:
	s_load_b32 s12, s[12:13], 0x0
.LBB73_4:
	s_waitcnt lgkmcnt(0)
	v_cmp_eq_f32_e64 s3, s6, 0
	v_cmp_eq_f32_e64 s4, s12, 1.0
	s_mov_b32 s18, 0
	s_delay_alu instid0(VALU_DEP_1) | instskip(NEXT) | instid1(SALU_CYCLE_1)
	s_and_b32 s3, s3, s4
	s_and_b32 vcc_lo, exec_lo, s3
	s_cbranch_vccnz .LBB73_57
; %bb.5:
	s_clause 0x1
	s_load_b128 s[8:11], s[0:1], 0x0
	s_load_b64 s[4:5], s[0:1], 0x28
	s_waitcnt lgkmcnt(0)
	s_cmp_lt_i32 s14, s10
	s_cselect_b32 s7, -1, 0
	s_cmp_ge_i32 s14, s10
	s_cbranch_scc1 .LBB73_7
; %bb.6:
	s_ashr_i32 s15, s14, 31
	s_delay_alu instid0(SALU_CYCLE_1) | instskip(NEXT) | instid1(SALU_CYCLE_1)
	s_lshl_b64 s[18:19], s[14:15], 2
	s_add_u32 s18, s4, s18
	s_addc_u32 s19, s5, s19
	s_load_b32 s3, s[18:19], 0x0
	s_waitcnt lgkmcnt(0)
	s_sub_i32 s18, s3, s17
.LBB73_7:
	s_mov_b32 s20, 0
	s_and_not1_b32 vcc_lo, exec_lo, s7
	s_mov_b32 s13, 0
	s_cbranch_vccnz .LBB73_9
; %bb.8:
	s_ashr_i32 s15, s14, 31
	s_delay_alu instid0(SALU_CYCLE_1) | instskip(NEXT) | instid1(SALU_CYCLE_1)
	s_lshl_b64 s[22:23], s[14:15], 2
	s_add_u32 s4, s4, s22
	s_addc_u32 s5, s5, s23
	s_load_b32 s3, s[4:5], 0x4
	s_waitcnt lgkmcnt(0)
	s_sub_i32 s13, s3, s17
.LBB73_9:
	s_clause 0x1
	s_load_b32 s10, s[0:1], 0x40
	s_load_b64 s[28:29], s[0:1], 0x68
	v_bfe_u32 v10, v0, 10, 10
	s_mov_b32 s21, s20
	v_dual_mov_b32 v1, s20 :: v_dual_and_b32 v4, 0x3ff, v0
	v_mov_b32_e32 v2, s21
	s_delay_alu instid0(VALU_DEP_3) | instskip(SKIP_1) | instid1(VALU_DEP_1)
	v_lshl_add_u32 v3, s2, 5, v10
	s_cmp_ge_i32 s18, s13
	v_add_nc_u32_e32 v0, 16, v3
	v_cmp_gt_i32_e64 s3, s11, v3
	s_delay_alu instid0(VALU_DEP_2)
	v_cmp_gt_i32_e64 s4, s11, v0
	s_waitcnt lgkmcnt(0)
	v_cmp_gt_i32_e64 s2, s10, v4
	s_cbranch_scc1 .LBB73_37
; %bb.10:
	s_clause 0x1
	s_load_b128 s[20:23], s[0:1], 0x48
	s_load_b128 s[24:27], s[0:1], 0x30
	v_cmp_gt_i32_e32 vcc_lo, s10, v10
	v_mad_u64_u32 v[1:2], null, v10, s10, v[4:5]
	v_mad_u64_u32 v[16:17], null, v4, s10, v[10:11]
	v_ashrrev_i32_e32 v13, 31, v0
	s_mov_b32 s34, 0
	v_ashrrev_i32_e32 v12, 31, v3
	s_and_b32 s15, s2, vcc_lo
	s_bitcmp1_b32 s8, 0
	s_mov_b32 s35, s34
	v_lshlrev_b32_e32 v9, 2, v10
	s_cselect_b32 s5, -1, 0
	s_cmp_eq_u32 s9, 0
	v_lshl_add_u32 v2, v4, 2, v10
	s_cselect_b32 vcc_lo, -1, 0
	v_add_lshl_u32 v15, v9, v4, 2
	v_dual_cndmask_b32 v9, v1, v16 :: v_dual_lshlrev_b32 v16, 4, v10
	s_waitcnt lgkmcnt(0)
	v_mul_lo_u32 v18, v0, s23
	v_mul_lo_u32 v19, v13, s22
	v_mad_u64_u32 v[7:8], null, v0, s22, 0
	v_mul_lo_u32 v11, v3, s23
	v_mul_lo_u32 v17, v12, s22
	v_mad_u64_u32 v[5:6], null, v3, s22, 0
	s_add_i32 s9, s10, -1
	s_and_b32 s8, s10, 7
	s_cmp_gt_u32 s9, 6
	v_lshl_add_u32 v14, v2, 2, 0x200
	v_add3_u32 v8, v8, v18, v19
	v_dual_mov_b32 v1, s34 :: v_dual_add_nc_u32 v18, 0x100, v16
	s_delay_alu instid0(VALU_DEP_4)
	v_add3_u32 v6, v6, v11, v17
	s_cselect_b32 s9, -1, 0
	s_and_b32 s30, s10, -8
	v_lshl_add_u32 v17, v4, 4, 0x200
	v_mov_b32_e32 v2, s35
	s_cmp_lg_u32 s8, 0
	s_mul_i32 s33, s10, s10
	s_cselect_b32 s31, -1, 0
	s_branch .LBB73_13
.LBB73_11:                              ;   in Loop: Header=BB73_13 Depth=1
	s_or_b32 exec_lo, exec_lo, s34
.LBB73_12:                              ;   in Loop: Header=BB73_13 Depth=1
	s_delay_alu instid0(SALU_CYCLE_1) | instskip(SKIP_1) | instid1(SALU_CYCLE_1)
	s_or_b32 exec_lo, exec_lo, s19
	s_add_i32 s18, s18, 1
	s_cmp_ge_i32 s18, s13
	s_barrier
	buffer_gl0_inv
	s_cbranch_scc1 .LBB73_37
.LBB73_13:                              ; =>This Loop Header: Depth=1
                                        ;     Child Loop BB73_24 Depth 2
                                        ;     Child Loop BB73_28 Depth 2
	;; [unrolled: 1-line block ×4, first 2 shown]
	s_and_saveexec_b32 s34, s2
	s_cbranch_execz .LBB73_18
; %bb.14:                               ;   in Loop: Header=BB73_13 Depth=1
	s_ashr_i32 s19, s18, 31
	s_delay_alu instid0(SALU_CYCLE_1) | instskip(NEXT) | instid1(SALU_CYCLE_1)
	s_lshl_b64 s[36:37], s[18:19], 2
	s_add_u32 s36, s24, s36
	s_addc_u32 s37, s25, s37
	s_load_b32 s19, s[36:37], 0x0
	s_waitcnt lgkmcnt(0)
	s_sub_i32 s19, s19, s17
	s_delay_alu instid0(SALU_CYCLE_1) | instskip(NEXT) | instid1(VALU_DEP_1)
	v_mad_u64_u32 v[19:20], null, s19, s10, v[4:5]
	v_ashrrev_i32_e32 v20, 31, v19
	v_mul_lo_u32 v21, v19, s23
	v_mad_u64_u32 v[10:11], null, v19, s22, s[20:21]
	v_add_co_u32 v19, vcc_lo, s20, v19
	s_delay_alu instid0(VALU_DEP_4) | instskip(SKIP_1) | instid1(VALU_DEP_2)
	v_mul_lo_u32 v22, v20, s22
	v_add_co_ci_u32_e32 v20, vcc_lo, s21, v20, vcc_lo
	v_add3_u32 v11, v22, v11, v21
	s_and_saveexec_b32 s19, s3
	s_cbranch_execz .LBB73_16
; %bb.15:                               ;   in Loop: Header=BB73_13 Depth=1
	v_add_co_u32 v21, vcc_lo, v19, v5
	v_add_co_ci_u32_e32 v22, vcc_lo, v20, v6, vcc_lo
	v_add_co_u32 v23, vcc_lo, v10, v3
	v_add_co_ci_u32_e32 v24, vcc_lo, v11, v12, vcc_lo
	s_delay_alu instid0(VALU_DEP_2) | instskip(NEXT) | instid1(VALU_DEP_2)
	v_cndmask_b32_e64 v21, v23, v21, s5
	v_cndmask_b32_e64 v22, v24, v22, s5
	global_load_i8 v21, v[21:22], off
	s_waitcnt vmcnt(0)
	v_cvt_f32_i32_e32 v21, v21
	ds_store_b32 v15, v21
.LBB73_16:                              ;   in Loop: Header=BB73_13 Depth=1
	s_or_b32 exec_lo, exec_lo, s19
	s_delay_alu instid0(SALU_CYCLE_1)
	s_and_b32 exec_lo, exec_lo, s4
	s_cbranch_execz .LBB73_18
; %bb.17:                               ;   in Loop: Header=BB73_13 Depth=1
	v_add_co_u32 v19, vcc_lo, v19, v7
	v_add_co_ci_u32_e32 v20, vcc_lo, v20, v8, vcc_lo
	v_add_co_u32 v10, vcc_lo, v10, v0
	v_add_co_ci_u32_e32 v11, vcc_lo, v11, v13, vcc_lo
	s_delay_alu instid0(VALU_DEP_2) | instskip(NEXT) | instid1(VALU_DEP_2)
	v_cndmask_b32_e64 v10, v10, v19, s5
	v_cndmask_b32_e64 v11, v11, v20, s5
	global_load_i8 v10, v[10:11], off
	s_waitcnt vmcnt(0)
	v_cvt_f32_i32_e32 v10, v10
	ds_store_b32 v15, v10 offset:256
.LBB73_18:                              ;   in Loop: Header=BB73_13 Depth=1
	s_or_b32 exec_lo, exec_lo, s34
	s_and_saveexec_b32 s19, s15
	s_cbranch_execz .LBB73_20
; %bb.19:                               ;   in Loop: Header=BB73_13 Depth=1
	v_mad_u64_u32 v[10:11], null, s33, s18, v[9:10]
	s_delay_alu instid0(VALU_DEP_1) | instskip(SKIP_1) | instid1(VALU_DEP_2)
	v_ashrrev_i32_e32 v11, 31, v10
	v_add_co_u32 v10, vcc_lo, s26, v10
	v_add_co_ci_u32_e32 v11, vcc_lo, s27, v11, vcc_lo
	global_load_i8 v10, v[10:11], off
	s_waitcnt vmcnt(0)
	v_cvt_f32_i32_e32 v10, v10
	ds_store_b32 v14, v10
.LBB73_20:                              ;   in Loop: Header=BB73_13 Depth=1
	s_or_b32 exec_lo, exec_lo, s19
	s_waitcnt lgkmcnt(0)
	s_barrier
	buffer_gl0_inv
	s_and_saveexec_b32 s19, s2
	s_cbranch_execz .LBB73_12
; %bb.21:                               ;   in Loop: Header=BB73_13 Depth=1
	s_and_saveexec_b32 s34, s3
	s_cbranch_execz .LBB73_29
; %bb.22:                               ;   in Loop: Header=BB73_13 Depth=1
	s_and_not1_b32 vcc_lo, exec_lo, s9
	s_cbranch_vccnz .LBB73_26
; %bb.23:                               ;   in Loop: Header=BB73_13 Depth=1
	v_dual_mov_b32 v10, v17 :: v_dual_mov_b32 v11, v16
	s_mov_b32 s35, 0
	.p2align	6
.LBB73_24:                              ;   Parent Loop BB73_13 Depth=1
                                        ; =>  This Inner Loop Header: Depth=2
	ds_load_b128 v[19:22], v11
	ds_load_b128 v[23:26], v10
	ds_load_b128 v[27:30], v10 offset:16
	ds_load_b128 v[31:34], v11 offset:16
	v_add_nc_u32_e32 v11, 32, v11
	s_add_i32 s35, s35, 8
	v_add_nc_u32_e32 v10, 32, v10
	s_cmp_lg_u32 s30, s35
	s_waitcnt lgkmcnt(2)
	v_fma_f32 v1, v23, v19, v1
	s_delay_alu instid0(VALU_DEP_1) | instskip(NEXT) | instid1(VALU_DEP_1)
	v_fmac_f32_e32 v1, v24, v20
	v_fmac_f32_e32 v1, v25, v21
	s_delay_alu instid0(VALU_DEP_1) | instskip(SKIP_1) | instid1(VALU_DEP_1)
	v_fmac_f32_e32 v1, v26, v22
	s_waitcnt lgkmcnt(0)
	v_fmac_f32_e32 v1, v27, v31
	s_delay_alu instid0(VALU_DEP_1) | instskip(NEXT) | instid1(VALU_DEP_1)
	v_fmac_f32_e32 v1, v28, v32
	v_fmac_f32_e32 v1, v29, v33
	s_delay_alu instid0(VALU_DEP_1)
	v_fmac_f32_e32 v1, v30, v34
	s_cbranch_scc1 .LBB73_24
; %bb.25:                               ;   in Loop: Header=BB73_13 Depth=1
	s_mov_b32 s35, s30
	s_and_not1_b32 vcc_lo, exec_lo, s31
	s_cbranch_vccz .LBB73_27
	s_branch .LBB73_29
.LBB73_26:                              ;   in Loop: Header=BB73_13 Depth=1
	s_mov_b32 s35, 0
	s_and_not1_b32 vcc_lo, exec_lo, s31
	s_cbranch_vccnz .LBB73_29
.LBB73_27:                              ;   in Loop: Header=BB73_13 Depth=1
	s_lshl_b32 s35, s35, 2
	s_delay_alu instid0(SALU_CYCLE_1)
	v_add_nc_u32_e32 v10, s35, v16
	v_add_nc_u32_e32 v11, s35, v17
	s_mov_b32 s35, s8
.LBB73_28:                              ;   Parent Loop BB73_13 Depth=1
                                        ; =>  This Inner Loop Header: Depth=2
	ds_load_b32 v19, v11
	ds_load_b32 v20, v10
	v_add_nc_u32_e32 v10, 4, v10
	v_add_nc_u32_e32 v11, 4, v11
	s_add_i32 s35, s35, -1
	s_delay_alu instid0(SALU_CYCLE_1)
	s_cmp_lg_u32 s35, 0
	s_waitcnt lgkmcnt(0)
	v_fma_f32 v1, v19, v20, v1
	s_cbranch_scc1 .LBB73_28
.LBB73_29:                              ;   in Loop: Header=BB73_13 Depth=1
	s_or_b32 exec_lo, exec_lo, s34
	s_and_saveexec_b32 s34, s4
	s_cbranch_execz .LBB73_11
; %bb.30:                               ;   in Loop: Header=BB73_13 Depth=1
	s_and_not1_b32 vcc_lo, exec_lo, s9
	s_cbranch_vccnz .LBB73_34
; %bb.31:                               ;   in Loop: Header=BB73_13 Depth=1
	v_dual_mov_b32 v10, v17 :: v_dual_mov_b32 v11, v18
	s_mov_b32 s35, 0
	.p2align	6
.LBB73_32:                              ;   Parent Loop BB73_13 Depth=1
                                        ; =>  This Inner Loop Header: Depth=2
	ds_load_b128 v[19:22], v11
	ds_load_b128 v[23:26], v10
	ds_load_b128 v[27:30], v10 offset:16
	ds_load_b128 v[31:34], v11 offset:16
	v_add_nc_u32_e32 v10, 32, v10
	s_add_i32 s35, s35, 8
	v_add_nc_u32_e32 v11, 32, v11
	s_cmp_lg_u32 s30, s35
	s_waitcnt lgkmcnt(2)
	v_fma_f32 v2, v23, v19, v2
	s_delay_alu instid0(VALU_DEP_1) | instskip(NEXT) | instid1(VALU_DEP_1)
	v_fmac_f32_e32 v2, v24, v20
	v_fmac_f32_e32 v2, v25, v21
	s_delay_alu instid0(VALU_DEP_1) | instskip(SKIP_1) | instid1(VALU_DEP_1)
	v_fmac_f32_e32 v2, v26, v22
	s_waitcnt lgkmcnt(0)
	v_fmac_f32_e32 v2, v27, v31
	s_delay_alu instid0(VALU_DEP_1) | instskip(NEXT) | instid1(VALU_DEP_1)
	v_fmac_f32_e32 v2, v28, v32
	v_fmac_f32_e32 v2, v29, v33
	s_delay_alu instid0(VALU_DEP_1)
	v_fmac_f32_e32 v2, v30, v34
	s_cbranch_scc1 .LBB73_32
; %bb.33:                               ;   in Loop: Header=BB73_13 Depth=1
	s_mov_b32 s35, s30
	s_and_not1_b32 vcc_lo, exec_lo, s31
	s_cbranch_vccz .LBB73_35
	s_branch .LBB73_11
.LBB73_34:                              ;   in Loop: Header=BB73_13 Depth=1
	s_mov_b32 s35, 0
	s_and_not1_b32 vcc_lo, exec_lo, s31
	s_cbranch_vccnz .LBB73_11
.LBB73_35:                              ;   in Loop: Header=BB73_13 Depth=1
	s_lshl_b32 s35, s35, 2
	s_delay_alu instid0(SALU_CYCLE_1)
	v_add_nc_u32_e32 v10, s35, v18
	v_add_nc_u32_e32 v11, s35, v17
	s_mov_b32 s35, s8
.LBB73_36:                              ;   Parent Loop BB73_13 Depth=1
                                        ; =>  This Inner Loop Header: Depth=2
	ds_load_b32 v19, v11
	ds_load_b32 v20, v10
	v_add_nc_u32_e32 v10, 4, v10
	v_add_nc_u32_e32 v11, 4, v11
	s_add_i32 s35, s35, -1
	s_delay_alu instid0(SALU_CYCLE_1)
	s_cmp_lg_u32 s35, 0
	s_waitcnt lgkmcnt(0)
	v_fma_f32 v2, v19, v20, v2
	s_cbranch_scc1 .LBB73_36
	s_branch .LBB73_11
.LBB73_37:
	s_delay_alu instid0(VALU_DEP_1) | instskip(NEXT) | instid1(SALU_CYCLE_1)
	s_and_b32 s2, s7, s2
	s_and_saveexec_b32 s3, s2
	s_cbranch_execz .LBB73_57
; %bb.38:
	s_load_b64 s[2:3], s[0:1], 0x70
	v_mad_u64_u32 v[5:6], null, s14, s10, v[4:5]
	v_cmp_neq_f32_e64 s4, s12, 0
	s_cmp_lg_u32 s16, 1
	s_mov_b32 s0, exec_lo
	s_cselect_b32 s1, -1, 0
	s_delay_alu instid0(VALU_DEP_2) | instskip(SKIP_1) | instid1(VALU_DEP_1)
	v_ashrrev_i32_e32 v6, 31, v5
	s_waitcnt lgkmcnt(0)
	v_mul_lo_u32 v4, v6, s2
	v_mul_lo_u32 v9, v5, s3
	v_mad_u64_u32 v[7:8], null, v5, s2, 0
	v_lshlrev_b64 v[5:6], 2, v[5:6]
	s_delay_alu instid0(VALU_DEP_1) | instskip(NEXT) | instid1(VALU_DEP_3)
	v_add_co_u32 v5, vcc_lo, s28, v5
	v_add3_u32 v8, v8, v9, v4
	s_delay_alu instid0(VALU_DEP_3) | instskip(NEXT) | instid1(VALU_DEP_2)
	v_add_co_ci_u32_e32 v6, vcc_lo, s29, v6, vcc_lo
	v_lshlrev_b64 v[7:8], 2, v[7:8]
	s_delay_alu instid0(VALU_DEP_1) | instskip(NEXT) | instid1(VALU_DEP_2)
	v_add_co_u32 v7, vcc_lo, s28, v7
	v_add_co_ci_u32_e32 v8, vcc_lo, s29, v8, vcc_lo
	v_cmpx_gt_i32_e64 s11, v3
	s_cbranch_execz .LBB73_50
; %bb.39:
	v_ashrrev_i32_e32 v4, 31, v3
	s_and_b32 vcc_lo, exec_lo, s4
	s_cbranch_vccz .LBB73_45
; %bb.40:
	s_and_b32 vcc_lo, exec_lo, s1
	s_mov_b32 s5, -1
	s_cbranch_vccz .LBB73_42
; %bb.41:
	v_lshlrev_b64 v[9:10], 2, v[3:4]
	v_mul_f32_e32 v12, s6, v1
	s_mov_b32 s5, 0
	s_delay_alu instid0(VALU_DEP_2) | instskip(NEXT) | instid1(VALU_DEP_3)
	v_add_co_u32 v9, vcc_lo, v7, v9
	v_add_co_ci_u32_e32 v10, vcc_lo, v8, v10, vcc_lo
	global_load_b32 v11, v[9:10], off
	s_waitcnt vmcnt(0)
	v_fmac_f32_e32 v12, s12, v11
	global_store_b32 v[9:10], v12, off
.LBB73_42:
	s_and_not1_b32 vcc_lo, exec_lo, s5
	s_cbranch_vccnz .LBB73_44
; %bb.43:
	v_mul_lo_u32 v11, v4, s2
	v_mul_lo_u32 v12, v3, s3
	v_mad_u64_u32 v[9:10], null, v3, s2, 0
	s_delay_alu instid0(VALU_DEP_1) | instskip(SKIP_1) | instid1(VALU_DEP_2)
	v_add3_u32 v10, v10, v12, v11
	v_mul_f32_e32 v12, s6, v1
	v_lshlrev_b64 v[9:10], 2, v[9:10]
	s_delay_alu instid0(VALU_DEP_1) | instskip(NEXT) | instid1(VALU_DEP_2)
	v_add_co_u32 v9, vcc_lo, v5, v9
	v_add_co_ci_u32_e32 v10, vcc_lo, v6, v10, vcc_lo
	global_load_b32 v11, v[9:10], off
	s_waitcnt vmcnt(0)
	v_fmac_f32_e32 v12, s12, v11
	global_store_b32 v[9:10], v12, off
.LBB73_44:
	s_cbranch_execz .LBB73_46
	s_branch .LBB73_50
.LBB73_45:
.LBB73_46:
	v_mul_f32_e32 v1, s6, v1
	s_and_b32 vcc_lo, exec_lo, s1
	s_mov_b32 s5, -1
	s_cbranch_vccz .LBB73_48
; %bb.47:
	v_lshlrev_b64 v[9:10], 2, v[3:4]
	s_mov_b32 s5, 0
	s_delay_alu instid0(VALU_DEP_1) | instskip(NEXT) | instid1(VALU_DEP_2)
	v_add_co_u32 v9, vcc_lo, v7, v9
	v_add_co_ci_u32_e32 v10, vcc_lo, v8, v10, vcc_lo
	global_store_b32 v[9:10], v1, off
.LBB73_48:
	s_and_not1_b32 vcc_lo, exec_lo, s5
	s_cbranch_vccnz .LBB73_50
; %bb.49:
	v_mul_lo_u32 v4, v4, s2
	v_mul_lo_u32 v11, v3, s3
	v_mad_u64_u32 v[9:10], null, v3, s2, 0
	s_delay_alu instid0(VALU_DEP_1) | instskip(NEXT) | instid1(VALU_DEP_1)
	v_add3_u32 v10, v10, v11, v4
	v_lshlrev_b64 v[3:4], 2, v[9:10]
	s_delay_alu instid0(VALU_DEP_1) | instskip(NEXT) | instid1(VALU_DEP_2)
	v_add_co_u32 v3, vcc_lo, v5, v3
	v_add_co_ci_u32_e32 v4, vcc_lo, v6, v4, vcc_lo
	global_store_b32 v[3:4], v1, off
.LBB73_50:
	s_or_b32 exec_lo, exec_lo, s0
	v_cmp_gt_i32_e32 vcc_lo, s11, v0
	s_and_b32 exec_lo, exec_lo, vcc_lo
	s_cbranch_execz .LBB73_57
; %bb.51:
	v_cndmask_b32_e64 v3, 0, 1, s1
	v_ashrrev_i32_e32 v1, 31, v0
	s_and_not1_b32 vcc_lo, exec_lo, s4
	s_delay_alu instid0(VALU_DEP_2)
	v_cmp_ne_u32_e64 s0, 1, v3
	s_cbranch_vccnz .LBB73_58
; %bb.52:
	s_delay_alu instid0(VALU_DEP_1)
	s_and_b32 vcc_lo, exec_lo, s0
	s_mov_b32 s0, -1
	s_cbranch_vccnz .LBB73_54
; %bb.53:
	v_lshlrev_b64 v[3:4], 2, v[0:1]
	v_mul_f32_e32 v10, s6, v2
	s_mov_b32 s0, 0
	s_delay_alu instid0(VALU_DEP_2) | instskip(NEXT) | instid1(VALU_DEP_3)
	v_add_co_u32 v3, vcc_lo, v7, v3
	v_add_co_ci_u32_e32 v4, vcc_lo, v8, v4, vcc_lo
	global_load_b32 v9, v[3:4], off
	s_waitcnt vmcnt(0)
	v_fmac_f32_e32 v10, s12, v9
	global_store_b32 v[3:4], v10, off
.LBB73_54:
	s_and_not1_b32 vcc_lo, exec_lo, s0
	s_cbranch_vccnz .LBB73_56
; %bb.55:
	v_mul_lo_u32 v9, v1, s2
	v_mul_lo_u32 v10, v0, s3
	v_mad_u64_u32 v[3:4], null, v0, s2, 0
	s_delay_alu instid0(VALU_DEP_1) | instskip(SKIP_1) | instid1(VALU_DEP_2)
	v_add3_u32 v4, v4, v10, v9
	v_mul_f32_e32 v10, s6, v2
	v_lshlrev_b64 v[3:4], 2, v[3:4]
	s_delay_alu instid0(VALU_DEP_1) | instskip(NEXT) | instid1(VALU_DEP_2)
	v_add_co_u32 v3, vcc_lo, v5, v3
	v_add_co_ci_u32_e32 v4, vcc_lo, v6, v4, vcc_lo
	global_load_b32 v9, v[3:4], off
	s_waitcnt vmcnt(0)
	v_fmac_f32_e32 v10, s12, v9
	global_store_b32 v[3:4], v10, off
.LBB73_56:
	s_cbranch_execz .LBB73_59
.LBB73_57:
	s_nop 0
	s_sendmsg sendmsg(MSG_DEALLOC_VGPRS)
	s_endpgm
.LBB73_58:
.LBB73_59:
	v_mul_f32_e32 v2, s6, v2
	s_and_not1_b32 vcc_lo, exec_lo, s1
	s_mov_b32 s0, -1
	s_cbranch_vccnz .LBB73_61
; %bb.60:
	v_lshlrev_b64 v[3:4], 2, v[0:1]
	s_mov_b32 s0, 0
	s_delay_alu instid0(VALU_DEP_1) | instskip(NEXT) | instid1(VALU_DEP_2)
	v_add_co_u32 v3, vcc_lo, v7, v3
	v_add_co_ci_u32_e32 v4, vcc_lo, v8, v4, vcc_lo
	global_store_b32 v[3:4], v2, off
.LBB73_61:
	s_and_not1_b32 vcc_lo, exec_lo, s0
	s_cbranch_vccnz .LBB73_57
; %bb.62:
	v_mul_lo_u32 v1, v1, s2
	v_mul_lo_u32 v7, v0, s3
	v_mad_u64_u32 v[3:4], null, v0, s2, 0
	s_delay_alu instid0(VALU_DEP_1) | instskip(NEXT) | instid1(VALU_DEP_1)
	v_add3_u32 v4, v4, v7, v1
	v_lshlrev_b64 v[0:1], 2, v[3:4]
	s_delay_alu instid0(VALU_DEP_1) | instskip(NEXT) | instid1(VALU_DEP_2)
	v_add_co_u32 v0, vcc_lo, v5, v0
	v_add_co_ci_u32_e32 v1, vcc_lo, v6, v1, vcc_lo
	global_store_b32 v[0:1], v2, off
	s_nop 0
	s_sendmsg sendmsg(MSG_DEALLOC_VGPRS)
	s_endpgm
	.section	.rodata,"a",@progbits
	.p2align	6, 0x0
	.amdhsa_kernel _ZN9rocsparseL31bsrmm_large_blockdim_kernel_extILj4ELj16ELj2EiiaaffEEvb20rocsparse_direction_T3_S2_llNS_24const_host_device_scalarIT7_EEPKT2_PKS2_PKT4_S2_PKT5_llS5_PT6_ll16rocsparse_order_21rocsparse_index_base_b
		.amdhsa_group_segment_fixed_size 576
		.amdhsa_private_segment_fixed_size 0
		.amdhsa_kernarg_size 140
		.amdhsa_user_sgpr_count 14
		.amdhsa_user_sgpr_dispatch_ptr 0
		.amdhsa_user_sgpr_queue_ptr 0
		.amdhsa_user_sgpr_kernarg_segment_ptr 1
		.amdhsa_user_sgpr_dispatch_id 0
		.amdhsa_user_sgpr_private_segment_size 0
		.amdhsa_wavefront_size32 1
		.amdhsa_uses_dynamic_stack 0
		.amdhsa_enable_private_segment 0
		.amdhsa_system_sgpr_workgroup_id_x 1
		.amdhsa_system_sgpr_workgroup_id_y 1
		.amdhsa_system_sgpr_workgroup_id_z 0
		.amdhsa_system_sgpr_workgroup_info 0
		.amdhsa_system_vgpr_workitem_id 1
		.amdhsa_next_free_vgpr 35
		.amdhsa_next_free_sgpr 38
		.amdhsa_reserve_vcc 1
		.amdhsa_float_round_mode_32 0
		.amdhsa_float_round_mode_16_64 0
		.amdhsa_float_denorm_mode_32 3
		.amdhsa_float_denorm_mode_16_64 3
		.amdhsa_dx10_clamp 1
		.amdhsa_ieee_mode 1
		.amdhsa_fp16_overflow 0
		.amdhsa_workgroup_processor_mode 1
		.amdhsa_memory_ordered 1
		.amdhsa_forward_progress 0
		.amdhsa_shared_vgpr_count 0
		.amdhsa_exception_fp_ieee_invalid_op 0
		.amdhsa_exception_fp_denorm_src 0
		.amdhsa_exception_fp_ieee_div_zero 0
		.amdhsa_exception_fp_ieee_overflow 0
		.amdhsa_exception_fp_ieee_underflow 0
		.amdhsa_exception_fp_ieee_inexact 0
		.amdhsa_exception_int_div_zero 0
	.end_amdhsa_kernel
	.section	.text._ZN9rocsparseL31bsrmm_large_blockdim_kernel_extILj4ELj16ELj2EiiaaffEEvb20rocsparse_direction_T3_S2_llNS_24const_host_device_scalarIT7_EEPKT2_PKS2_PKT4_S2_PKT5_llS5_PT6_ll16rocsparse_order_21rocsparse_index_base_b,"axG",@progbits,_ZN9rocsparseL31bsrmm_large_blockdim_kernel_extILj4ELj16ELj2EiiaaffEEvb20rocsparse_direction_T3_S2_llNS_24const_host_device_scalarIT7_EEPKT2_PKS2_PKT4_S2_PKT5_llS5_PT6_ll16rocsparse_order_21rocsparse_index_base_b,comdat
.Lfunc_end73:
	.size	_ZN9rocsparseL31bsrmm_large_blockdim_kernel_extILj4ELj16ELj2EiiaaffEEvb20rocsparse_direction_T3_S2_llNS_24const_host_device_scalarIT7_EEPKT2_PKS2_PKT4_S2_PKT5_llS5_PT6_ll16rocsparse_order_21rocsparse_index_base_b, .Lfunc_end73-_ZN9rocsparseL31bsrmm_large_blockdim_kernel_extILj4ELj16ELj2EiiaaffEEvb20rocsparse_direction_T3_S2_llNS_24const_host_device_scalarIT7_EEPKT2_PKS2_PKT4_S2_PKT5_llS5_PT6_ll16rocsparse_order_21rocsparse_index_base_b
                                        ; -- End function
	.section	.AMDGPU.csdata,"",@progbits
; Kernel info:
; codeLenInByte = 2336
; NumSgprs: 40
; NumVgprs: 35
; ScratchSize: 0
; MemoryBound: 0
; FloatMode: 240
; IeeeMode: 1
; LDSByteSize: 576 bytes/workgroup (compile time only)
; SGPRBlocks: 4
; VGPRBlocks: 4
; NumSGPRsForWavesPerEU: 40
; NumVGPRsForWavesPerEU: 35
; Occupancy: 16
; WaveLimiterHint : 1
; COMPUTE_PGM_RSRC2:SCRATCH_EN: 0
; COMPUTE_PGM_RSRC2:USER_SGPR: 14
; COMPUTE_PGM_RSRC2:TRAP_HANDLER: 0
; COMPUTE_PGM_RSRC2:TGID_X_EN: 1
; COMPUTE_PGM_RSRC2:TGID_Y_EN: 1
; COMPUTE_PGM_RSRC2:TGID_Z_EN: 0
; COMPUTE_PGM_RSRC2:TIDIG_COMP_CNT: 1
	.section	.text._ZN9rocsparseL31bsrmm_large_blockdim_kernel_extILj16ELj16ELj2EiiaaffEEvb20rocsparse_direction_T3_S2_llNS_24const_host_device_scalarIT7_EEPKT2_PKS2_PKT4_S2_PKT5_llS5_PT6_ll16rocsparse_order_21rocsparse_index_base_b,"axG",@progbits,_ZN9rocsparseL31bsrmm_large_blockdim_kernel_extILj16ELj16ELj2EiiaaffEEvb20rocsparse_direction_T3_S2_llNS_24const_host_device_scalarIT7_EEPKT2_PKS2_PKT4_S2_PKT5_llS5_PT6_ll16rocsparse_order_21rocsparse_index_base_b,comdat
	.globl	_ZN9rocsparseL31bsrmm_large_blockdim_kernel_extILj16ELj16ELj2EiiaaffEEvb20rocsparse_direction_T3_S2_llNS_24const_host_device_scalarIT7_EEPKT2_PKS2_PKT4_S2_PKT5_llS5_PT6_ll16rocsparse_order_21rocsparse_index_base_b ; -- Begin function _ZN9rocsparseL31bsrmm_large_blockdim_kernel_extILj16ELj16ELj2EiiaaffEEvb20rocsparse_direction_T3_S2_llNS_24const_host_device_scalarIT7_EEPKT2_PKS2_PKT4_S2_PKT5_llS5_PT6_ll16rocsparse_order_21rocsparse_index_base_b
	.p2align	8
	.type	_ZN9rocsparseL31bsrmm_large_blockdim_kernel_extILj16ELj16ELj2EiiaaffEEvb20rocsparse_direction_T3_S2_llNS_24const_host_device_scalarIT7_EEPKT2_PKS2_PKT4_S2_PKT5_llS5_PT6_ll16rocsparse_order_21rocsparse_index_base_b,@function
_ZN9rocsparseL31bsrmm_large_blockdim_kernel_extILj16ELj16ELj2EiiaaffEEvb20rocsparse_direction_T3_S2_llNS_24const_host_device_scalarIT7_EEPKT2_PKS2_PKT4_S2_PKT5_llS5_PT6_ll16rocsparse_order_21rocsparse_index_base_b: ; @_ZN9rocsparseL31bsrmm_large_blockdim_kernel_extILj16ELj16ELj2EiiaaffEEvb20rocsparse_direction_T3_S2_llNS_24const_host_device_scalarIT7_EEPKT2_PKS2_PKT4_S2_PKT5_llS5_PT6_ll16rocsparse_order_21rocsparse_index_base_b
; %bb.0:
	s_clause 0x2
	s_load_b128 s[16:19], s[0:1], 0x80
	s_load_b64 s[6:7], s[0:1], 0x20
	s_load_b64 s[12:13], s[0:1], 0x60
	s_mov_b32 s2, s15
	s_waitcnt lgkmcnt(0)
	s_bitcmp1_b32 s18, 0
	s_cselect_b32 s3, -1, 0
	s_delay_alu instid0(SALU_CYCLE_1)
	s_and_b32 vcc_lo, exec_lo, s3
	s_xor_b32 s3, s3, -1
	s_cbranch_vccnz .LBB74_2
; %bb.1:
	s_load_b32 s6, s[6:7], 0x0
.LBB74_2:
	s_and_not1_b32 vcc_lo, exec_lo, s3
	s_cbranch_vccnz .LBB74_4
; %bb.3:
	s_load_b32 s12, s[12:13], 0x0
.LBB74_4:
	s_waitcnt lgkmcnt(0)
	v_cmp_eq_f32_e64 s3, s6, 0
	v_cmp_eq_f32_e64 s4, s12, 1.0
	s_mov_b32 s18, 0
	s_delay_alu instid0(VALU_DEP_1) | instskip(NEXT) | instid1(SALU_CYCLE_1)
	s_and_b32 s3, s3, s4
	s_and_b32 vcc_lo, exec_lo, s3
	s_cbranch_vccnz .LBB74_57
; %bb.5:
	s_clause 0x1
	s_load_b128 s[8:11], s[0:1], 0x0
	s_load_b64 s[4:5], s[0:1], 0x28
	s_waitcnt lgkmcnt(0)
	s_cmp_lt_i32 s14, s10
	s_cselect_b32 s7, -1, 0
	s_cmp_ge_i32 s14, s10
	s_cbranch_scc1 .LBB74_7
; %bb.6:
	s_ashr_i32 s15, s14, 31
	s_delay_alu instid0(SALU_CYCLE_1) | instskip(NEXT) | instid1(SALU_CYCLE_1)
	s_lshl_b64 s[18:19], s[14:15], 2
	s_add_u32 s18, s4, s18
	s_addc_u32 s19, s5, s19
	s_load_b32 s3, s[18:19], 0x0
	s_waitcnt lgkmcnt(0)
	s_sub_i32 s18, s3, s17
.LBB74_7:
	s_mov_b32 s20, 0
	s_and_not1_b32 vcc_lo, exec_lo, s7
	s_mov_b32 s13, 0
	s_cbranch_vccnz .LBB74_9
; %bb.8:
	s_ashr_i32 s15, s14, 31
	s_delay_alu instid0(SALU_CYCLE_1) | instskip(NEXT) | instid1(SALU_CYCLE_1)
	s_lshl_b64 s[22:23], s[14:15], 2
	s_add_u32 s4, s4, s22
	s_addc_u32 s5, s5, s23
	s_load_b32 s3, s[4:5], 0x4
	s_waitcnt lgkmcnt(0)
	s_sub_i32 s13, s3, s17
.LBB74_9:
	s_clause 0x1
	s_load_b32 s10, s[0:1], 0x40
	s_load_b64 s[28:29], s[0:1], 0x68
	v_bfe_u32 v10, v0, 10, 10
	s_mov_b32 s21, s20
	v_dual_mov_b32 v1, s20 :: v_dual_and_b32 v4, 0x3ff, v0
	v_mov_b32_e32 v2, s21
	s_delay_alu instid0(VALU_DEP_3) | instskip(SKIP_1) | instid1(VALU_DEP_1)
	v_lshl_add_u32 v3, s2, 5, v10
	s_cmp_ge_i32 s18, s13
	v_add_nc_u32_e32 v0, 16, v3
	v_cmp_gt_i32_e64 s3, s11, v3
	s_delay_alu instid0(VALU_DEP_2)
	v_cmp_gt_i32_e64 s4, s11, v0
	s_waitcnt lgkmcnt(0)
	v_cmp_gt_i32_e64 s2, s10, v4
	s_cbranch_scc1 .LBB74_37
; %bb.10:
	s_clause 0x1
	s_load_b128 s[20:23], s[0:1], 0x48
	s_load_b128 s[24:27], s[0:1], 0x30
	v_cmp_gt_i32_e32 vcc_lo, s10, v10
	v_mad_u64_u32 v[1:2], null, v10, s10, v[4:5]
	v_mad_u64_u32 v[16:17], null, v4, s10, v[10:11]
	v_ashrrev_i32_e32 v13, 31, v0
	s_mov_b32 s34, 0
	v_ashrrev_i32_e32 v12, 31, v3
	s_and_b32 s15, s2, vcc_lo
	s_bitcmp1_b32 s8, 0
	s_mov_b32 s35, s34
	v_lshlrev_b32_e32 v9, 4, v10
	s_cselect_b32 s5, -1, 0
	s_cmp_eq_u32 s9, 0
	v_lshl_add_u32 v2, v4, 4, v10
	s_cselect_b32 vcc_lo, -1, 0
	v_add_lshl_u32 v15, v9, v4, 2
	v_dual_cndmask_b32 v9, v1, v16 :: v_dual_lshlrev_b32 v16, 6, v10
	s_waitcnt lgkmcnt(0)
	v_mul_lo_u32 v18, v0, s23
	v_mul_lo_u32 v19, v13, s22
	v_mad_u64_u32 v[7:8], null, v0, s22, 0
	v_mul_lo_u32 v11, v3, s23
	v_mul_lo_u32 v17, v12, s22
	v_mad_u64_u32 v[5:6], null, v3, s22, 0
	s_add_i32 s9, s10, -1
	s_and_b32 s8, s10, 7
	s_cmp_gt_u32 s9, 6
	v_lshl_add_u32 v14, v2, 2, 0x800
	v_add3_u32 v8, v8, v18, v19
	v_dual_mov_b32 v1, s34 :: v_dual_add_nc_u32 v18, 0x400, v16
	s_delay_alu instid0(VALU_DEP_4)
	v_add3_u32 v6, v6, v11, v17
	s_cselect_b32 s9, -1, 0
	s_and_b32 s30, s10, -8
	v_lshl_add_u32 v17, v4, 6, 0x800
	v_mov_b32_e32 v2, s35
	s_cmp_lg_u32 s8, 0
	s_mul_i32 s33, s10, s10
	s_cselect_b32 s31, -1, 0
	s_branch .LBB74_13
.LBB74_11:                              ;   in Loop: Header=BB74_13 Depth=1
	s_or_b32 exec_lo, exec_lo, s34
.LBB74_12:                              ;   in Loop: Header=BB74_13 Depth=1
	s_delay_alu instid0(SALU_CYCLE_1) | instskip(SKIP_1) | instid1(SALU_CYCLE_1)
	s_or_b32 exec_lo, exec_lo, s19
	s_add_i32 s18, s18, 1
	s_cmp_ge_i32 s18, s13
	s_barrier
	buffer_gl0_inv
	s_cbranch_scc1 .LBB74_37
.LBB74_13:                              ; =>This Loop Header: Depth=1
                                        ;     Child Loop BB74_24 Depth 2
                                        ;     Child Loop BB74_28 Depth 2
	;; [unrolled: 1-line block ×4, first 2 shown]
	s_and_saveexec_b32 s34, s2
	s_cbranch_execz .LBB74_18
; %bb.14:                               ;   in Loop: Header=BB74_13 Depth=1
	s_ashr_i32 s19, s18, 31
	s_delay_alu instid0(SALU_CYCLE_1) | instskip(NEXT) | instid1(SALU_CYCLE_1)
	s_lshl_b64 s[36:37], s[18:19], 2
	s_add_u32 s36, s24, s36
	s_addc_u32 s37, s25, s37
	s_load_b32 s19, s[36:37], 0x0
	s_waitcnt lgkmcnt(0)
	s_sub_i32 s19, s19, s17
	s_delay_alu instid0(SALU_CYCLE_1) | instskip(NEXT) | instid1(VALU_DEP_1)
	v_mad_u64_u32 v[19:20], null, s19, s10, v[4:5]
	v_ashrrev_i32_e32 v20, 31, v19
	v_mul_lo_u32 v21, v19, s23
	v_mad_u64_u32 v[10:11], null, v19, s22, s[20:21]
	v_add_co_u32 v19, vcc_lo, s20, v19
	s_delay_alu instid0(VALU_DEP_4) | instskip(SKIP_1) | instid1(VALU_DEP_2)
	v_mul_lo_u32 v22, v20, s22
	v_add_co_ci_u32_e32 v20, vcc_lo, s21, v20, vcc_lo
	v_add3_u32 v11, v22, v11, v21
	s_and_saveexec_b32 s19, s3
	s_cbranch_execz .LBB74_16
; %bb.15:                               ;   in Loop: Header=BB74_13 Depth=1
	v_add_co_u32 v21, vcc_lo, v19, v5
	v_add_co_ci_u32_e32 v22, vcc_lo, v20, v6, vcc_lo
	v_add_co_u32 v23, vcc_lo, v10, v3
	v_add_co_ci_u32_e32 v24, vcc_lo, v11, v12, vcc_lo
	s_delay_alu instid0(VALU_DEP_2) | instskip(NEXT) | instid1(VALU_DEP_2)
	v_cndmask_b32_e64 v21, v23, v21, s5
	v_cndmask_b32_e64 v22, v24, v22, s5
	global_load_i8 v21, v[21:22], off
	s_waitcnt vmcnt(0)
	v_cvt_f32_i32_e32 v21, v21
	ds_store_b32 v15, v21
.LBB74_16:                              ;   in Loop: Header=BB74_13 Depth=1
	s_or_b32 exec_lo, exec_lo, s19
	s_delay_alu instid0(SALU_CYCLE_1)
	s_and_b32 exec_lo, exec_lo, s4
	s_cbranch_execz .LBB74_18
; %bb.17:                               ;   in Loop: Header=BB74_13 Depth=1
	v_add_co_u32 v19, vcc_lo, v19, v7
	v_add_co_ci_u32_e32 v20, vcc_lo, v20, v8, vcc_lo
	v_add_co_u32 v10, vcc_lo, v10, v0
	v_add_co_ci_u32_e32 v11, vcc_lo, v11, v13, vcc_lo
	s_delay_alu instid0(VALU_DEP_2) | instskip(NEXT) | instid1(VALU_DEP_2)
	v_cndmask_b32_e64 v10, v10, v19, s5
	v_cndmask_b32_e64 v11, v11, v20, s5
	global_load_i8 v10, v[10:11], off
	s_waitcnt vmcnt(0)
	v_cvt_f32_i32_e32 v10, v10
	ds_store_b32 v15, v10 offset:1024
.LBB74_18:                              ;   in Loop: Header=BB74_13 Depth=1
	s_or_b32 exec_lo, exec_lo, s34
	s_and_saveexec_b32 s19, s15
	s_cbranch_execz .LBB74_20
; %bb.19:                               ;   in Loop: Header=BB74_13 Depth=1
	v_mad_u64_u32 v[10:11], null, s33, s18, v[9:10]
	s_delay_alu instid0(VALU_DEP_1) | instskip(SKIP_1) | instid1(VALU_DEP_2)
	v_ashrrev_i32_e32 v11, 31, v10
	v_add_co_u32 v10, vcc_lo, s26, v10
	v_add_co_ci_u32_e32 v11, vcc_lo, s27, v11, vcc_lo
	global_load_i8 v10, v[10:11], off
	s_waitcnt vmcnt(0)
	v_cvt_f32_i32_e32 v10, v10
	ds_store_b32 v14, v10
.LBB74_20:                              ;   in Loop: Header=BB74_13 Depth=1
	s_or_b32 exec_lo, exec_lo, s19
	s_waitcnt lgkmcnt(0)
	s_barrier
	buffer_gl0_inv
	s_and_saveexec_b32 s19, s2
	s_cbranch_execz .LBB74_12
; %bb.21:                               ;   in Loop: Header=BB74_13 Depth=1
	s_and_saveexec_b32 s34, s3
	s_cbranch_execz .LBB74_29
; %bb.22:                               ;   in Loop: Header=BB74_13 Depth=1
	s_and_not1_b32 vcc_lo, exec_lo, s9
	s_cbranch_vccnz .LBB74_26
; %bb.23:                               ;   in Loop: Header=BB74_13 Depth=1
	v_dual_mov_b32 v10, v17 :: v_dual_mov_b32 v11, v16
	s_mov_b32 s35, 0
	.p2align	6
.LBB74_24:                              ;   Parent Loop BB74_13 Depth=1
                                        ; =>  This Inner Loop Header: Depth=2
	ds_load_b128 v[19:22], v11
	ds_load_b128 v[23:26], v10
	ds_load_b128 v[27:30], v10 offset:16
	ds_load_b128 v[31:34], v11 offset:16
	v_add_nc_u32_e32 v11, 32, v11
	s_add_i32 s35, s35, 8
	v_add_nc_u32_e32 v10, 32, v10
	s_cmp_lg_u32 s30, s35
	s_waitcnt lgkmcnt(2)
	v_fma_f32 v1, v23, v19, v1
	s_delay_alu instid0(VALU_DEP_1) | instskip(NEXT) | instid1(VALU_DEP_1)
	v_fmac_f32_e32 v1, v24, v20
	v_fmac_f32_e32 v1, v25, v21
	s_delay_alu instid0(VALU_DEP_1) | instskip(SKIP_1) | instid1(VALU_DEP_1)
	v_fmac_f32_e32 v1, v26, v22
	s_waitcnt lgkmcnt(0)
	v_fmac_f32_e32 v1, v27, v31
	s_delay_alu instid0(VALU_DEP_1) | instskip(NEXT) | instid1(VALU_DEP_1)
	v_fmac_f32_e32 v1, v28, v32
	v_fmac_f32_e32 v1, v29, v33
	s_delay_alu instid0(VALU_DEP_1)
	v_fmac_f32_e32 v1, v30, v34
	s_cbranch_scc1 .LBB74_24
; %bb.25:                               ;   in Loop: Header=BB74_13 Depth=1
	s_mov_b32 s35, s30
	s_and_not1_b32 vcc_lo, exec_lo, s31
	s_cbranch_vccz .LBB74_27
	s_branch .LBB74_29
.LBB74_26:                              ;   in Loop: Header=BB74_13 Depth=1
	s_mov_b32 s35, 0
	s_and_not1_b32 vcc_lo, exec_lo, s31
	s_cbranch_vccnz .LBB74_29
.LBB74_27:                              ;   in Loop: Header=BB74_13 Depth=1
	s_lshl_b32 s35, s35, 2
	s_delay_alu instid0(SALU_CYCLE_1)
	v_add_nc_u32_e32 v10, s35, v16
	v_add_nc_u32_e32 v11, s35, v17
	s_mov_b32 s35, s8
.LBB74_28:                              ;   Parent Loop BB74_13 Depth=1
                                        ; =>  This Inner Loop Header: Depth=2
	ds_load_b32 v19, v11
	ds_load_b32 v20, v10
	v_add_nc_u32_e32 v10, 4, v10
	v_add_nc_u32_e32 v11, 4, v11
	s_add_i32 s35, s35, -1
	s_delay_alu instid0(SALU_CYCLE_1)
	s_cmp_lg_u32 s35, 0
	s_waitcnt lgkmcnt(0)
	v_fma_f32 v1, v19, v20, v1
	s_cbranch_scc1 .LBB74_28
.LBB74_29:                              ;   in Loop: Header=BB74_13 Depth=1
	s_or_b32 exec_lo, exec_lo, s34
	s_and_saveexec_b32 s34, s4
	s_cbranch_execz .LBB74_11
; %bb.30:                               ;   in Loop: Header=BB74_13 Depth=1
	s_and_not1_b32 vcc_lo, exec_lo, s9
	s_cbranch_vccnz .LBB74_34
; %bb.31:                               ;   in Loop: Header=BB74_13 Depth=1
	v_dual_mov_b32 v10, v17 :: v_dual_mov_b32 v11, v18
	s_mov_b32 s35, 0
	.p2align	6
.LBB74_32:                              ;   Parent Loop BB74_13 Depth=1
                                        ; =>  This Inner Loop Header: Depth=2
	ds_load_b128 v[19:22], v11
	ds_load_b128 v[23:26], v10
	ds_load_b128 v[27:30], v10 offset:16
	ds_load_b128 v[31:34], v11 offset:16
	v_add_nc_u32_e32 v10, 32, v10
	s_add_i32 s35, s35, 8
	v_add_nc_u32_e32 v11, 32, v11
	s_cmp_lg_u32 s30, s35
	s_waitcnt lgkmcnt(2)
	v_fma_f32 v2, v23, v19, v2
	s_delay_alu instid0(VALU_DEP_1) | instskip(NEXT) | instid1(VALU_DEP_1)
	v_fmac_f32_e32 v2, v24, v20
	v_fmac_f32_e32 v2, v25, v21
	s_delay_alu instid0(VALU_DEP_1) | instskip(SKIP_1) | instid1(VALU_DEP_1)
	v_fmac_f32_e32 v2, v26, v22
	s_waitcnt lgkmcnt(0)
	v_fmac_f32_e32 v2, v27, v31
	s_delay_alu instid0(VALU_DEP_1) | instskip(NEXT) | instid1(VALU_DEP_1)
	v_fmac_f32_e32 v2, v28, v32
	v_fmac_f32_e32 v2, v29, v33
	s_delay_alu instid0(VALU_DEP_1)
	v_fmac_f32_e32 v2, v30, v34
	s_cbranch_scc1 .LBB74_32
; %bb.33:                               ;   in Loop: Header=BB74_13 Depth=1
	s_mov_b32 s35, s30
	s_and_not1_b32 vcc_lo, exec_lo, s31
	s_cbranch_vccz .LBB74_35
	s_branch .LBB74_11
.LBB74_34:                              ;   in Loop: Header=BB74_13 Depth=1
	s_mov_b32 s35, 0
	s_and_not1_b32 vcc_lo, exec_lo, s31
	s_cbranch_vccnz .LBB74_11
.LBB74_35:                              ;   in Loop: Header=BB74_13 Depth=1
	s_lshl_b32 s35, s35, 2
	s_delay_alu instid0(SALU_CYCLE_1)
	v_add_nc_u32_e32 v10, s35, v18
	v_add_nc_u32_e32 v11, s35, v17
	s_mov_b32 s35, s8
.LBB74_36:                              ;   Parent Loop BB74_13 Depth=1
                                        ; =>  This Inner Loop Header: Depth=2
	ds_load_b32 v19, v11
	ds_load_b32 v20, v10
	v_add_nc_u32_e32 v10, 4, v10
	v_add_nc_u32_e32 v11, 4, v11
	s_add_i32 s35, s35, -1
	s_delay_alu instid0(SALU_CYCLE_1)
	s_cmp_lg_u32 s35, 0
	s_waitcnt lgkmcnt(0)
	v_fma_f32 v2, v19, v20, v2
	s_cbranch_scc1 .LBB74_36
	s_branch .LBB74_11
.LBB74_37:
	s_delay_alu instid0(VALU_DEP_1) | instskip(NEXT) | instid1(SALU_CYCLE_1)
	s_and_b32 s2, s7, s2
	s_and_saveexec_b32 s3, s2
	s_cbranch_execz .LBB74_57
; %bb.38:
	s_load_b64 s[2:3], s[0:1], 0x70
	v_mad_u64_u32 v[5:6], null, s14, s10, v[4:5]
	v_cmp_neq_f32_e64 s4, s12, 0
	s_cmp_lg_u32 s16, 1
	s_mov_b32 s0, exec_lo
	s_cselect_b32 s1, -1, 0
	s_delay_alu instid0(VALU_DEP_2) | instskip(SKIP_1) | instid1(VALU_DEP_1)
	v_ashrrev_i32_e32 v6, 31, v5
	s_waitcnt lgkmcnt(0)
	v_mul_lo_u32 v4, v6, s2
	v_mul_lo_u32 v9, v5, s3
	v_mad_u64_u32 v[7:8], null, v5, s2, 0
	v_lshlrev_b64 v[5:6], 2, v[5:6]
	s_delay_alu instid0(VALU_DEP_1) | instskip(NEXT) | instid1(VALU_DEP_3)
	v_add_co_u32 v5, vcc_lo, s28, v5
	v_add3_u32 v8, v8, v9, v4
	s_delay_alu instid0(VALU_DEP_3) | instskip(NEXT) | instid1(VALU_DEP_2)
	v_add_co_ci_u32_e32 v6, vcc_lo, s29, v6, vcc_lo
	v_lshlrev_b64 v[7:8], 2, v[7:8]
	s_delay_alu instid0(VALU_DEP_1) | instskip(NEXT) | instid1(VALU_DEP_2)
	v_add_co_u32 v7, vcc_lo, s28, v7
	v_add_co_ci_u32_e32 v8, vcc_lo, s29, v8, vcc_lo
	v_cmpx_gt_i32_e64 s11, v3
	s_cbranch_execz .LBB74_50
; %bb.39:
	v_ashrrev_i32_e32 v4, 31, v3
	s_and_b32 vcc_lo, exec_lo, s4
	s_cbranch_vccz .LBB74_45
; %bb.40:
	s_and_b32 vcc_lo, exec_lo, s1
	s_mov_b32 s5, -1
	s_cbranch_vccz .LBB74_42
; %bb.41:
	v_lshlrev_b64 v[9:10], 2, v[3:4]
	v_mul_f32_e32 v12, s6, v1
	s_mov_b32 s5, 0
	s_delay_alu instid0(VALU_DEP_2) | instskip(NEXT) | instid1(VALU_DEP_3)
	v_add_co_u32 v9, vcc_lo, v7, v9
	v_add_co_ci_u32_e32 v10, vcc_lo, v8, v10, vcc_lo
	global_load_b32 v11, v[9:10], off
	s_waitcnt vmcnt(0)
	v_fmac_f32_e32 v12, s12, v11
	global_store_b32 v[9:10], v12, off
.LBB74_42:
	s_and_not1_b32 vcc_lo, exec_lo, s5
	s_cbranch_vccnz .LBB74_44
; %bb.43:
	v_mul_lo_u32 v11, v4, s2
	v_mul_lo_u32 v12, v3, s3
	v_mad_u64_u32 v[9:10], null, v3, s2, 0
	s_delay_alu instid0(VALU_DEP_1) | instskip(SKIP_1) | instid1(VALU_DEP_2)
	v_add3_u32 v10, v10, v12, v11
	v_mul_f32_e32 v12, s6, v1
	v_lshlrev_b64 v[9:10], 2, v[9:10]
	s_delay_alu instid0(VALU_DEP_1) | instskip(NEXT) | instid1(VALU_DEP_2)
	v_add_co_u32 v9, vcc_lo, v5, v9
	v_add_co_ci_u32_e32 v10, vcc_lo, v6, v10, vcc_lo
	global_load_b32 v11, v[9:10], off
	s_waitcnt vmcnt(0)
	v_fmac_f32_e32 v12, s12, v11
	global_store_b32 v[9:10], v12, off
.LBB74_44:
	s_cbranch_execz .LBB74_46
	s_branch .LBB74_50
.LBB74_45:
.LBB74_46:
	v_mul_f32_e32 v1, s6, v1
	s_and_b32 vcc_lo, exec_lo, s1
	s_mov_b32 s5, -1
	s_cbranch_vccz .LBB74_48
; %bb.47:
	v_lshlrev_b64 v[9:10], 2, v[3:4]
	s_mov_b32 s5, 0
	s_delay_alu instid0(VALU_DEP_1) | instskip(NEXT) | instid1(VALU_DEP_2)
	v_add_co_u32 v9, vcc_lo, v7, v9
	v_add_co_ci_u32_e32 v10, vcc_lo, v8, v10, vcc_lo
	global_store_b32 v[9:10], v1, off
.LBB74_48:
	s_and_not1_b32 vcc_lo, exec_lo, s5
	s_cbranch_vccnz .LBB74_50
; %bb.49:
	v_mul_lo_u32 v4, v4, s2
	v_mul_lo_u32 v11, v3, s3
	v_mad_u64_u32 v[9:10], null, v3, s2, 0
	s_delay_alu instid0(VALU_DEP_1) | instskip(NEXT) | instid1(VALU_DEP_1)
	v_add3_u32 v10, v10, v11, v4
	v_lshlrev_b64 v[3:4], 2, v[9:10]
	s_delay_alu instid0(VALU_DEP_1) | instskip(NEXT) | instid1(VALU_DEP_2)
	v_add_co_u32 v3, vcc_lo, v5, v3
	v_add_co_ci_u32_e32 v4, vcc_lo, v6, v4, vcc_lo
	global_store_b32 v[3:4], v1, off
.LBB74_50:
	s_or_b32 exec_lo, exec_lo, s0
	v_cmp_gt_i32_e32 vcc_lo, s11, v0
	s_and_b32 exec_lo, exec_lo, vcc_lo
	s_cbranch_execz .LBB74_57
; %bb.51:
	v_cndmask_b32_e64 v3, 0, 1, s1
	v_ashrrev_i32_e32 v1, 31, v0
	s_and_not1_b32 vcc_lo, exec_lo, s4
	s_delay_alu instid0(VALU_DEP_2)
	v_cmp_ne_u32_e64 s0, 1, v3
	s_cbranch_vccnz .LBB74_58
; %bb.52:
	s_delay_alu instid0(VALU_DEP_1)
	s_and_b32 vcc_lo, exec_lo, s0
	s_mov_b32 s0, -1
	s_cbranch_vccnz .LBB74_54
; %bb.53:
	v_lshlrev_b64 v[3:4], 2, v[0:1]
	v_mul_f32_e32 v10, s6, v2
	s_mov_b32 s0, 0
	s_delay_alu instid0(VALU_DEP_2) | instskip(NEXT) | instid1(VALU_DEP_3)
	v_add_co_u32 v3, vcc_lo, v7, v3
	v_add_co_ci_u32_e32 v4, vcc_lo, v8, v4, vcc_lo
	global_load_b32 v9, v[3:4], off
	s_waitcnt vmcnt(0)
	v_fmac_f32_e32 v10, s12, v9
	global_store_b32 v[3:4], v10, off
.LBB74_54:
	s_and_not1_b32 vcc_lo, exec_lo, s0
	s_cbranch_vccnz .LBB74_56
; %bb.55:
	v_mul_lo_u32 v9, v1, s2
	v_mul_lo_u32 v10, v0, s3
	v_mad_u64_u32 v[3:4], null, v0, s2, 0
	s_delay_alu instid0(VALU_DEP_1) | instskip(SKIP_1) | instid1(VALU_DEP_2)
	v_add3_u32 v4, v4, v10, v9
	v_mul_f32_e32 v10, s6, v2
	v_lshlrev_b64 v[3:4], 2, v[3:4]
	s_delay_alu instid0(VALU_DEP_1) | instskip(NEXT) | instid1(VALU_DEP_2)
	v_add_co_u32 v3, vcc_lo, v5, v3
	v_add_co_ci_u32_e32 v4, vcc_lo, v6, v4, vcc_lo
	global_load_b32 v9, v[3:4], off
	s_waitcnt vmcnt(0)
	v_fmac_f32_e32 v10, s12, v9
	global_store_b32 v[3:4], v10, off
.LBB74_56:
	s_cbranch_execz .LBB74_59
.LBB74_57:
	s_nop 0
	s_sendmsg sendmsg(MSG_DEALLOC_VGPRS)
	s_endpgm
.LBB74_58:
.LBB74_59:
	v_mul_f32_e32 v2, s6, v2
	s_and_not1_b32 vcc_lo, exec_lo, s1
	s_mov_b32 s0, -1
	s_cbranch_vccnz .LBB74_61
; %bb.60:
	v_lshlrev_b64 v[3:4], 2, v[0:1]
	s_mov_b32 s0, 0
	s_delay_alu instid0(VALU_DEP_1) | instskip(NEXT) | instid1(VALU_DEP_2)
	v_add_co_u32 v3, vcc_lo, v7, v3
	v_add_co_ci_u32_e32 v4, vcc_lo, v8, v4, vcc_lo
	global_store_b32 v[3:4], v2, off
.LBB74_61:
	s_and_not1_b32 vcc_lo, exec_lo, s0
	s_cbranch_vccnz .LBB74_57
; %bb.62:
	v_mul_lo_u32 v1, v1, s2
	v_mul_lo_u32 v7, v0, s3
	v_mad_u64_u32 v[3:4], null, v0, s2, 0
	s_delay_alu instid0(VALU_DEP_1) | instskip(NEXT) | instid1(VALU_DEP_1)
	v_add3_u32 v4, v4, v7, v1
	v_lshlrev_b64 v[0:1], 2, v[3:4]
	s_delay_alu instid0(VALU_DEP_1) | instskip(NEXT) | instid1(VALU_DEP_2)
	v_add_co_u32 v0, vcc_lo, v5, v0
	v_add_co_ci_u32_e32 v1, vcc_lo, v6, v1, vcc_lo
	global_store_b32 v[0:1], v2, off
	s_nop 0
	s_sendmsg sendmsg(MSG_DEALLOC_VGPRS)
	s_endpgm
	.section	.rodata,"a",@progbits
	.p2align	6, 0x0
	.amdhsa_kernel _ZN9rocsparseL31bsrmm_large_blockdim_kernel_extILj16ELj16ELj2EiiaaffEEvb20rocsparse_direction_T3_S2_llNS_24const_host_device_scalarIT7_EEPKT2_PKS2_PKT4_S2_PKT5_llS5_PT6_ll16rocsparse_order_21rocsparse_index_base_b
		.amdhsa_group_segment_fixed_size 3072
		.amdhsa_private_segment_fixed_size 0
		.amdhsa_kernarg_size 140
		.amdhsa_user_sgpr_count 14
		.amdhsa_user_sgpr_dispatch_ptr 0
		.amdhsa_user_sgpr_queue_ptr 0
		.amdhsa_user_sgpr_kernarg_segment_ptr 1
		.amdhsa_user_sgpr_dispatch_id 0
		.amdhsa_user_sgpr_private_segment_size 0
		.amdhsa_wavefront_size32 1
		.amdhsa_uses_dynamic_stack 0
		.amdhsa_enable_private_segment 0
		.amdhsa_system_sgpr_workgroup_id_x 1
		.amdhsa_system_sgpr_workgroup_id_y 1
		.amdhsa_system_sgpr_workgroup_id_z 0
		.amdhsa_system_sgpr_workgroup_info 0
		.amdhsa_system_vgpr_workitem_id 1
		.amdhsa_next_free_vgpr 35
		.amdhsa_next_free_sgpr 38
		.amdhsa_reserve_vcc 1
		.amdhsa_float_round_mode_32 0
		.amdhsa_float_round_mode_16_64 0
		.amdhsa_float_denorm_mode_32 3
		.amdhsa_float_denorm_mode_16_64 3
		.amdhsa_dx10_clamp 1
		.amdhsa_ieee_mode 1
		.amdhsa_fp16_overflow 0
		.amdhsa_workgroup_processor_mode 1
		.amdhsa_memory_ordered 1
		.amdhsa_forward_progress 0
		.amdhsa_shared_vgpr_count 0
		.amdhsa_exception_fp_ieee_invalid_op 0
		.amdhsa_exception_fp_denorm_src 0
		.amdhsa_exception_fp_ieee_div_zero 0
		.amdhsa_exception_fp_ieee_overflow 0
		.amdhsa_exception_fp_ieee_underflow 0
		.amdhsa_exception_fp_ieee_inexact 0
		.amdhsa_exception_int_div_zero 0
	.end_amdhsa_kernel
	.section	.text._ZN9rocsparseL31bsrmm_large_blockdim_kernel_extILj16ELj16ELj2EiiaaffEEvb20rocsparse_direction_T3_S2_llNS_24const_host_device_scalarIT7_EEPKT2_PKS2_PKT4_S2_PKT5_llS5_PT6_ll16rocsparse_order_21rocsparse_index_base_b,"axG",@progbits,_ZN9rocsparseL31bsrmm_large_blockdim_kernel_extILj16ELj16ELj2EiiaaffEEvb20rocsparse_direction_T3_S2_llNS_24const_host_device_scalarIT7_EEPKT2_PKS2_PKT4_S2_PKT5_llS5_PT6_ll16rocsparse_order_21rocsparse_index_base_b,comdat
.Lfunc_end74:
	.size	_ZN9rocsparseL31bsrmm_large_blockdim_kernel_extILj16ELj16ELj2EiiaaffEEvb20rocsparse_direction_T3_S2_llNS_24const_host_device_scalarIT7_EEPKT2_PKS2_PKT4_S2_PKT5_llS5_PT6_ll16rocsparse_order_21rocsparse_index_base_b, .Lfunc_end74-_ZN9rocsparseL31bsrmm_large_blockdim_kernel_extILj16ELj16ELj2EiiaaffEEvb20rocsparse_direction_T3_S2_llNS_24const_host_device_scalarIT7_EEPKT2_PKS2_PKT4_S2_PKT5_llS5_PT6_ll16rocsparse_order_21rocsparse_index_base_b
                                        ; -- End function
	.section	.AMDGPU.csdata,"",@progbits
; Kernel info:
; codeLenInByte = 2336
; NumSgprs: 40
; NumVgprs: 35
; ScratchSize: 0
; MemoryBound: 0
; FloatMode: 240
; IeeeMode: 1
; LDSByteSize: 3072 bytes/workgroup (compile time only)
; SGPRBlocks: 4
; VGPRBlocks: 4
; NumSGPRsForWavesPerEU: 40
; NumVGPRsForWavesPerEU: 35
; Occupancy: 16
; WaveLimiterHint : 1
; COMPUTE_PGM_RSRC2:SCRATCH_EN: 0
; COMPUTE_PGM_RSRC2:USER_SGPR: 14
; COMPUTE_PGM_RSRC2:TRAP_HANDLER: 0
; COMPUTE_PGM_RSRC2:TGID_X_EN: 1
; COMPUTE_PGM_RSRC2:TGID_Y_EN: 1
; COMPUTE_PGM_RSRC2:TGID_Z_EN: 0
; COMPUTE_PGM_RSRC2:TIDIG_COMP_CNT: 1
	.section	.text._ZN9rocsparseL31bsrmm_large_blockdim_kernel_extILj32ELj32ELj2EiiaaffEEvb20rocsparse_direction_T3_S2_llNS_24const_host_device_scalarIT7_EEPKT2_PKS2_PKT4_S2_PKT5_llS5_PT6_ll16rocsparse_order_21rocsparse_index_base_b,"axG",@progbits,_ZN9rocsparseL31bsrmm_large_blockdim_kernel_extILj32ELj32ELj2EiiaaffEEvb20rocsparse_direction_T3_S2_llNS_24const_host_device_scalarIT7_EEPKT2_PKS2_PKT4_S2_PKT5_llS5_PT6_ll16rocsparse_order_21rocsparse_index_base_b,comdat
	.globl	_ZN9rocsparseL31bsrmm_large_blockdim_kernel_extILj32ELj32ELj2EiiaaffEEvb20rocsparse_direction_T3_S2_llNS_24const_host_device_scalarIT7_EEPKT2_PKS2_PKT4_S2_PKT5_llS5_PT6_ll16rocsparse_order_21rocsparse_index_base_b ; -- Begin function _ZN9rocsparseL31bsrmm_large_blockdim_kernel_extILj32ELj32ELj2EiiaaffEEvb20rocsparse_direction_T3_S2_llNS_24const_host_device_scalarIT7_EEPKT2_PKS2_PKT4_S2_PKT5_llS5_PT6_ll16rocsparse_order_21rocsparse_index_base_b
	.p2align	8
	.type	_ZN9rocsparseL31bsrmm_large_blockdim_kernel_extILj32ELj32ELj2EiiaaffEEvb20rocsparse_direction_T3_S2_llNS_24const_host_device_scalarIT7_EEPKT2_PKS2_PKT4_S2_PKT5_llS5_PT6_ll16rocsparse_order_21rocsparse_index_base_b,@function
_ZN9rocsparseL31bsrmm_large_blockdim_kernel_extILj32ELj32ELj2EiiaaffEEvb20rocsparse_direction_T3_S2_llNS_24const_host_device_scalarIT7_EEPKT2_PKS2_PKT4_S2_PKT5_llS5_PT6_ll16rocsparse_order_21rocsparse_index_base_b: ; @_ZN9rocsparseL31bsrmm_large_blockdim_kernel_extILj32ELj32ELj2EiiaaffEEvb20rocsparse_direction_T3_S2_llNS_24const_host_device_scalarIT7_EEPKT2_PKS2_PKT4_S2_PKT5_llS5_PT6_ll16rocsparse_order_21rocsparse_index_base_b
; %bb.0:
	s_clause 0x2
	s_load_b128 s[16:19], s[0:1], 0x80
	s_load_b64 s[6:7], s[0:1], 0x20
	s_load_b64 s[12:13], s[0:1], 0x60
	s_mov_b32 s2, s15
	s_waitcnt lgkmcnt(0)
	s_bitcmp1_b32 s18, 0
	s_cselect_b32 s3, -1, 0
	s_delay_alu instid0(SALU_CYCLE_1)
	s_and_b32 vcc_lo, exec_lo, s3
	s_xor_b32 s3, s3, -1
	s_cbranch_vccnz .LBB75_2
; %bb.1:
	s_load_b32 s6, s[6:7], 0x0
.LBB75_2:
	s_and_not1_b32 vcc_lo, exec_lo, s3
	s_cbranch_vccnz .LBB75_4
; %bb.3:
	s_load_b32 s12, s[12:13], 0x0
.LBB75_4:
	s_waitcnt lgkmcnt(0)
	v_cmp_eq_f32_e64 s3, s6, 0
	v_cmp_eq_f32_e64 s4, s12, 1.0
	s_mov_b32 s18, 0
	s_delay_alu instid0(VALU_DEP_1) | instskip(NEXT) | instid1(SALU_CYCLE_1)
	s_and_b32 s3, s3, s4
	s_and_b32 vcc_lo, exec_lo, s3
	s_cbranch_vccnz .LBB75_57
; %bb.5:
	s_clause 0x1
	s_load_b128 s[8:11], s[0:1], 0x0
	s_load_b64 s[4:5], s[0:1], 0x28
	s_waitcnt lgkmcnt(0)
	s_cmp_lt_i32 s14, s10
	s_cselect_b32 s7, -1, 0
	s_cmp_ge_i32 s14, s10
	s_cbranch_scc1 .LBB75_7
; %bb.6:
	s_ashr_i32 s15, s14, 31
	s_delay_alu instid0(SALU_CYCLE_1) | instskip(NEXT) | instid1(SALU_CYCLE_1)
	s_lshl_b64 s[18:19], s[14:15], 2
	s_add_u32 s18, s4, s18
	s_addc_u32 s19, s5, s19
	s_load_b32 s3, s[18:19], 0x0
	s_waitcnt lgkmcnt(0)
	s_sub_i32 s18, s3, s17
.LBB75_7:
	s_mov_b32 s20, 0
	s_and_not1_b32 vcc_lo, exec_lo, s7
	s_mov_b32 s13, 0
	s_cbranch_vccnz .LBB75_9
; %bb.8:
	s_ashr_i32 s15, s14, 31
	s_delay_alu instid0(SALU_CYCLE_1) | instskip(NEXT) | instid1(SALU_CYCLE_1)
	s_lshl_b64 s[22:23], s[14:15], 2
	s_add_u32 s4, s4, s22
	s_addc_u32 s5, s5, s23
	s_load_b32 s3, s[4:5], 0x4
	s_waitcnt lgkmcnt(0)
	s_sub_i32 s13, s3, s17
.LBB75_9:
	s_clause 0x1
	s_load_b32 s10, s[0:1], 0x40
	s_load_b64 s[28:29], s[0:1], 0x68
	v_bfe_u32 v10, v0, 10, 10
	s_mov_b32 s21, s20
	v_dual_mov_b32 v1, s20 :: v_dual_and_b32 v4, 0x3ff, v0
	v_mov_b32_e32 v2, s21
	s_delay_alu instid0(VALU_DEP_3) | instskip(SKIP_1) | instid1(VALU_DEP_1)
	v_lshl_add_u32 v3, s2, 6, v10
	s_cmp_ge_i32 s18, s13
	v_add_nc_u32_e32 v0, 32, v3
	v_cmp_gt_i32_e64 s3, s11, v3
	s_delay_alu instid0(VALU_DEP_2)
	v_cmp_gt_i32_e64 s4, s11, v0
	s_waitcnt lgkmcnt(0)
	v_cmp_gt_i32_e64 s2, s10, v4
	s_cbranch_scc1 .LBB75_37
; %bb.10:
	s_clause 0x1
	s_load_b128 s[20:23], s[0:1], 0x48
	s_load_b128 s[24:27], s[0:1], 0x30
	v_cmp_gt_i32_e32 vcc_lo, s10, v10
	v_mad_u64_u32 v[1:2], null, v10, s10, v[4:5]
	v_mad_u64_u32 v[16:17], null, v4, s10, v[10:11]
	v_ashrrev_i32_e32 v13, 31, v0
	s_mov_b32 s34, 0
	v_ashrrev_i32_e32 v12, 31, v3
	s_and_b32 s15, s2, vcc_lo
	s_bitcmp1_b32 s8, 0
	s_mov_b32 s35, s34
	v_lshlrev_b32_e32 v9, 5, v10
	s_cselect_b32 s5, -1, 0
	s_cmp_eq_u32 s9, 0
	v_lshl_add_u32 v2, v4, 5, v10
	s_cselect_b32 vcc_lo, -1, 0
	v_add_lshl_u32 v15, v9, v4, 2
	v_dual_cndmask_b32 v9, v1, v16 :: v_dual_lshlrev_b32 v16, 7, v10
	s_waitcnt lgkmcnt(0)
	v_mul_lo_u32 v18, v0, s23
	v_mul_lo_u32 v19, v13, s22
	v_mad_u64_u32 v[7:8], null, v0, s22, 0
	v_mul_lo_u32 v11, v3, s23
	v_mul_lo_u32 v17, v12, s22
	v_mad_u64_u32 v[5:6], null, v3, s22, 0
	s_add_i32 s9, s10, -1
	s_and_b32 s8, s10, 7
	s_cmp_gt_u32 s9, 6
	v_lshl_add_u32 v14, v2, 2, 0x2000
	v_add3_u32 v8, v8, v18, v19
	v_dual_mov_b32 v1, s34 :: v_dual_add_nc_u32 v18, 0x1000, v16
	s_delay_alu instid0(VALU_DEP_4)
	v_add3_u32 v6, v6, v11, v17
	s_cselect_b32 s9, -1, 0
	s_and_b32 s30, s10, -8
	v_lshl_add_u32 v17, v4, 7, 0x2000
	v_mov_b32_e32 v2, s35
	s_cmp_lg_u32 s8, 0
	s_mul_i32 s33, s10, s10
	s_cselect_b32 s31, -1, 0
	s_branch .LBB75_13
.LBB75_11:                              ;   in Loop: Header=BB75_13 Depth=1
	s_or_b32 exec_lo, exec_lo, s34
.LBB75_12:                              ;   in Loop: Header=BB75_13 Depth=1
	s_delay_alu instid0(SALU_CYCLE_1) | instskip(SKIP_1) | instid1(SALU_CYCLE_1)
	s_or_b32 exec_lo, exec_lo, s19
	s_add_i32 s18, s18, 1
	s_cmp_ge_i32 s18, s13
	s_barrier
	buffer_gl0_inv
	s_cbranch_scc1 .LBB75_37
.LBB75_13:                              ; =>This Loop Header: Depth=1
                                        ;     Child Loop BB75_24 Depth 2
                                        ;     Child Loop BB75_28 Depth 2
                                        ;     Child Loop BB75_32 Depth 2
                                        ;     Child Loop BB75_36 Depth 2
	s_and_saveexec_b32 s34, s2
	s_cbranch_execz .LBB75_18
; %bb.14:                               ;   in Loop: Header=BB75_13 Depth=1
	s_ashr_i32 s19, s18, 31
	s_delay_alu instid0(SALU_CYCLE_1) | instskip(NEXT) | instid1(SALU_CYCLE_1)
	s_lshl_b64 s[36:37], s[18:19], 2
	s_add_u32 s36, s24, s36
	s_addc_u32 s37, s25, s37
	s_load_b32 s19, s[36:37], 0x0
	s_waitcnt lgkmcnt(0)
	s_sub_i32 s19, s19, s17
	s_delay_alu instid0(SALU_CYCLE_1) | instskip(NEXT) | instid1(VALU_DEP_1)
	v_mad_u64_u32 v[19:20], null, s19, s10, v[4:5]
	v_ashrrev_i32_e32 v20, 31, v19
	v_mul_lo_u32 v21, v19, s23
	v_mad_u64_u32 v[10:11], null, v19, s22, s[20:21]
	v_add_co_u32 v19, vcc_lo, s20, v19
	s_delay_alu instid0(VALU_DEP_4) | instskip(SKIP_1) | instid1(VALU_DEP_2)
	v_mul_lo_u32 v22, v20, s22
	v_add_co_ci_u32_e32 v20, vcc_lo, s21, v20, vcc_lo
	v_add3_u32 v11, v22, v11, v21
	s_and_saveexec_b32 s19, s3
	s_cbranch_execz .LBB75_16
; %bb.15:                               ;   in Loop: Header=BB75_13 Depth=1
	v_add_co_u32 v21, vcc_lo, v19, v5
	v_add_co_ci_u32_e32 v22, vcc_lo, v20, v6, vcc_lo
	v_add_co_u32 v23, vcc_lo, v10, v3
	v_add_co_ci_u32_e32 v24, vcc_lo, v11, v12, vcc_lo
	s_delay_alu instid0(VALU_DEP_2) | instskip(NEXT) | instid1(VALU_DEP_2)
	v_cndmask_b32_e64 v21, v23, v21, s5
	v_cndmask_b32_e64 v22, v24, v22, s5
	global_load_i8 v21, v[21:22], off
	s_waitcnt vmcnt(0)
	v_cvt_f32_i32_e32 v21, v21
	ds_store_b32 v15, v21
.LBB75_16:                              ;   in Loop: Header=BB75_13 Depth=1
	s_or_b32 exec_lo, exec_lo, s19
	s_delay_alu instid0(SALU_CYCLE_1)
	s_and_b32 exec_lo, exec_lo, s4
	s_cbranch_execz .LBB75_18
; %bb.17:                               ;   in Loop: Header=BB75_13 Depth=1
	v_add_co_u32 v19, vcc_lo, v19, v7
	v_add_co_ci_u32_e32 v20, vcc_lo, v20, v8, vcc_lo
	v_add_co_u32 v10, vcc_lo, v10, v0
	v_add_co_ci_u32_e32 v11, vcc_lo, v11, v13, vcc_lo
	s_delay_alu instid0(VALU_DEP_2) | instskip(NEXT) | instid1(VALU_DEP_2)
	v_cndmask_b32_e64 v10, v10, v19, s5
	v_cndmask_b32_e64 v11, v11, v20, s5
	global_load_i8 v10, v[10:11], off
	s_waitcnt vmcnt(0)
	v_cvt_f32_i32_e32 v10, v10
	ds_store_b32 v15, v10 offset:4096
.LBB75_18:                              ;   in Loop: Header=BB75_13 Depth=1
	s_or_b32 exec_lo, exec_lo, s34
	s_and_saveexec_b32 s19, s15
	s_cbranch_execz .LBB75_20
; %bb.19:                               ;   in Loop: Header=BB75_13 Depth=1
	v_mad_u64_u32 v[10:11], null, s33, s18, v[9:10]
	s_delay_alu instid0(VALU_DEP_1) | instskip(SKIP_1) | instid1(VALU_DEP_2)
	v_ashrrev_i32_e32 v11, 31, v10
	v_add_co_u32 v10, vcc_lo, s26, v10
	v_add_co_ci_u32_e32 v11, vcc_lo, s27, v11, vcc_lo
	global_load_i8 v10, v[10:11], off
	s_waitcnt vmcnt(0)
	v_cvt_f32_i32_e32 v10, v10
	ds_store_b32 v14, v10
.LBB75_20:                              ;   in Loop: Header=BB75_13 Depth=1
	s_or_b32 exec_lo, exec_lo, s19
	s_waitcnt lgkmcnt(0)
	s_barrier
	buffer_gl0_inv
	s_and_saveexec_b32 s19, s2
	s_cbranch_execz .LBB75_12
; %bb.21:                               ;   in Loop: Header=BB75_13 Depth=1
	s_and_saveexec_b32 s34, s3
	s_cbranch_execz .LBB75_29
; %bb.22:                               ;   in Loop: Header=BB75_13 Depth=1
	s_and_not1_b32 vcc_lo, exec_lo, s9
	s_cbranch_vccnz .LBB75_26
; %bb.23:                               ;   in Loop: Header=BB75_13 Depth=1
	v_dual_mov_b32 v10, v17 :: v_dual_mov_b32 v11, v16
	s_mov_b32 s35, 0
	.p2align	6
.LBB75_24:                              ;   Parent Loop BB75_13 Depth=1
                                        ; =>  This Inner Loop Header: Depth=2
	ds_load_b128 v[19:22], v11
	ds_load_b128 v[23:26], v10
	ds_load_b128 v[27:30], v10 offset:16
	ds_load_b128 v[31:34], v11 offset:16
	v_add_nc_u32_e32 v11, 32, v11
	s_add_i32 s35, s35, 8
	v_add_nc_u32_e32 v10, 32, v10
	s_cmp_lg_u32 s30, s35
	s_waitcnt lgkmcnt(2)
	v_fma_f32 v1, v23, v19, v1
	s_delay_alu instid0(VALU_DEP_1) | instskip(NEXT) | instid1(VALU_DEP_1)
	v_fmac_f32_e32 v1, v24, v20
	v_fmac_f32_e32 v1, v25, v21
	s_delay_alu instid0(VALU_DEP_1) | instskip(SKIP_1) | instid1(VALU_DEP_1)
	v_fmac_f32_e32 v1, v26, v22
	s_waitcnt lgkmcnt(0)
	v_fmac_f32_e32 v1, v27, v31
	s_delay_alu instid0(VALU_DEP_1) | instskip(NEXT) | instid1(VALU_DEP_1)
	v_fmac_f32_e32 v1, v28, v32
	v_fmac_f32_e32 v1, v29, v33
	s_delay_alu instid0(VALU_DEP_1)
	v_fmac_f32_e32 v1, v30, v34
	s_cbranch_scc1 .LBB75_24
; %bb.25:                               ;   in Loop: Header=BB75_13 Depth=1
	s_mov_b32 s35, s30
	s_and_not1_b32 vcc_lo, exec_lo, s31
	s_cbranch_vccz .LBB75_27
	s_branch .LBB75_29
.LBB75_26:                              ;   in Loop: Header=BB75_13 Depth=1
	s_mov_b32 s35, 0
	s_and_not1_b32 vcc_lo, exec_lo, s31
	s_cbranch_vccnz .LBB75_29
.LBB75_27:                              ;   in Loop: Header=BB75_13 Depth=1
	s_lshl_b32 s35, s35, 2
	s_delay_alu instid0(SALU_CYCLE_1)
	v_add_nc_u32_e32 v10, s35, v16
	v_add_nc_u32_e32 v11, s35, v17
	s_mov_b32 s35, s8
.LBB75_28:                              ;   Parent Loop BB75_13 Depth=1
                                        ; =>  This Inner Loop Header: Depth=2
	ds_load_b32 v19, v11
	ds_load_b32 v20, v10
	v_add_nc_u32_e32 v10, 4, v10
	v_add_nc_u32_e32 v11, 4, v11
	s_add_i32 s35, s35, -1
	s_delay_alu instid0(SALU_CYCLE_1)
	s_cmp_lg_u32 s35, 0
	s_waitcnt lgkmcnt(0)
	v_fma_f32 v1, v19, v20, v1
	s_cbranch_scc1 .LBB75_28
.LBB75_29:                              ;   in Loop: Header=BB75_13 Depth=1
	s_or_b32 exec_lo, exec_lo, s34
	s_and_saveexec_b32 s34, s4
	s_cbranch_execz .LBB75_11
; %bb.30:                               ;   in Loop: Header=BB75_13 Depth=1
	s_and_not1_b32 vcc_lo, exec_lo, s9
	s_cbranch_vccnz .LBB75_34
; %bb.31:                               ;   in Loop: Header=BB75_13 Depth=1
	v_dual_mov_b32 v10, v17 :: v_dual_mov_b32 v11, v18
	s_mov_b32 s35, 0
	.p2align	6
.LBB75_32:                              ;   Parent Loop BB75_13 Depth=1
                                        ; =>  This Inner Loop Header: Depth=2
	ds_load_b128 v[19:22], v11
	ds_load_b128 v[23:26], v10
	ds_load_b128 v[27:30], v10 offset:16
	ds_load_b128 v[31:34], v11 offset:16
	v_add_nc_u32_e32 v10, 32, v10
	s_add_i32 s35, s35, 8
	v_add_nc_u32_e32 v11, 32, v11
	s_cmp_lg_u32 s30, s35
	s_waitcnt lgkmcnt(2)
	v_fma_f32 v2, v23, v19, v2
	s_delay_alu instid0(VALU_DEP_1) | instskip(NEXT) | instid1(VALU_DEP_1)
	v_fmac_f32_e32 v2, v24, v20
	v_fmac_f32_e32 v2, v25, v21
	s_delay_alu instid0(VALU_DEP_1) | instskip(SKIP_1) | instid1(VALU_DEP_1)
	v_fmac_f32_e32 v2, v26, v22
	s_waitcnt lgkmcnt(0)
	v_fmac_f32_e32 v2, v27, v31
	s_delay_alu instid0(VALU_DEP_1) | instskip(NEXT) | instid1(VALU_DEP_1)
	v_fmac_f32_e32 v2, v28, v32
	v_fmac_f32_e32 v2, v29, v33
	s_delay_alu instid0(VALU_DEP_1)
	v_fmac_f32_e32 v2, v30, v34
	s_cbranch_scc1 .LBB75_32
; %bb.33:                               ;   in Loop: Header=BB75_13 Depth=1
	s_mov_b32 s35, s30
	s_and_not1_b32 vcc_lo, exec_lo, s31
	s_cbranch_vccz .LBB75_35
	s_branch .LBB75_11
.LBB75_34:                              ;   in Loop: Header=BB75_13 Depth=1
	s_mov_b32 s35, 0
	s_and_not1_b32 vcc_lo, exec_lo, s31
	s_cbranch_vccnz .LBB75_11
.LBB75_35:                              ;   in Loop: Header=BB75_13 Depth=1
	s_lshl_b32 s35, s35, 2
	s_delay_alu instid0(SALU_CYCLE_1)
	v_add_nc_u32_e32 v10, s35, v18
	v_add_nc_u32_e32 v11, s35, v17
	s_mov_b32 s35, s8
.LBB75_36:                              ;   Parent Loop BB75_13 Depth=1
                                        ; =>  This Inner Loop Header: Depth=2
	ds_load_b32 v19, v11
	ds_load_b32 v20, v10
	v_add_nc_u32_e32 v10, 4, v10
	v_add_nc_u32_e32 v11, 4, v11
	s_add_i32 s35, s35, -1
	s_delay_alu instid0(SALU_CYCLE_1)
	s_cmp_lg_u32 s35, 0
	s_waitcnt lgkmcnt(0)
	v_fma_f32 v2, v19, v20, v2
	s_cbranch_scc1 .LBB75_36
	s_branch .LBB75_11
.LBB75_37:
	s_delay_alu instid0(VALU_DEP_1) | instskip(NEXT) | instid1(SALU_CYCLE_1)
	s_and_b32 s2, s7, s2
	s_and_saveexec_b32 s3, s2
	s_cbranch_execz .LBB75_57
; %bb.38:
	s_load_b64 s[2:3], s[0:1], 0x70
	v_mad_u64_u32 v[5:6], null, s14, s10, v[4:5]
	v_cmp_neq_f32_e64 s4, s12, 0
	s_cmp_lg_u32 s16, 1
	s_mov_b32 s0, exec_lo
	s_cselect_b32 s1, -1, 0
	s_delay_alu instid0(VALU_DEP_2) | instskip(SKIP_1) | instid1(VALU_DEP_1)
	v_ashrrev_i32_e32 v6, 31, v5
	s_waitcnt lgkmcnt(0)
	v_mul_lo_u32 v4, v6, s2
	v_mul_lo_u32 v9, v5, s3
	v_mad_u64_u32 v[7:8], null, v5, s2, 0
	v_lshlrev_b64 v[5:6], 2, v[5:6]
	s_delay_alu instid0(VALU_DEP_1) | instskip(NEXT) | instid1(VALU_DEP_3)
	v_add_co_u32 v5, vcc_lo, s28, v5
	v_add3_u32 v8, v8, v9, v4
	s_delay_alu instid0(VALU_DEP_3) | instskip(NEXT) | instid1(VALU_DEP_2)
	v_add_co_ci_u32_e32 v6, vcc_lo, s29, v6, vcc_lo
	v_lshlrev_b64 v[7:8], 2, v[7:8]
	s_delay_alu instid0(VALU_DEP_1) | instskip(NEXT) | instid1(VALU_DEP_2)
	v_add_co_u32 v7, vcc_lo, s28, v7
	v_add_co_ci_u32_e32 v8, vcc_lo, s29, v8, vcc_lo
	v_cmpx_gt_i32_e64 s11, v3
	s_cbranch_execz .LBB75_50
; %bb.39:
	v_ashrrev_i32_e32 v4, 31, v3
	s_and_b32 vcc_lo, exec_lo, s4
	s_cbranch_vccz .LBB75_45
; %bb.40:
	s_and_b32 vcc_lo, exec_lo, s1
	s_mov_b32 s5, -1
	s_cbranch_vccz .LBB75_42
; %bb.41:
	v_lshlrev_b64 v[9:10], 2, v[3:4]
	v_mul_f32_e32 v12, s6, v1
	s_mov_b32 s5, 0
	s_delay_alu instid0(VALU_DEP_2) | instskip(NEXT) | instid1(VALU_DEP_3)
	v_add_co_u32 v9, vcc_lo, v7, v9
	v_add_co_ci_u32_e32 v10, vcc_lo, v8, v10, vcc_lo
	global_load_b32 v11, v[9:10], off
	s_waitcnt vmcnt(0)
	v_fmac_f32_e32 v12, s12, v11
	global_store_b32 v[9:10], v12, off
.LBB75_42:
	s_and_not1_b32 vcc_lo, exec_lo, s5
	s_cbranch_vccnz .LBB75_44
; %bb.43:
	v_mul_lo_u32 v11, v4, s2
	v_mul_lo_u32 v12, v3, s3
	v_mad_u64_u32 v[9:10], null, v3, s2, 0
	s_delay_alu instid0(VALU_DEP_1) | instskip(SKIP_1) | instid1(VALU_DEP_2)
	v_add3_u32 v10, v10, v12, v11
	v_mul_f32_e32 v12, s6, v1
	v_lshlrev_b64 v[9:10], 2, v[9:10]
	s_delay_alu instid0(VALU_DEP_1) | instskip(NEXT) | instid1(VALU_DEP_2)
	v_add_co_u32 v9, vcc_lo, v5, v9
	v_add_co_ci_u32_e32 v10, vcc_lo, v6, v10, vcc_lo
	global_load_b32 v11, v[9:10], off
	s_waitcnt vmcnt(0)
	v_fmac_f32_e32 v12, s12, v11
	global_store_b32 v[9:10], v12, off
.LBB75_44:
	s_cbranch_execz .LBB75_46
	s_branch .LBB75_50
.LBB75_45:
.LBB75_46:
	v_mul_f32_e32 v1, s6, v1
	s_and_b32 vcc_lo, exec_lo, s1
	s_mov_b32 s5, -1
	s_cbranch_vccz .LBB75_48
; %bb.47:
	v_lshlrev_b64 v[9:10], 2, v[3:4]
	s_mov_b32 s5, 0
	s_delay_alu instid0(VALU_DEP_1) | instskip(NEXT) | instid1(VALU_DEP_2)
	v_add_co_u32 v9, vcc_lo, v7, v9
	v_add_co_ci_u32_e32 v10, vcc_lo, v8, v10, vcc_lo
	global_store_b32 v[9:10], v1, off
.LBB75_48:
	s_and_not1_b32 vcc_lo, exec_lo, s5
	s_cbranch_vccnz .LBB75_50
; %bb.49:
	v_mul_lo_u32 v4, v4, s2
	v_mul_lo_u32 v11, v3, s3
	v_mad_u64_u32 v[9:10], null, v3, s2, 0
	s_delay_alu instid0(VALU_DEP_1) | instskip(NEXT) | instid1(VALU_DEP_1)
	v_add3_u32 v10, v10, v11, v4
	v_lshlrev_b64 v[3:4], 2, v[9:10]
	s_delay_alu instid0(VALU_DEP_1) | instskip(NEXT) | instid1(VALU_DEP_2)
	v_add_co_u32 v3, vcc_lo, v5, v3
	v_add_co_ci_u32_e32 v4, vcc_lo, v6, v4, vcc_lo
	global_store_b32 v[3:4], v1, off
.LBB75_50:
	s_or_b32 exec_lo, exec_lo, s0
	v_cmp_gt_i32_e32 vcc_lo, s11, v0
	s_and_b32 exec_lo, exec_lo, vcc_lo
	s_cbranch_execz .LBB75_57
; %bb.51:
	v_cndmask_b32_e64 v3, 0, 1, s1
	v_ashrrev_i32_e32 v1, 31, v0
	s_and_not1_b32 vcc_lo, exec_lo, s4
	s_delay_alu instid0(VALU_DEP_2)
	v_cmp_ne_u32_e64 s0, 1, v3
	s_cbranch_vccnz .LBB75_58
; %bb.52:
	s_delay_alu instid0(VALU_DEP_1)
	s_and_b32 vcc_lo, exec_lo, s0
	s_mov_b32 s0, -1
	s_cbranch_vccnz .LBB75_54
; %bb.53:
	v_lshlrev_b64 v[3:4], 2, v[0:1]
	v_mul_f32_e32 v10, s6, v2
	s_mov_b32 s0, 0
	s_delay_alu instid0(VALU_DEP_2) | instskip(NEXT) | instid1(VALU_DEP_3)
	v_add_co_u32 v3, vcc_lo, v7, v3
	v_add_co_ci_u32_e32 v4, vcc_lo, v8, v4, vcc_lo
	global_load_b32 v9, v[3:4], off
	s_waitcnt vmcnt(0)
	v_fmac_f32_e32 v10, s12, v9
	global_store_b32 v[3:4], v10, off
.LBB75_54:
	s_and_not1_b32 vcc_lo, exec_lo, s0
	s_cbranch_vccnz .LBB75_56
; %bb.55:
	v_mul_lo_u32 v9, v1, s2
	v_mul_lo_u32 v10, v0, s3
	v_mad_u64_u32 v[3:4], null, v0, s2, 0
	s_delay_alu instid0(VALU_DEP_1) | instskip(SKIP_1) | instid1(VALU_DEP_2)
	v_add3_u32 v4, v4, v10, v9
	v_mul_f32_e32 v10, s6, v2
	v_lshlrev_b64 v[3:4], 2, v[3:4]
	s_delay_alu instid0(VALU_DEP_1) | instskip(NEXT) | instid1(VALU_DEP_2)
	v_add_co_u32 v3, vcc_lo, v5, v3
	v_add_co_ci_u32_e32 v4, vcc_lo, v6, v4, vcc_lo
	global_load_b32 v9, v[3:4], off
	s_waitcnt vmcnt(0)
	v_fmac_f32_e32 v10, s12, v9
	global_store_b32 v[3:4], v10, off
.LBB75_56:
	s_cbranch_execz .LBB75_59
.LBB75_57:
	s_nop 0
	s_sendmsg sendmsg(MSG_DEALLOC_VGPRS)
	s_endpgm
.LBB75_58:
.LBB75_59:
	v_mul_f32_e32 v2, s6, v2
	s_and_not1_b32 vcc_lo, exec_lo, s1
	s_mov_b32 s0, -1
	s_cbranch_vccnz .LBB75_61
; %bb.60:
	v_lshlrev_b64 v[3:4], 2, v[0:1]
	s_mov_b32 s0, 0
	s_delay_alu instid0(VALU_DEP_1) | instskip(NEXT) | instid1(VALU_DEP_2)
	v_add_co_u32 v3, vcc_lo, v7, v3
	v_add_co_ci_u32_e32 v4, vcc_lo, v8, v4, vcc_lo
	global_store_b32 v[3:4], v2, off
.LBB75_61:
	s_and_not1_b32 vcc_lo, exec_lo, s0
	s_cbranch_vccnz .LBB75_57
; %bb.62:
	v_mul_lo_u32 v1, v1, s2
	v_mul_lo_u32 v7, v0, s3
	v_mad_u64_u32 v[3:4], null, v0, s2, 0
	s_delay_alu instid0(VALU_DEP_1) | instskip(NEXT) | instid1(VALU_DEP_1)
	v_add3_u32 v4, v4, v7, v1
	v_lshlrev_b64 v[0:1], 2, v[3:4]
	s_delay_alu instid0(VALU_DEP_1) | instskip(NEXT) | instid1(VALU_DEP_2)
	v_add_co_u32 v0, vcc_lo, v5, v0
	v_add_co_ci_u32_e32 v1, vcc_lo, v6, v1, vcc_lo
	global_store_b32 v[0:1], v2, off
	s_nop 0
	s_sendmsg sendmsg(MSG_DEALLOC_VGPRS)
	s_endpgm
	.section	.rodata,"a",@progbits
	.p2align	6, 0x0
	.amdhsa_kernel _ZN9rocsparseL31bsrmm_large_blockdim_kernel_extILj32ELj32ELj2EiiaaffEEvb20rocsparse_direction_T3_S2_llNS_24const_host_device_scalarIT7_EEPKT2_PKS2_PKT4_S2_PKT5_llS5_PT6_ll16rocsparse_order_21rocsparse_index_base_b
		.amdhsa_group_segment_fixed_size 12288
		.amdhsa_private_segment_fixed_size 0
		.amdhsa_kernarg_size 140
		.amdhsa_user_sgpr_count 14
		.amdhsa_user_sgpr_dispatch_ptr 0
		.amdhsa_user_sgpr_queue_ptr 0
		.amdhsa_user_sgpr_kernarg_segment_ptr 1
		.amdhsa_user_sgpr_dispatch_id 0
		.amdhsa_user_sgpr_private_segment_size 0
		.amdhsa_wavefront_size32 1
		.amdhsa_uses_dynamic_stack 0
		.amdhsa_enable_private_segment 0
		.amdhsa_system_sgpr_workgroup_id_x 1
		.amdhsa_system_sgpr_workgroup_id_y 1
		.amdhsa_system_sgpr_workgroup_id_z 0
		.amdhsa_system_sgpr_workgroup_info 0
		.amdhsa_system_vgpr_workitem_id 1
		.amdhsa_next_free_vgpr 35
		.amdhsa_next_free_sgpr 38
		.amdhsa_reserve_vcc 1
		.amdhsa_float_round_mode_32 0
		.amdhsa_float_round_mode_16_64 0
		.amdhsa_float_denorm_mode_32 3
		.amdhsa_float_denorm_mode_16_64 3
		.amdhsa_dx10_clamp 1
		.amdhsa_ieee_mode 1
		.amdhsa_fp16_overflow 0
		.amdhsa_workgroup_processor_mode 1
		.amdhsa_memory_ordered 1
		.amdhsa_forward_progress 0
		.amdhsa_shared_vgpr_count 0
		.amdhsa_exception_fp_ieee_invalid_op 0
		.amdhsa_exception_fp_denorm_src 0
		.amdhsa_exception_fp_ieee_div_zero 0
		.amdhsa_exception_fp_ieee_overflow 0
		.amdhsa_exception_fp_ieee_underflow 0
		.amdhsa_exception_fp_ieee_inexact 0
		.amdhsa_exception_int_div_zero 0
	.end_amdhsa_kernel
	.section	.text._ZN9rocsparseL31bsrmm_large_blockdim_kernel_extILj32ELj32ELj2EiiaaffEEvb20rocsparse_direction_T3_S2_llNS_24const_host_device_scalarIT7_EEPKT2_PKS2_PKT4_S2_PKT5_llS5_PT6_ll16rocsparse_order_21rocsparse_index_base_b,"axG",@progbits,_ZN9rocsparseL31bsrmm_large_blockdim_kernel_extILj32ELj32ELj2EiiaaffEEvb20rocsparse_direction_T3_S2_llNS_24const_host_device_scalarIT7_EEPKT2_PKS2_PKT4_S2_PKT5_llS5_PT6_ll16rocsparse_order_21rocsparse_index_base_b,comdat
.Lfunc_end75:
	.size	_ZN9rocsparseL31bsrmm_large_blockdim_kernel_extILj32ELj32ELj2EiiaaffEEvb20rocsparse_direction_T3_S2_llNS_24const_host_device_scalarIT7_EEPKT2_PKS2_PKT4_S2_PKT5_llS5_PT6_ll16rocsparse_order_21rocsparse_index_base_b, .Lfunc_end75-_ZN9rocsparseL31bsrmm_large_blockdim_kernel_extILj32ELj32ELj2EiiaaffEEvb20rocsparse_direction_T3_S2_llNS_24const_host_device_scalarIT7_EEPKT2_PKS2_PKT4_S2_PKT5_llS5_PT6_ll16rocsparse_order_21rocsparse_index_base_b
                                        ; -- End function
	.section	.AMDGPU.csdata,"",@progbits
; Kernel info:
; codeLenInByte = 2336
; NumSgprs: 40
; NumVgprs: 35
; ScratchSize: 0
; MemoryBound: 0
; FloatMode: 240
; IeeeMode: 1
; LDSByteSize: 12288 bytes/workgroup (compile time only)
; SGPRBlocks: 4
; VGPRBlocks: 4
; NumSGPRsForWavesPerEU: 40
; NumVGPRsForWavesPerEU: 35
; Occupancy: 16
; WaveLimiterHint : 1
; COMPUTE_PGM_RSRC2:SCRATCH_EN: 0
; COMPUTE_PGM_RSRC2:USER_SGPR: 14
; COMPUTE_PGM_RSRC2:TRAP_HANDLER: 0
; COMPUTE_PGM_RSRC2:TGID_X_EN: 1
; COMPUTE_PGM_RSRC2:TGID_Y_EN: 1
; COMPUTE_PGM_RSRC2:TGID_Z_EN: 0
; COMPUTE_PGM_RSRC2:TIDIG_COMP_CNT: 1
	.section	.text._ZN9rocsparseL31bsrmm_large_blockdim_kernel_extILj8ELj8ELj2EliaaffEEvb20rocsparse_direction_T3_S2_llNS_24const_host_device_scalarIT7_EEPKT2_PKS2_PKT4_S2_PKT5_llS5_PT6_ll16rocsparse_order_21rocsparse_index_base_b,"axG",@progbits,_ZN9rocsparseL31bsrmm_large_blockdim_kernel_extILj8ELj8ELj2EliaaffEEvb20rocsparse_direction_T3_S2_llNS_24const_host_device_scalarIT7_EEPKT2_PKS2_PKT4_S2_PKT5_llS5_PT6_ll16rocsparse_order_21rocsparse_index_base_b,comdat
	.globl	_ZN9rocsparseL31bsrmm_large_blockdim_kernel_extILj8ELj8ELj2EliaaffEEvb20rocsparse_direction_T3_S2_llNS_24const_host_device_scalarIT7_EEPKT2_PKS2_PKT4_S2_PKT5_llS5_PT6_ll16rocsparse_order_21rocsparse_index_base_b ; -- Begin function _ZN9rocsparseL31bsrmm_large_blockdim_kernel_extILj8ELj8ELj2EliaaffEEvb20rocsparse_direction_T3_S2_llNS_24const_host_device_scalarIT7_EEPKT2_PKS2_PKT4_S2_PKT5_llS5_PT6_ll16rocsparse_order_21rocsparse_index_base_b
	.p2align	8
	.type	_ZN9rocsparseL31bsrmm_large_blockdim_kernel_extILj8ELj8ELj2EliaaffEEvb20rocsparse_direction_T3_S2_llNS_24const_host_device_scalarIT7_EEPKT2_PKS2_PKT4_S2_PKT5_llS5_PT6_ll16rocsparse_order_21rocsparse_index_base_b,@function
_ZN9rocsparseL31bsrmm_large_blockdim_kernel_extILj8ELj8ELj2EliaaffEEvb20rocsparse_direction_T3_S2_llNS_24const_host_device_scalarIT7_EEPKT2_PKS2_PKT4_S2_PKT5_llS5_PT6_ll16rocsparse_order_21rocsparse_index_base_b: ; @_ZN9rocsparseL31bsrmm_large_blockdim_kernel_extILj8ELj8ELj2EliaaffEEvb20rocsparse_direction_T3_S2_llNS_24const_host_device_scalarIT7_EEPKT2_PKS2_PKT4_S2_PKT5_llS5_PT6_ll16rocsparse_order_21rocsparse_index_base_b
; %bb.0:
	s_clause 0x2
	s_load_b128 s[16:19], s[0:1], 0x80
	s_load_b64 s[6:7], s[0:1], 0x20
	s_load_b64 s[12:13], s[0:1], 0x60
	s_mov_b32 s2, s15
	s_waitcnt lgkmcnt(0)
	s_bitcmp1_b32 s18, 0
	s_cselect_b32 s3, -1, 0
	s_delay_alu instid0(SALU_CYCLE_1)
	s_and_b32 vcc_lo, exec_lo, s3
	s_xor_b32 s3, s3, -1
	s_cbranch_vccnz .LBB76_2
; %bb.1:
	s_load_b32 s6, s[6:7], 0x0
.LBB76_2:
	s_and_not1_b32 vcc_lo, exec_lo, s3
	s_cbranch_vccnz .LBB76_4
; %bb.3:
	s_load_b32 s12, s[12:13], 0x0
.LBB76_4:
	s_waitcnt lgkmcnt(0)
	v_cmp_eq_f32_e64 s3, s6, 0
	v_cmp_eq_f32_e64 s4, s12, 1.0
	s_delay_alu instid0(VALU_DEP_1) | instskip(NEXT) | instid1(SALU_CYCLE_1)
	s_and_b32 s3, s3, s4
	s_and_b32 vcc_lo, exec_lo, s3
	s_cbranch_vccnz .LBB76_57
; %bb.5:
	s_clause 0x1
	s_load_b128 s[8:11], s[0:1], 0x0
	s_load_b64 s[4:5], s[0:1], 0x28
	s_mov_b64 s[28:29], 0
	s_mov_b64 s[30:31], 0
	s_waitcnt lgkmcnt(0)
	s_cmp_lt_i32 s14, s10
	s_cselect_b32 s7, -1, 0
	s_cmp_ge_i32 s14, s10
	s_cbranch_scc1 .LBB76_7
; %bb.6:
	s_ashr_i32 s15, s14, 31
	s_delay_alu instid0(SALU_CYCLE_1) | instskip(NEXT) | instid1(SALU_CYCLE_1)
	s_lshl_b64 s[18:19], s[14:15], 3
	s_add_u32 s18, s4, s18
	s_addc_u32 s19, s5, s19
	s_load_b64 s[18:19], s[18:19], 0x0
	s_waitcnt lgkmcnt(0)
	s_sub_u32 s30, s18, s17
	s_subb_u32 s31, s19, 0
.LBB76_7:
	s_and_not1_b32 vcc_lo, exec_lo, s7
	s_cbranch_vccnz .LBB76_9
; %bb.8:
	s_ashr_i32 s15, s14, 31
	s_delay_alu instid0(SALU_CYCLE_1) | instskip(NEXT) | instid1(SALU_CYCLE_1)
	s_lshl_b64 s[18:19], s[14:15], 3
	s_add_u32 s4, s4, s18
	s_addc_u32 s5, s5, s19
	s_load_b64 s[4:5], s[4:5], 0x8
	s_waitcnt lgkmcnt(0)
	s_sub_u32 s28, s4, s17
	s_subb_u32 s29, s5, 0
.LBB76_9:
	s_clause 0x1
	s_load_b32 s10, s[0:1], 0x40
	s_load_b64 s[18:19], s[0:1], 0x68
	v_bfe_u32 v11, v0, 10, 10
	s_mov_b32 s34, 0
	s_delay_alu instid0(SALU_CYCLE_1) | instskip(SKIP_1) | instid1(VALU_DEP_2)
	s_mov_b32 s35, s34
	v_dual_mov_b32 v1, s34 :: v_dual_and_b32 v4, 0x3ff, v0
	v_lshl_add_u32 v3, s2, 4, v11
	v_cmp_ge_i64_e64 s2, s[30:31], s[28:29]
	v_mov_b32_e32 v2, s35
	s_delay_alu instid0(VALU_DEP_3) | instskip(SKIP_1) | instid1(VALU_DEP_4)
	v_add_nc_u32_e32 v0, 8, v3
	v_cmp_gt_i32_e64 s3, s11, v3
	s_and_b32 vcc_lo, exec_lo, s2
	s_delay_alu instid0(VALU_DEP_2)
	v_cmp_gt_i32_e64 s4, s11, v0
	s_waitcnt lgkmcnt(0)
	v_cmp_gt_i32_e64 s2, s10, v4
	s_cbranch_vccnz .LBB76_37
; %bb.10:
	s_clause 0x1
	s_load_b128 s[20:23], s[0:1], 0x30
	s_load_b128 s[24:27], s[0:1], 0x48
	v_mul_lo_u32 v2, v11, s10
	v_cmp_gt_i32_e32 vcc_lo, s10, v11
	v_mul_lo_u32 v5, v4, s10
	v_ashrrev_i32_e32 v13, 31, v3
	v_lshl_add_u32 v9, v4, 3, v11
	v_ashrrev_i32_e32 v14, 31, v0
	s_and_b32 s13, s2, vcc_lo
	s_bitcmp1_b32 s8, 0
	s_delay_alu instid0(VALU_DEP_2) | instskip(SKIP_4) | instid1(VALU_DEP_1)
	v_lshl_add_u32 v15, v9, 2, 0x200
	s_cselect_b32 s5, -1, 0
	s_cmp_eq_u32 s9, 0
	s_waitcnt lgkmcnt(0)
	v_add_co_u32 v2, s8, s22, v2
	v_add_co_ci_u32_e64 v6, null, s23, 0, s8
	v_add_co_u32 v10, s8, s22, v5
	s_delay_alu instid0(VALU_DEP_3) | instskip(SKIP_1) | instid1(VALU_DEP_4)
	v_add_co_u32 v2, vcc_lo, v2, v4
	v_mul_lo_u32 v17, v3, s27
	v_add_co_ci_u32_e32 v18, vcc_lo, 0, v6, vcc_lo
	v_mul_lo_u32 v19, v13, s26
	v_mad_u64_u32 v[5:6], null, v3, s26, 0
	v_add_co_ci_u32_e64 v12, null, s23, 0, s8
	v_add_co_u32 v9, vcc_lo, v10, v11
	v_mul_lo_u32 v20, v0, s27
	v_mul_lo_u32 v21, v14, s26
	v_mad_u64_u32 v[7:8], null, v0, s26, 0
	v_add_co_ci_u32_e32 v10, vcc_lo, 0, v12, vcc_lo
	s_cselect_b32 vcc_lo, -1, 0
	v_lshlrev_b32_e32 v1, 3, v11
	v_add3_u32 v6, v6, v17, v19
	s_delay_alu instid0(VALU_DEP_3)
	v_dual_cndmask_b32 v10, v18, v10 :: v_dual_lshlrev_b32 v17, 5, v11
	s_add_i32 s9, s10, -1
	s_and_b32 s8, s10, 7
	s_cmp_gt_u32 s9, 6
	v_add_lshl_u32 v16, v1, v4, 2
	v_cndmask_b32_e32 v9, v2, v9, vcc_lo
	v_dual_mov_b32 v1, s34 :: v_dual_mov_b32 v2, s35
	v_add3_u32 v8, v8, v20, v21
	s_cselect_b32 s9, -1, 0
	s_and_b32 s15, s10, -8
	v_lshl_add_u32 v18, v4, 5, 0x200
	v_add_nc_u32_e32 v19, 0x100, v17
	s_cmp_lg_u32 s8, 0
	s_mul_i32 s23, s10, s10
	s_cselect_b32 s22, -1, 0
	s_branch .LBB76_13
.LBB76_11:                              ;   in Loop: Header=BB76_13 Depth=1
	s_or_b32 exec_lo, exec_lo, s34
.LBB76_12:                              ;   in Loop: Header=BB76_13 Depth=1
	s_delay_alu instid0(SALU_CYCLE_1) | instskip(SKIP_2) | instid1(SALU_CYCLE_1)
	s_or_b32 exec_lo, exec_lo, s33
	s_add_u32 s30, s30, 1
	s_addc_u32 s31, s31, 0
	v_cmp_ge_i64_e64 s33, s[30:31], s[28:29]
	s_barrier
	buffer_gl0_inv
	s_and_b32 vcc_lo, exec_lo, s33
	s_cbranch_vccnz .LBB76_37
.LBB76_13:                              ; =>This Loop Header: Depth=1
                                        ;     Child Loop BB76_24 Depth 2
                                        ;     Child Loop BB76_28 Depth 2
	;; [unrolled: 1-line block ×4, first 2 shown]
	s_and_saveexec_b32 s33, s2
	s_cbranch_execz .LBB76_18
; %bb.14:                               ;   in Loop: Header=BB76_13 Depth=1
	s_lshl_b64 s[34:35], s[30:31], 2
	s_delay_alu instid0(SALU_CYCLE_1) | instskip(SKIP_4) | instid1(SALU_CYCLE_1)
	s_add_u32 s34, s20, s34
	s_addc_u32 s35, s21, s35
	s_load_b32 s34, s[34:35], 0x0
	s_waitcnt lgkmcnt(0)
	s_sub_i32 s34, s34, s17
	v_mad_u64_u32 v[20:21], null, s34, s10, v[4:5]
	s_delay_alu instid0(VALU_DEP_1) | instskip(SKIP_3) | instid1(VALU_DEP_4)
	v_ashrrev_i32_e32 v21, 31, v20
	v_mul_lo_u32 v22, v20, s27
	v_mad_u64_u32 v[11:12], null, v20, s26, s[24:25]
	v_add_co_u32 v20, vcc_lo, s24, v20
	v_mul_lo_u32 v23, v21, s26
	v_add_co_ci_u32_e32 v21, vcc_lo, s25, v21, vcc_lo
	s_delay_alu instid0(VALU_DEP_2)
	v_add3_u32 v12, v23, v12, v22
	s_and_saveexec_b32 s34, s3
	s_cbranch_execz .LBB76_16
; %bb.15:                               ;   in Loop: Header=BB76_13 Depth=1
	v_add_co_u32 v22, vcc_lo, v20, v5
	v_add_co_ci_u32_e32 v23, vcc_lo, v21, v6, vcc_lo
	v_add_co_u32 v24, vcc_lo, v11, v3
	v_add_co_ci_u32_e32 v25, vcc_lo, v12, v13, vcc_lo
	s_delay_alu instid0(VALU_DEP_2) | instskip(NEXT) | instid1(VALU_DEP_2)
	v_cndmask_b32_e64 v22, v24, v22, s5
	v_cndmask_b32_e64 v23, v25, v23, s5
	global_load_i8 v22, v[22:23], off
	s_waitcnt vmcnt(0)
	v_cvt_f32_i32_e32 v22, v22
	ds_store_b32 v16, v22
.LBB76_16:                              ;   in Loop: Header=BB76_13 Depth=1
	s_or_b32 exec_lo, exec_lo, s34
	s_delay_alu instid0(SALU_CYCLE_1)
	s_and_b32 exec_lo, exec_lo, s4
	s_cbranch_execz .LBB76_18
; %bb.17:                               ;   in Loop: Header=BB76_13 Depth=1
	v_add_co_u32 v20, vcc_lo, v20, v7
	v_add_co_ci_u32_e32 v21, vcc_lo, v21, v8, vcc_lo
	v_add_co_u32 v11, vcc_lo, v11, v0
	v_add_co_ci_u32_e32 v12, vcc_lo, v12, v14, vcc_lo
	s_delay_alu instid0(VALU_DEP_2) | instskip(NEXT) | instid1(VALU_DEP_2)
	v_cndmask_b32_e64 v11, v11, v20, s5
	v_cndmask_b32_e64 v12, v12, v21, s5
	global_load_i8 v11, v[11:12], off
	s_waitcnt vmcnt(0)
	v_cvt_f32_i32_e32 v11, v11
	ds_store_b32 v16, v11 offset:256
.LBB76_18:                              ;   in Loop: Header=BB76_13 Depth=1
	s_or_b32 exec_lo, exec_lo, s33
	s_and_saveexec_b32 s33, s13
	s_cbranch_execz .LBB76_20
; %bb.19:                               ;   in Loop: Header=BB76_13 Depth=1
	v_mad_u64_u32 v[11:12], null, s30, s23, v[9:10]
	s_delay_alu instid0(VALU_DEP_1) | instskip(NEXT) | instid1(VALU_DEP_1)
	v_mad_u64_u32 v[20:21], null, s31, s23, v[12:13]
	v_mov_b32_e32 v12, v20
	global_load_i8 v11, v[11:12], off
	s_waitcnt vmcnt(0)
	v_cvt_f32_i32_e32 v11, v11
	ds_store_b32 v15, v11
.LBB76_20:                              ;   in Loop: Header=BB76_13 Depth=1
	s_or_b32 exec_lo, exec_lo, s33
	s_waitcnt lgkmcnt(0)
	s_barrier
	buffer_gl0_inv
	s_and_saveexec_b32 s33, s2
	s_cbranch_execz .LBB76_12
; %bb.21:                               ;   in Loop: Header=BB76_13 Depth=1
	s_and_saveexec_b32 s34, s3
	s_cbranch_execz .LBB76_29
; %bb.22:                               ;   in Loop: Header=BB76_13 Depth=1
	s_and_not1_b32 vcc_lo, exec_lo, s9
	s_cbranch_vccnz .LBB76_26
; %bb.23:                               ;   in Loop: Header=BB76_13 Depth=1
	v_dual_mov_b32 v11, v18 :: v_dual_mov_b32 v12, v17
	s_mov_b32 s35, 0
	.p2align	6
.LBB76_24:                              ;   Parent Loop BB76_13 Depth=1
                                        ; =>  This Inner Loop Header: Depth=2
	ds_load_b128 v[20:23], v12
	ds_load_b128 v[24:27], v11
	ds_load_b128 v[28:31], v11 offset:16
	ds_load_b128 v[32:35], v12 offset:16
	v_add_nc_u32_e32 v11, 32, v11
	s_add_i32 s35, s35, 8
	v_add_nc_u32_e32 v12, 32, v12
	s_cmp_lg_u32 s15, s35
	s_waitcnt lgkmcnt(2)
	v_fma_f32 v1, v24, v20, v1
	s_delay_alu instid0(VALU_DEP_1) | instskip(NEXT) | instid1(VALU_DEP_1)
	v_fmac_f32_e32 v1, v25, v21
	v_fmac_f32_e32 v1, v26, v22
	s_delay_alu instid0(VALU_DEP_1) | instskip(SKIP_1) | instid1(VALU_DEP_1)
	v_fmac_f32_e32 v1, v27, v23
	s_waitcnt lgkmcnt(0)
	v_fmac_f32_e32 v1, v28, v32
	s_delay_alu instid0(VALU_DEP_1) | instskip(NEXT) | instid1(VALU_DEP_1)
	v_fmac_f32_e32 v1, v29, v33
	v_fmac_f32_e32 v1, v30, v34
	s_delay_alu instid0(VALU_DEP_1)
	v_fmac_f32_e32 v1, v31, v35
	s_cbranch_scc1 .LBB76_24
; %bb.25:                               ;   in Loop: Header=BB76_13 Depth=1
	s_mov_b32 s35, s15
	s_and_not1_b32 vcc_lo, exec_lo, s22
	s_cbranch_vccz .LBB76_27
	s_branch .LBB76_29
.LBB76_26:                              ;   in Loop: Header=BB76_13 Depth=1
	s_mov_b32 s35, 0
	s_and_not1_b32 vcc_lo, exec_lo, s22
	s_cbranch_vccnz .LBB76_29
.LBB76_27:                              ;   in Loop: Header=BB76_13 Depth=1
	s_lshl_b32 s35, s35, 2
	s_delay_alu instid0(SALU_CYCLE_1)
	v_add_nc_u32_e32 v11, s35, v17
	v_add_nc_u32_e32 v12, s35, v18
	s_mov_b32 s35, s8
.LBB76_28:                              ;   Parent Loop BB76_13 Depth=1
                                        ; =>  This Inner Loop Header: Depth=2
	ds_load_b32 v20, v12
	ds_load_b32 v21, v11
	v_add_nc_u32_e32 v11, 4, v11
	v_add_nc_u32_e32 v12, 4, v12
	s_add_i32 s35, s35, -1
	s_delay_alu instid0(SALU_CYCLE_1)
	s_cmp_lg_u32 s35, 0
	s_waitcnt lgkmcnt(0)
	v_fma_f32 v1, v20, v21, v1
	s_cbranch_scc1 .LBB76_28
.LBB76_29:                              ;   in Loop: Header=BB76_13 Depth=1
	s_or_b32 exec_lo, exec_lo, s34
	s_and_saveexec_b32 s34, s4
	s_cbranch_execz .LBB76_11
; %bb.30:                               ;   in Loop: Header=BB76_13 Depth=1
	s_and_not1_b32 vcc_lo, exec_lo, s9
	s_cbranch_vccnz .LBB76_34
; %bb.31:                               ;   in Loop: Header=BB76_13 Depth=1
	v_dual_mov_b32 v11, v18 :: v_dual_mov_b32 v12, v19
	s_mov_b32 s35, 0
	.p2align	6
.LBB76_32:                              ;   Parent Loop BB76_13 Depth=1
                                        ; =>  This Inner Loop Header: Depth=2
	ds_load_b128 v[20:23], v12
	ds_load_b128 v[24:27], v11
	ds_load_b128 v[28:31], v11 offset:16
	ds_load_b128 v[32:35], v12 offset:16
	v_add_nc_u32_e32 v12, 32, v12
	s_add_i32 s35, s35, 8
	v_add_nc_u32_e32 v11, 32, v11
	s_cmp_lg_u32 s15, s35
	s_waitcnt lgkmcnt(2)
	v_fma_f32 v2, v24, v20, v2
	s_delay_alu instid0(VALU_DEP_1) | instskip(NEXT) | instid1(VALU_DEP_1)
	v_fmac_f32_e32 v2, v25, v21
	v_fmac_f32_e32 v2, v26, v22
	s_delay_alu instid0(VALU_DEP_1) | instskip(SKIP_1) | instid1(VALU_DEP_1)
	v_fmac_f32_e32 v2, v27, v23
	s_waitcnt lgkmcnt(0)
	v_fmac_f32_e32 v2, v28, v32
	s_delay_alu instid0(VALU_DEP_1) | instskip(NEXT) | instid1(VALU_DEP_1)
	v_fmac_f32_e32 v2, v29, v33
	v_fmac_f32_e32 v2, v30, v34
	s_delay_alu instid0(VALU_DEP_1)
	v_fmac_f32_e32 v2, v31, v35
	s_cbranch_scc1 .LBB76_32
; %bb.33:                               ;   in Loop: Header=BB76_13 Depth=1
	s_mov_b32 s35, s15
	s_and_not1_b32 vcc_lo, exec_lo, s22
	s_cbranch_vccz .LBB76_35
	s_branch .LBB76_11
.LBB76_34:                              ;   in Loop: Header=BB76_13 Depth=1
	s_mov_b32 s35, 0
	s_and_not1_b32 vcc_lo, exec_lo, s22
	s_cbranch_vccnz .LBB76_11
.LBB76_35:                              ;   in Loop: Header=BB76_13 Depth=1
	s_lshl_b32 s35, s35, 2
	s_delay_alu instid0(SALU_CYCLE_1)
	v_add_nc_u32_e32 v11, s35, v19
	v_add_nc_u32_e32 v12, s35, v18
	s_mov_b32 s35, s8
.LBB76_36:                              ;   Parent Loop BB76_13 Depth=1
                                        ; =>  This Inner Loop Header: Depth=2
	ds_load_b32 v20, v12
	ds_load_b32 v21, v11
	v_add_nc_u32_e32 v11, 4, v11
	v_add_nc_u32_e32 v12, 4, v12
	s_add_i32 s35, s35, -1
	s_delay_alu instid0(SALU_CYCLE_1)
	s_cmp_lg_u32 s35, 0
	s_waitcnt lgkmcnt(0)
	v_fma_f32 v2, v20, v21, v2
	s_cbranch_scc1 .LBB76_36
	s_branch .LBB76_11
.LBB76_37:
	s_delay_alu instid0(VALU_DEP_1) | instskip(NEXT) | instid1(SALU_CYCLE_1)
	s_and_b32 s2, s7, s2
	s_and_saveexec_b32 s3, s2
	s_cbranch_execz .LBB76_57
; %bb.38:
	s_load_b64 s[2:3], s[0:1], 0x70
	v_mad_u64_u32 v[5:6], null, s14, s10, v[4:5]
	v_cmp_neq_f32_e64 s4, s12, 0
	s_cmp_lg_u32 s16, 1
	s_mov_b32 s0, exec_lo
	s_cselect_b32 s1, -1, 0
	s_delay_alu instid0(VALU_DEP_2) | instskip(SKIP_1) | instid1(VALU_DEP_1)
	v_ashrrev_i32_e32 v6, 31, v5
	s_waitcnt lgkmcnt(0)
	v_mul_lo_u32 v4, v6, s2
	v_mul_lo_u32 v9, v5, s3
	v_mad_u64_u32 v[7:8], null, v5, s2, 0
	v_lshlrev_b64 v[5:6], 2, v[5:6]
	s_delay_alu instid0(VALU_DEP_1) | instskip(NEXT) | instid1(VALU_DEP_3)
	v_add_co_u32 v5, vcc_lo, s18, v5
	v_add3_u32 v8, v8, v9, v4
	s_delay_alu instid0(VALU_DEP_3) | instskip(NEXT) | instid1(VALU_DEP_2)
	v_add_co_ci_u32_e32 v6, vcc_lo, s19, v6, vcc_lo
	v_lshlrev_b64 v[7:8], 2, v[7:8]
	s_delay_alu instid0(VALU_DEP_1) | instskip(NEXT) | instid1(VALU_DEP_2)
	v_add_co_u32 v7, vcc_lo, s18, v7
	v_add_co_ci_u32_e32 v8, vcc_lo, s19, v8, vcc_lo
	v_cmpx_gt_i32_e64 s11, v3
	s_cbranch_execz .LBB76_50
; %bb.39:
	v_ashrrev_i32_e32 v4, 31, v3
	s_and_b32 vcc_lo, exec_lo, s4
	s_cbranch_vccz .LBB76_45
; %bb.40:
	s_and_b32 vcc_lo, exec_lo, s1
	s_mov_b32 s5, -1
	s_cbranch_vccz .LBB76_42
; %bb.41:
	v_lshlrev_b64 v[9:10], 2, v[3:4]
	v_mul_f32_e32 v12, s6, v1
	s_mov_b32 s5, 0
	s_delay_alu instid0(VALU_DEP_2) | instskip(NEXT) | instid1(VALU_DEP_3)
	v_add_co_u32 v9, vcc_lo, v7, v9
	v_add_co_ci_u32_e32 v10, vcc_lo, v8, v10, vcc_lo
	global_load_b32 v11, v[9:10], off
	s_waitcnt vmcnt(0)
	v_fmac_f32_e32 v12, s12, v11
	global_store_b32 v[9:10], v12, off
.LBB76_42:
	s_and_not1_b32 vcc_lo, exec_lo, s5
	s_cbranch_vccnz .LBB76_44
; %bb.43:
	v_mul_lo_u32 v11, v4, s2
	v_mul_lo_u32 v12, v3, s3
	v_mad_u64_u32 v[9:10], null, v3, s2, 0
	s_delay_alu instid0(VALU_DEP_1) | instskip(SKIP_1) | instid1(VALU_DEP_2)
	v_add3_u32 v10, v10, v12, v11
	v_mul_f32_e32 v12, s6, v1
	v_lshlrev_b64 v[9:10], 2, v[9:10]
	s_delay_alu instid0(VALU_DEP_1) | instskip(NEXT) | instid1(VALU_DEP_2)
	v_add_co_u32 v9, vcc_lo, v5, v9
	v_add_co_ci_u32_e32 v10, vcc_lo, v6, v10, vcc_lo
	global_load_b32 v11, v[9:10], off
	s_waitcnt vmcnt(0)
	v_fmac_f32_e32 v12, s12, v11
	global_store_b32 v[9:10], v12, off
.LBB76_44:
	s_cbranch_execz .LBB76_46
	s_branch .LBB76_50
.LBB76_45:
.LBB76_46:
	v_mul_f32_e32 v1, s6, v1
	s_and_b32 vcc_lo, exec_lo, s1
	s_mov_b32 s5, -1
	s_cbranch_vccz .LBB76_48
; %bb.47:
	v_lshlrev_b64 v[9:10], 2, v[3:4]
	s_mov_b32 s5, 0
	s_delay_alu instid0(VALU_DEP_1) | instskip(NEXT) | instid1(VALU_DEP_2)
	v_add_co_u32 v9, vcc_lo, v7, v9
	v_add_co_ci_u32_e32 v10, vcc_lo, v8, v10, vcc_lo
	global_store_b32 v[9:10], v1, off
.LBB76_48:
	s_and_not1_b32 vcc_lo, exec_lo, s5
	s_cbranch_vccnz .LBB76_50
; %bb.49:
	v_mul_lo_u32 v4, v4, s2
	v_mul_lo_u32 v11, v3, s3
	v_mad_u64_u32 v[9:10], null, v3, s2, 0
	s_delay_alu instid0(VALU_DEP_1) | instskip(NEXT) | instid1(VALU_DEP_1)
	v_add3_u32 v10, v10, v11, v4
	v_lshlrev_b64 v[3:4], 2, v[9:10]
	s_delay_alu instid0(VALU_DEP_1) | instskip(NEXT) | instid1(VALU_DEP_2)
	v_add_co_u32 v3, vcc_lo, v5, v3
	v_add_co_ci_u32_e32 v4, vcc_lo, v6, v4, vcc_lo
	global_store_b32 v[3:4], v1, off
.LBB76_50:
	s_or_b32 exec_lo, exec_lo, s0
	v_cmp_gt_i32_e32 vcc_lo, s11, v0
	s_and_b32 exec_lo, exec_lo, vcc_lo
	s_cbranch_execz .LBB76_57
; %bb.51:
	v_cndmask_b32_e64 v3, 0, 1, s1
	v_ashrrev_i32_e32 v1, 31, v0
	s_and_not1_b32 vcc_lo, exec_lo, s4
	s_delay_alu instid0(VALU_DEP_2)
	v_cmp_ne_u32_e64 s0, 1, v3
	s_cbranch_vccnz .LBB76_58
; %bb.52:
	s_delay_alu instid0(VALU_DEP_1)
	s_and_b32 vcc_lo, exec_lo, s0
	s_mov_b32 s0, -1
	s_cbranch_vccnz .LBB76_54
; %bb.53:
	v_lshlrev_b64 v[3:4], 2, v[0:1]
	v_mul_f32_e32 v10, s6, v2
	s_mov_b32 s0, 0
	s_delay_alu instid0(VALU_DEP_2) | instskip(NEXT) | instid1(VALU_DEP_3)
	v_add_co_u32 v3, vcc_lo, v7, v3
	v_add_co_ci_u32_e32 v4, vcc_lo, v8, v4, vcc_lo
	global_load_b32 v9, v[3:4], off
	s_waitcnt vmcnt(0)
	v_fmac_f32_e32 v10, s12, v9
	global_store_b32 v[3:4], v10, off
.LBB76_54:
	s_and_not1_b32 vcc_lo, exec_lo, s0
	s_cbranch_vccnz .LBB76_56
; %bb.55:
	v_mul_lo_u32 v9, v1, s2
	v_mul_lo_u32 v10, v0, s3
	v_mad_u64_u32 v[3:4], null, v0, s2, 0
	s_delay_alu instid0(VALU_DEP_1) | instskip(SKIP_1) | instid1(VALU_DEP_2)
	v_add3_u32 v4, v4, v10, v9
	v_mul_f32_e32 v10, s6, v2
	v_lshlrev_b64 v[3:4], 2, v[3:4]
	s_delay_alu instid0(VALU_DEP_1) | instskip(NEXT) | instid1(VALU_DEP_2)
	v_add_co_u32 v3, vcc_lo, v5, v3
	v_add_co_ci_u32_e32 v4, vcc_lo, v6, v4, vcc_lo
	global_load_b32 v9, v[3:4], off
	s_waitcnt vmcnt(0)
	v_fmac_f32_e32 v10, s12, v9
	global_store_b32 v[3:4], v10, off
.LBB76_56:
	s_cbranch_execz .LBB76_59
.LBB76_57:
	s_nop 0
	s_sendmsg sendmsg(MSG_DEALLOC_VGPRS)
	s_endpgm
.LBB76_58:
.LBB76_59:
	v_mul_f32_e32 v2, s6, v2
	s_and_not1_b32 vcc_lo, exec_lo, s1
	s_mov_b32 s0, -1
	s_cbranch_vccnz .LBB76_61
; %bb.60:
	v_lshlrev_b64 v[3:4], 2, v[0:1]
	s_mov_b32 s0, 0
	s_delay_alu instid0(VALU_DEP_1) | instskip(NEXT) | instid1(VALU_DEP_2)
	v_add_co_u32 v3, vcc_lo, v7, v3
	v_add_co_ci_u32_e32 v4, vcc_lo, v8, v4, vcc_lo
	global_store_b32 v[3:4], v2, off
.LBB76_61:
	s_and_not1_b32 vcc_lo, exec_lo, s0
	s_cbranch_vccnz .LBB76_57
; %bb.62:
	v_mul_lo_u32 v1, v1, s2
	v_mul_lo_u32 v7, v0, s3
	v_mad_u64_u32 v[3:4], null, v0, s2, 0
	s_delay_alu instid0(VALU_DEP_1) | instskip(NEXT) | instid1(VALU_DEP_1)
	v_add3_u32 v4, v4, v7, v1
	v_lshlrev_b64 v[0:1], 2, v[3:4]
	s_delay_alu instid0(VALU_DEP_1) | instskip(NEXT) | instid1(VALU_DEP_2)
	v_add_co_u32 v0, vcc_lo, v5, v0
	v_add_co_ci_u32_e32 v1, vcc_lo, v6, v1, vcc_lo
	global_store_b32 v[0:1], v2, off
	s_nop 0
	s_sendmsg sendmsg(MSG_DEALLOC_VGPRS)
	s_endpgm
	.section	.rodata,"a",@progbits
	.p2align	6, 0x0
	.amdhsa_kernel _ZN9rocsparseL31bsrmm_large_blockdim_kernel_extILj8ELj8ELj2EliaaffEEvb20rocsparse_direction_T3_S2_llNS_24const_host_device_scalarIT7_EEPKT2_PKS2_PKT4_S2_PKT5_llS5_PT6_ll16rocsparse_order_21rocsparse_index_base_b
		.amdhsa_group_segment_fixed_size 768
		.amdhsa_private_segment_fixed_size 0
		.amdhsa_kernarg_size 140
		.amdhsa_user_sgpr_count 14
		.amdhsa_user_sgpr_dispatch_ptr 0
		.amdhsa_user_sgpr_queue_ptr 0
		.amdhsa_user_sgpr_kernarg_segment_ptr 1
		.amdhsa_user_sgpr_dispatch_id 0
		.amdhsa_user_sgpr_private_segment_size 0
		.amdhsa_wavefront_size32 1
		.amdhsa_uses_dynamic_stack 0
		.amdhsa_enable_private_segment 0
		.amdhsa_system_sgpr_workgroup_id_x 1
		.amdhsa_system_sgpr_workgroup_id_y 1
		.amdhsa_system_sgpr_workgroup_id_z 0
		.amdhsa_system_sgpr_workgroup_info 0
		.amdhsa_system_vgpr_workitem_id 1
		.amdhsa_next_free_vgpr 36
		.amdhsa_next_free_sgpr 36
		.amdhsa_reserve_vcc 1
		.amdhsa_float_round_mode_32 0
		.amdhsa_float_round_mode_16_64 0
		.amdhsa_float_denorm_mode_32 3
		.amdhsa_float_denorm_mode_16_64 3
		.amdhsa_dx10_clamp 1
		.amdhsa_ieee_mode 1
		.amdhsa_fp16_overflow 0
		.amdhsa_workgroup_processor_mode 1
		.amdhsa_memory_ordered 1
		.amdhsa_forward_progress 0
		.amdhsa_shared_vgpr_count 0
		.amdhsa_exception_fp_ieee_invalid_op 0
		.amdhsa_exception_fp_denorm_src 0
		.amdhsa_exception_fp_ieee_div_zero 0
		.amdhsa_exception_fp_ieee_overflow 0
		.amdhsa_exception_fp_ieee_underflow 0
		.amdhsa_exception_fp_ieee_inexact 0
		.amdhsa_exception_int_div_zero 0
	.end_amdhsa_kernel
	.section	.text._ZN9rocsparseL31bsrmm_large_blockdim_kernel_extILj8ELj8ELj2EliaaffEEvb20rocsparse_direction_T3_S2_llNS_24const_host_device_scalarIT7_EEPKT2_PKS2_PKT4_S2_PKT5_llS5_PT6_ll16rocsparse_order_21rocsparse_index_base_b,"axG",@progbits,_ZN9rocsparseL31bsrmm_large_blockdim_kernel_extILj8ELj8ELj2EliaaffEEvb20rocsparse_direction_T3_S2_llNS_24const_host_device_scalarIT7_EEPKT2_PKS2_PKT4_S2_PKT5_llS5_PT6_ll16rocsparse_order_21rocsparse_index_base_b,comdat
.Lfunc_end76:
	.size	_ZN9rocsparseL31bsrmm_large_blockdim_kernel_extILj8ELj8ELj2EliaaffEEvb20rocsparse_direction_T3_S2_llNS_24const_host_device_scalarIT7_EEPKT2_PKS2_PKT4_S2_PKT5_llS5_PT6_ll16rocsparse_order_21rocsparse_index_base_b, .Lfunc_end76-_ZN9rocsparseL31bsrmm_large_blockdim_kernel_extILj8ELj8ELj2EliaaffEEvb20rocsparse_direction_T3_S2_llNS_24const_host_device_scalarIT7_EEPKT2_PKS2_PKT4_S2_PKT5_llS5_PT6_ll16rocsparse_order_21rocsparse_index_base_b
                                        ; -- End function
	.section	.AMDGPU.csdata,"",@progbits
; Kernel info:
; codeLenInByte = 2420
; NumSgprs: 38
; NumVgprs: 36
; ScratchSize: 0
; MemoryBound: 0
; FloatMode: 240
; IeeeMode: 1
; LDSByteSize: 768 bytes/workgroup (compile time only)
; SGPRBlocks: 4
; VGPRBlocks: 4
; NumSGPRsForWavesPerEU: 38
; NumVGPRsForWavesPerEU: 36
; Occupancy: 16
; WaveLimiterHint : 1
; COMPUTE_PGM_RSRC2:SCRATCH_EN: 0
; COMPUTE_PGM_RSRC2:USER_SGPR: 14
; COMPUTE_PGM_RSRC2:TRAP_HANDLER: 0
; COMPUTE_PGM_RSRC2:TGID_X_EN: 1
; COMPUTE_PGM_RSRC2:TGID_Y_EN: 1
; COMPUTE_PGM_RSRC2:TGID_Z_EN: 0
; COMPUTE_PGM_RSRC2:TIDIG_COMP_CNT: 1
	.section	.text._ZN9rocsparseL31bsrmm_large_blockdim_kernel_extILj4ELj16ELj2EliaaffEEvb20rocsparse_direction_T3_S2_llNS_24const_host_device_scalarIT7_EEPKT2_PKS2_PKT4_S2_PKT5_llS5_PT6_ll16rocsparse_order_21rocsparse_index_base_b,"axG",@progbits,_ZN9rocsparseL31bsrmm_large_blockdim_kernel_extILj4ELj16ELj2EliaaffEEvb20rocsparse_direction_T3_S2_llNS_24const_host_device_scalarIT7_EEPKT2_PKS2_PKT4_S2_PKT5_llS5_PT6_ll16rocsparse_order_21rocsparse_index_base_b,comdat
	.globl	_ZN9rocsparseL31bsrmm_large_blockdim_kernel_extILj4ELj16ELj2EliaaffEEvb20rocsparse_direction_T3_S2_llNS_24const_host_device_scalarIT7_EEPKT2_PKS2_PKT4_S2_PKT5_llS5_PT6_ll16rocsparse_order_21rocsparse_index_base_b ; -- Begin function _ZN9rocsparseL31bsrmm_large_blockdim_kernel_extILj4ELj16ELj2EliaaffEEvb20rocsparse_direction_T3_S2_llNS_24const_host_device_scalarIT7_EEPKT2_PKS2_PKT4_S2_PKT5_llS5_PT6_ll16rocsparse_order_21rocsparse_index_base_b
	.p2align	8
	.type	_ZN9rocsparseL31bsrmm_large_blockdim_kernel_extILj4ELj16ELj2EliaaffEEvb20rocsparse_direction_T3_S2_llNS_24const_host_device_scalarIT7_EEPKT2_PKS2_PKT4_S2_PKT5_llS5_PT6_ll16rocsparse_order_21rocsparse_index_base_b,@function
_ZN9rocsparseL31bsrmm_large_blockdim_kernel_extILj4ELj16ELj2EliaaffEEvb20rocsparse_direction_T3_S2_llNS_24const_host_device_scalarIT7_EEPKT2_PKS2_PKT4_S2_PKT5_llS5_PT6_ll16rocsparse_order_21rocsparse_index_base_b: ; @_ZN9rocsparseL31bsrmm_large_blockdim_kernel_extILj4ELj16ELj2EliaaffEEvb20rocsparse_direction_T3_S2_llNS_24const_host_device_scalarIT7_EEPKT2_PKS2_PKT4_S2_PKT5_llS5_PT6_ll16rocsparse_order_21rocsparse_index_base_b
; %bb.0:
	s_clause 0x2
	s_load_b128 s[16:19], s[0:1], 0x80
	s_load_b64 s[6:7], s[0:1], 0x20
	s_load_b64 s[12:13], s[0:1], 0x60
	s_mov_b32 s2, s15
	s_waitcnt lgkmcnt(0)
	s_bitcmp1_b32 s18, 0
	s_cselect_b32 s3, -1, 0
	s_delay_alu instid0(SALU_CYCLE_1)
	s_and_b32 vcc_lo, exec_lo, s3
	s_xor_b32 s3, s3, -1
	s_cbranch_vccnz .LBB77_2
; %bb.1:
	s_load_b32 s6, s[6:7], 0x0
.LBB77_2:
	s_and_not1_b32 vcc_lo, exec_lo, s3
	s_cbranch_vccnz .LBB77_4
; %bb.3:
	s_load_b32 s12, s[12:13], 0x0
.LBB77_4:
	s_waitcnt lgkmcnt(0)
	v_cmp_eq_f32_e64 s3, s6, 0
	v_cmp_eq_f32_e64 s4, s12, 1.0
	s_delay_alu instid0(VALU_DEP_1) | instskip(NEXT) | instid1(SALU_CYCLE_1)
	s_and_b32 s3, s3, s4
	s_and_b32 vcc_lo, exec_lo, s3
	s_cbranch_vccnz .LBB77_57
; %bb.5:
	s_clause 0x1
	s_load_b128 s[8:11], s[0:1], 0x0
	s_load_b64 s[4:5], s[0:1], 0x28
	s_mov_b64 s[28:29], 0
	s_mov_b64 s[30:31], 0
	s_waitcnt lgkmcnt(0)
	s_cmp_lt_i32 s14, s10
	s_cselect_b32 s7, -1, 0
	s_cmp_ge_i32 s14, s10
	s_cbranch_scc1 .LBB77_7
; %bb.6:
	s_ashr_i32 s15, s14, 31
	s_delay_alu instid0(SALU_CYCLE_1) | instskip(NEXT) | instid1(SALU_CYCLE_1)
	s_lshl_b64 s[18:19], s[14:15], 3
	s_add_u32 s18, s4, s18
	s_addc_u32 s19, s5, s19
	s_load_b64 s[18:19], s[18:19], 0x0
	s_waitcnt lgkmcnt(0)
	s_sub_u32 s30, s18, s17
	s_subb_u32 s31, s19, 0
.LBB77_7:
	s_and_not1_b32 vcc_lo, exec_lo, s7
	s_cbranch_vccnz .LBB77_9
; %bb.8:
	s_ashr_i32 s15, s14, 31
	s_delay_alu instid0(SALU_CYCLE_1) | instskip(NEXT) | instid1(SALU_CYCLE_1)
	s_lshl_b64 s[18:19], s[14:15], 3
	s_add_u32 s4, s4, s18
	s_addc_u32 s5, s5, s19
	s_load_b64 s[4:5], s[4:5], 0x8
	s_waitcnt lgkmcnt(0)
	s_sub_u32 s28, s4, s17
	s_subb_u32 s29, s5, 0
.LBB77_9:
	s_clause 0x1
	s_load_b32 s10, s[0:1], 0x40
	s_load_b64 s[18:19], s[0:1], 0x68
	v_bfe_u32 v11, v0, 10, 10
	s_mov_b32 s34, 0
	s_delay_alu instid0(SALU_CYCLE_1) | instskip(SKIP_1) | instid1(VALU_DEP_2)
	s_mov_b32 s35, s34
	v_dual_mov_b32 v1, s34 :: v_dual_and_b32 v4, 0x3ff, v0
	v_lshl_add_u32 v3, s2, 5, v11
	v_cmp_ge_i64_e64 s2, s[30:31], s[28:29]
	v_mov_b32_e32 v2, s35
	s_delay_alu instid0(VALU_DEP_3) | instskip(SKIP_1) | instid1(VALU_DEP_4)
	v_add_nc_u32_e32 v0, 16, v3
	v_cmp_gt_i32_e64 s3, s11, v3
	s_and_b32 vcc_lo, exec_lo, s2
	s_delay_alu instid0(VALU_DEP_2)
	v_cmp_gt_i32_e64 s4, s11, v0
	s_waitcnt lgkmcnt(0)
	v_cmp_gt_i32_e64 s2, s10, v4
	s_cbranch_vccnz .LBB77_37
; %bb.10:
	s_clause 0x1
	s_load_b128 s[20:23], s[0:1], 0x30
	s_load_b128 s[24:27], s[0:1], 0x48
	v_mul_lo_u32 v2, v11, s10
	v_cmp_gt_i32_e32 vcc_lo, s10, v11
	v_mul_lo_u32 v5, v4, s10
	v_ashrrev_i32_e32 v13, 31, v3
	v_lshl_add_u32 v9, v4, 2, v11
	v_ashrrev_i32_e32 v14, 31, v0
	s_and_b32 s13, s2, vcc_lo
	s_bitcmp1_b32 s8, 0
	s_delay_alu instid0(VALU_DEP_2) | instskip(SKIP_4) | instid1(VALU_DEP_1)
	v_lshl_add_u32 v15, v9, 2, 0x200
	s_cselect_b32 s5, -1, 0
	s_cmp_eq_u32 s9, 0
	s_waitcnt lgkmcnt(0)
	v_add_co_u32 v2, s8, s22, v2
	v_add_co_ci_u32_e64 v6, null, s23, 0, s8
	v_add_co_u32 v10, s8, s22, v5
	s_delay_alu instid0(VALU_DEP_3) | instskip(SKIP_1) | instid1(VALU_DEP_4)
	v_add_co_u32 v2, vcc_lo, v2, v4
	v_mul_lo_u32 v17, v3, s27
	v_add_co_ci_u32_e32 v18, vcc_lo, 0, v6, vcc_lo
	v_mul_lo_u32 v19, v13, s26
	v_mad_u64_u32 v[5:6], null, v3, s26, 0
	v_add_co_ci_u32_e64 v12, null, s23, 0, s8
	v_add_co_u32 v9, vcc_lo, v10, v11
	v_mul_lo_u32 v20, v0, s27
	v_mul_lo_u32 v21, v14, s26
	v_mad_u64_u32 v[7:8], null, v0, s26, 0
	v_add_co_ci_u32_e32 v10, vcc_lo, 0, v12, vcc_lo
	s_cselect_b32 vcc_lo, -1, 0
	v_lshlrev_b32_e32 v1, 2, v11
	v_add3_u32 v6, v6, v17, v19
	s_delay_alu instid0(VALU_DEP_3)
	v_dual_cndmask_b32 v10, v18, v10 :: v_dual_lshlrev_b32 v17, 4, v11
	s_add_i32 s9, s10, -1
	s_and_b32 s8, s10, 7
	s_cmp_gt_u32 s9, 6
	v_add_lshl_u32 v16, v1, v4, 2
	v_cndmask_b32_e32 v9, v2, v9, vcc_lo
	v_dual_mov_b32 v1, s34 :: v_dual_mov_b32 v2, s35
	v_add3_u32 v8, v8, v20, v21
	s_cselect_b32 s9, -1, 0
	s_and_b32 s15, s10, -8
	v_lshl_add_u32 v18, v4, 4, 0x200
	v_add_nc_u32_e32 v19, 0x100, v17
	s_cmp_lg_u32 s8, 0
	s_mul_i32 s23, s10, s10
	s_cselect_b32 s22, -1, 0
	s_branch .LBB77_13
.LBB77_11:                              ;   in Loop: Header=BB77_13 Depth=1
	s_or_b32 exec_lo, exec_lo, s34
.LBB77_12:                              ;   in Loop: Header=BB77_13 Depth=1
	s_delay_alu instid0(SALU_CYCLE_1) | instskip(SKIP_2) | instid1(SALU_CYCLE_1)
	s_or_b32 exec_lo, exec_lo, s33
	s_add_u32 s30, s30, 1
	s_addc_u32 s31, s31, 0
	v_cmp_ge_i64_e64 s33, s[30:31], s[28:29]
	s_barrier
	buffer_gl0_inv
	s_and_b32 vcc_lo, exec_lo, s33
	s_cbranch_vccnz .LBB77_37
.LBB77_13:                              ; =>This Loop Header: Depth=1
                                        ;     Child Loop BB77_24 Depth 2
                                        ;     Child Loop BB77_28 Depth 2
	;; [unrolled: 1-line block ×4, first 2 shown]
	s_and_saveexec_b32 s33, s2
	s_cbranch_execz .LBB77_18
; %bb.14:                               ;   in Loop: Header=BB77_13 Depth=1
	s_lshl_b64 s[34:35], s[30:31], 2
	s_delay_alu instid0(SALU_CYCLE_1) | instskip(SKIP_4) | instid1(SALU_CYCLE_1)
	s_add_u32 s34, s20, s34
	s_addc_u32 s35, s21, s35
	s_load_b32 s34, s[34:35], 0x0
	s_waitcnt lgkmcnt(0)
	s_sub_i32 s34, s34, s17
	v_mad_u64_u32 v[20:21], null, s34, s10, v[4:5]
	s_delay_alu instid0(VALU_DEP_1) | instskip(SKIP_3) | instid1(VALU_DEP_4)
	v_ashrrev_i32_e32 v21, 31, v20
	v_mul_lo_u32 v22, v20, s27
	v_mad_u64_u32 v[11:12], null, v20, s26, s[24:25]
	v_add_co_u32 v20, vcc_lo, s24, v20
	v_mul_lo_u32 v23, v21, s26
	v_add_co_ci_u32_e32 v21, vcc_lo, s25, v21, vcc_lo
	s_delay_alu instid0(VALU_DEP_2)
	v_add3_u32 v12, v23, v12, v22
	s_and_saveexec_b32 s34, s3
	s_cbranch_execz .LBB77_16
; %bb.15:                               ;   in Loop: Header=BB77_13 Depth=1
	v_add_co_u32 v22, vcc_lo, v20, v5
	v_add_co_ci_u32_e32 v23, vcc_lo, v21, v6, vcc_lo
	v_add_co_u32 v24, vcc_lo, v11, v3
	v_add_co_ci_u32_e32 v25, vcc_lo, v12, v13, vcc_lo
	s_delay_alu instid0(VALU_DEP_2) | instskip(NEXT) | instid1(VALU_DEP_2)
	v_cndmask_b32_e64 v22, v24, v22, s5
	v_cndmask_b32_e64 v23, v25, v23, s5
	global_load_i8 v22, v[22:23], off
	s_waitcnt vmcnt(0)
	v_cvt_f32_i32_e32 v22, v22
	ds_store_b32 v16, v22
.LBB77_16:                              ;   in Loop: Header=BB77_13 Depth=1
	s_or_b32 exec_lo, exec_lo, s34
	s_delay_alu instid0(SALU_CYCLE_1)
	s_and_b32 exec_lo, exec_lo, s4
	s_cbranch_execz .LBB77_18
; %bb.17:                               ;   in Loop: Header=BB77_13 Depth=1
	v_add_co_u32 v20, vcc_lo, v20, v7
	v_add_co_ci_u32_e32 v21, vcc_lo, v21, v8, vcc_lo
	v_add_co_u32 v11, vcc_lo, v11, v0
	v_add_co_ci_u32_e32 v12, vcc_lo, v12, v14, vcc_lo
	s_delay_alu instid0(VALU_DEP_2) | instskip(NEXT) | instid1(VALU_DEP_2)
	v_cndmask_b32_e64 v11, v11, v20, s5
	v_cndmask_b32_e64 v12, v12, v21, s5
	global_load_i8 v11, v[11:12], off
	s_waitcnt vmcnt(0)
	v_cvt_f32_i32_e32 v11, v11
	ds_store_b32 v16, v11 offset:256
.LBB77_18:                              ;   in Loop: Header=BB77_13 Depth=1
	s_or_b32 exec_lo, exec_lo, s33
	s_and_saveexec_b32 s33, s13
	s_cbranch_execz .LBB77_20
; %bb.19:                               ;   in Loop: Header=BB77_13 Depth=1
	v_mad_u64_u32 v[11:12], null, s30, s23, v[9:10]
	s_delay_alu instid0(VALU_DEP_1) | instskip(NEXT) | instid1(VALU_DEP_1)
	v_mad_u64_u32 v[20:21], null, s31, s23, v[12:13]
	v_mov_b32_e32 v12, v20
	global_load_i8 v11, v[11:12], off
	s_waitcnt vmcnt(0)
	v_cvt_f32_i32_e32 v11, v11
	ds_store_b32 v15, v11
.LBB77_20:                              ;   in Loop: Header=BB77_13 Depth=1
	s_or_b32 exec_lo, exec_lo, s33
	s_waitcnt lgkmcnt(0)
	s_barrier
	buffer_gl0_inv
	s_and_saveexec_b32 s33, s2
	s_cbranch_execz .LBB77_12
; %bb.21:                               ;   in Loop: Header=BB77_13 Depth=1
	s_and_saveexec_b32 s34, s3
	s_cbranch_execz .LBB77_29
; %bb.22:                               ;   in Loop: Header=BB77_13 Depth=1
	s_and_not1_b32 vcc_lo, exec_lo, s9
	s_cbranch_vccnz .LBB77_26
; %bb.23:                               ;   in Loop: Header=BB77_13 Depth=1
	v_dual_mov_b32 v11, v18 :: v_dual_mov_b32 v12, v17
	s_mov_b32 s35, 0
	.p2align	6
.LBB77_24:                              ;   Parent Loop BB77_13 Depth=1
                                        ; =>  This Inner Loop Header: Depth=2
	ds_load_b128 v[20:23], v12
	ds_load_b128 v[24:27], v11
	ds_load_b128 v[28:31], v11 offset:16
	ds_load_b128 v[32:35], v12 offset:16
	v_add_nc_u32_e32 v11, 32, v11
	s_add_i32 s35, s35, 8
	v_add_nc_u32_e32 v12, 32, v12
	s_cmp_lg_u32 s15, s35
	s_waitcnt lgkmcnt(2)
	v_fma_f32 v1, v24, v20, v1
	s_delay_alu instid0(VALU_DEP_1) | instskip(NEXT) | instid1(VALU_DEP_1)
	v_fmac_f32_e32 v1, v25, v21
	v_fmac_f32_e32 v1, v26, v22
	s_delay_alu instid0(VALU_DEP_1) | instskip(SKIP_1) | instid1(VALU_DEP_1)
	v_fmac_f32_e32 v1, v27, v23
	s_waitcnt lgkmcnt(0)
	v_fmac_f32_e32 v1, v28, v32
	s_delay_alu instid0(VALU_DEP_1) | instskip(NEXT) | instid1(VALU_DEP_1)
	v_fmac_f32_e32 v1, v29, v33
	v_fmac_f32_e32 v1, v30, v34
	s_delay_alu instid0(VALU_DEP_1)
	v_fmac_f32_e32 v1, v31, v35
	s_cbranch_scc1 .LBB77_24
; %bb.25:                               ;   in Loop: Header=BB77_13 Depth=1
	s_mov_b32 s35, s15
	s_and_not1_b32 vcc_lo, exec_lo, s22
	s_cbranch_vccz .LBB77_27
	s_branch .LBB77_29
.LBB77_26:                              ;   in Loop: Header=BB77_13 Depth=1
	s_mov_b32 s35, 0
	s_and_not1_b32 vcc_lo, exec_lo, s22
	s_cbranch_vccnz .LBB77_29
.LBB77_27:                              ;   in Loop: Header=BB77_13 Depth=1
	s_lshl_b32 s35, s35, 2
	s_delay_alu instid0(SALU_CYCLE_1)
	v_add_nc_u32_e32 v11, s35, v17
	v_add_nc_u32_e32 v12, s35, v18
	s_mov_b32 s35, s8
.LBB77_28:                              ;   Parent Loop BB77_13 Depth=1
                                        ; =>  This Inner Loop Header: Depth=2
	ds_load_b32 v20, v12
	ds_load_b32 v21, v11
	v_add_nc_u32_e32 v11, 4, v11
	v_add_nc_u32_e32 v12, 4, v12
	s_add_i32 s35, s35, -1
	s_delay_alu instid0(SALU_CYCLE_1)
	s_cmp_lg_u32 s35, 0
	s_waitcnt lgkmcnt(0)
	v_fma_f32 v1, v20, v21, v1
	s_cbranch_scc1 .LBB77_28
.LBB77_29:                              ;   in Loop: Header=BB77_13 Depth=1
	s_or_b32 exec_lo, exec_lo, s34
	s_and_saveexec_b32 s34, s4
	s_cbranch_execz .LBB77_11
; %bb.30:                               ;   in Loop: Header=BB77_13 Depth=1
	s_and_not1_b32 vcc_lo, exec_lo, s9
	s_cbranch_vccnz .LBB77_34
; %bb.31:                               ;   in Loop: Header=BB77_13 Depth=1
	v_dual_mov_b32 v11, v18 :: v_dual_mov_b32 v12, v19
	s_mov_b32 s35, 0
	.p2align	6
.LBB77_32:                              ;   Parent Loop BB77_13 Depth=1
                                        ; =>  This Inner Loop Header: Depth=2
	ds_load_b128 v[20:23], v12
	ds_load_b128 v[24:27], v11
	ds_load_b128 v[28:31], v11 offset:16
	ds_load_b128 v[32:35], v12 offset:16
	v_add_nc_u32_e32 v12, 32, v12
	s_add_i32 s35, s35, 8
	v_add_nc_u32_e32 v11, 32, v11
	s_cmp_lg_u32 s15, s35
	s_waitcnt lgkmcnt(2)
	v_fma_f32 v2, v24, v20, v2
	s_delay_alu instid0(VALU_DEP_1) | instskip(NEXT) | instid1(VALU_DEP_1)
	v_fmac_f32_e32 v2, v25, v21
	v_fmac_f32_e32 v2, v26, v22
	s_delay_alu instid0(VALU_DEP_1) | instskip(SKIP_1) | instid1(VALU_DEP_1)
	v_fmac_f32_e32 v2, v27, v23
	s_waitcnt lgkmcnt(0)
	v_fmac_f32_e32 v2, v28, v32
	s_delay_alu instid0(VALU_DEP_1) | instskip(NEXT) | instid1(VALU_DEP_1)
	v_fmac_f32_e32 v2, v29, v33
	v_fmac_f32_e32 v2, v30, v34
	s_delay_alu instid0(VALU_DEP_1)
	v_fmac_f32_e32 v2, v31, v35
	s_cbranch_scc1 .LBB77_32
; %bb.33:                               ;   in Loop: Header=BB77_13 Depth=1
	s_mov_b32 s35, s15
	s_and_not1_b32 vcc_lo, exec_lo, s22
	s_cbranch_vccz .LBB77_35
	s_branch .LBB77_11
.LBB77_34:                              ;   in Loop: Header=BB77_13 Depth=1
	s_mov_b32 s35, 0
	s_and_not1_b32 vcc_lo, exec_lo, s22
	s_cbranch_vccnz .LBB77_11
.LBB77_35:                              ;   in Loop: Header=BB77_13 Depth=1
	s_lshl_b32 s35, s35, 2
	s_delay_alu instid0(SALU_CYCLE_1)
	v_add_nc_u32_e32 v11, s35, v19
	v_add_nc_u32_e32 v12, s35, v18
	s_mov_b32 s35, s8
.LBB77_36:                              ;   Parent Loop BB77_13 Depth=1
                                        ; =>  This Inner Loop Header: Depth=2
	ds_load_b32 v20, v12
	ds_load_b32 v21, v11
	v_add_nc_u32_e32 v11, 4, v11
	v_add_nc_u32_e32 v12, 4, v12
	s_add_i32 s35, s35, -1
	s_delay_alu instid0(SALU_CYCLE_1)
	s_cmp_lg_u32 s35, 0
	s_waitcnt lgkmcnt(0)
	v_fma_f32 v2, v20, v21, v2
	s_cbranch_scc1 .LBB77_36
	s_branch .LBB77_11
.LBB77_37:
	s_delay_alu instid0(VALU_DEP_1) | instskip(NEXT) | instid1(SALU_CYCLE_1)
	s_and_b32 s2, s7, s2
	s_and_saveexec_b32 s3, s2
	s_cbranch_execz .LBB77_57
; %bb.38:
	s_load_b64 s[2:3], s[0:1], 0x70
	v_mad_u64_u32 v[5:6], null, s14, s10, v[4:5]
	v_cmp_neq_f32_e64 s4, s12, 0
	s_cmp_lg_u32 s16, 1
	s_mov_b32 s0, exec_lo
	s_cselect_b32 s1, -1, 0
	s_delay_alu instid0(VALU_DEP_2) | instskip(SKIP_1) | instid1(VALU_DEP_1)
	v_ashrrev_i32_e32 v6, 31, v5
	s_waitcnt lgkmcnt(0)
	v_mul_lo_u32 v4, v6, s2
	v_mul_lo_u32 v9, v5, s3
	v_mad_u64_u32 v[7:8], null, v5, s2, 0
	v_lshlrev_b64 v[5:6], 2, v[5:6]
	s_delay_alu instid0(VALU_DEP_1) | instskip(NEXT) | instid1(VALU_DEP_3)
	v_add_co_u32 v5, vcc_lo, s18, v5
	v_add3_u32 v8, v8, v9, v4
	s_delay_alu instid0(VALU_DEP_3) | instskip(NEXT) | instid1(VALU_DEP_2)
	v_add_co_ci_u32_e32 v6, vcc_lo, s19, v6, vcc_lo
	v_lshlrev_b64 v[7:8], 2, v[7:8]
	s_delay_alu instid0(VALU_DEP_1) | instskip(NEXT) | instid1(VALU_DEP_2)
	v_add_co_u32 v7, vcc_lo, s18, v7
	v_add_co_ci_u32_e32 v8, vcc_lo, s19, v8, vcc_lo
	v_cmpx_gt_i32_e64 s11, v3
	s_cbranch_execz .LBB77_50
; %bb.39:
	v_ashrrev_i32_e32 v4, 31, v3
	s_and_b32 vcc_lo, exec_lo, s4
	s_cbranch_vccz .LBB77_45
; %bb.40:
	s_and_b32 vcc_lo, exec_lo, s1
	s_mov_b32 s5, -1
	s_cbranch_vccz .LBB77_42
; %bb.41:
	v_lshlrev_b64 v[9:10], 2, v[3:4]
	v_mul_f32_e32 v12, s6, v1
	s_mov_b32 s5, 0
	s_delay_alu instid0(VALU_DEP_2) | instskip(NEXT) | instid1(VALU_DEP_3)
	v_add_co_u32 v9, vcc_lo, v7, v9
	v_add_co_ci_u32_e32 v10, vcc_lo, v8, v10, vcc_lo
	global_load_b32 v11, v[9:10], off
	s_waitcnt vmcnt(0)
	v_fmac_f32_e32 v12, s12, v11
	global_store_b32 v[9:10], v12, off
.LBB77_42:
	s_and_not1_b32 vcc_lo, exec_lo, s5
	s_cbranch_vccnz .LBB77_44
; %bb.43:
	v_mul_lo_u32 v11, v4, s2
	v_mul_lo_u32 v12, v3, s3
	v_mad_u64_u32 v[9:10], null, v3, s2, 0
	s_delay_alu instid0(VALU_DEP_1) | instskip(SKIP_1) | instid1(VALU_DEP_2)
	v_add3_u32 v10, v10, v12, v11
	v_mul_f32_e32 v12, s6, v1
	v_lshlrev_b64 v[9:10], 2, v[9:10]
	s_delay_alu instid0(VALU_DEP_1) | instskip(NEXT) | instid1(VALU_DEP_2)
	v_add_co_u32 v9, vcc_lo, v5, v9
	v_add_co_ci_u32_e32 v10, vcc_lo, v6, v10, vcc_lo
	global_load_b32 v11, v[9:10], off
	s_waitcnt vmcnt(0)
	v_fmac_f32_e32 v12, s12, v11
	global_store_b32 v[9:10], v12, off
.LBB77_44:
	s_cbranch_execz .LBB77_46
	s_branch .LBB77_50
.LBB77_45:
.LBB77_46:
	v_mul_f32_e32 v1, s6, v1
	s_and_b32 vcc_lo, exec_lo, s1
	s_mov_b32 s5, -1
	s_cbranch_vccz .LBB77_48
; %bb.47:
	v_lshlrev_b64 v[9:10], 2, v[3:4]
	s_mov_b32 s5, 0
	s_delay_alu instid0(VALU_DEP_1) | instskip(NEXT) | instid1(VALU_DEP_2)
	v_add_co_u32 v9, vcc_lo, v7, v9
	v_add_co_ci_u32_e32 v10, vcc_lo, v8, v10, vcc_lo
	global_store_b32 v[9:10], v1, off
.LBB77_48:
	s_and_not1_b32 vcc_lo, exec_lo, s5
	s_cbranch_vccnz .LBB77_50
; %bb.49:
	v_mul_lo_u32 v4, v4, s2
	v_mul_lo_u32 v11, v3, s3
	v_mad_u64_u32 v[9:10], null, v3, s2, 0
	s_delay_alu instid0(VALU_DEP_1) | instskip(NEXT) | instid1(VALU_DEP_1)
	v_add3_u32 v10, v10, v11, v4
	v_lshlrev_b64 v[3:4], 2, v[9:10]
	s_delay_alu instid0(VALU_DEP_1) | instskip(NEXT) | instid1(VALU_DEP_2)
	v_add_co_u32 v3, vcc_lo, v5, v3
	v_add_co_ci_u32_e32 v4, vcc_lo, v6, v4, vcc_lo
	global_store_b32 v[3:4], v1, off
.LBB77_50:
	s_or_b32 exec_lo, exec_lo, s0
	v_cmp_gt_i32_e32 vcc_lo, s11, v0
	s_and_b32 exec_lo, exec_lo, vcc_lo
	s_cbranch_execz .LBB77_57
; %bb.51:
	v_cndmask_b32_e64 v3, 0, 1, s1
	v_ashrrev_i32_e32 v1, 31, v0
	s_and_not1_b32 vcc_lo, exec_lo, s4
	s_delay_alu instid0(VALU_DEP_2)
	v_cmp_ne_u32_e64 s0, 1, v3
	s_cbranch_vccnz .LBB77_58
; %bb.52:
	s_delay_alu instid0(VALU_DEP_1)
	s_and_b32 vcc_lo, exec_lo, s0
	s_mov_b32 s0, -1
	s_cbranch_vccnz .LBB77_54
; %bb.53:
	v_lshlrev_b64 v[3:4], 2, v[0:1]
	v_mul_f32_e32 v10, s6, v2
	s_mov_b32 s0, 0
	s_delay_alu instid0(VALU_DEP_2) | instskip(NEXT) | instid1(VALU_DEP_3)
	v_add_co_u32 v3, vcc_lo, v7, v3
	v_add_co_ci_u32_e32 v4, vcc_lo, v8, v4, vcc_lo
	global_load_b32 v9, v[3:4], off
	s_waitcnt vmcnt(0)
	v_fmac_f32_e32 v10, s12, v9
	global_store_b32 v[3:4], v10, off
.LBB77_54:
	s_and_not1_b32 vcc_lo, exec_lo, s0
	s_cbranch_vccnz .LBB77_56
; %bb.55:
	v_mul_lo_u32 v9, v1, s2
	v_mul_lo_u32 v10, v0, s3
	v_mad_u64_u32 v[3:4], null, v0, s2, 0
	s_delay_alu instid0(VALU_DEP_1) | instskip(SKIP_1) | instid1(VALU_DEP_2)
	v_add3_u32 v4, v4, v10, v9
	v_mul_f32_e32 v10, s6, v2
	v_lshlrev_b64 v[3:4], 2, v[3:4]
	s_delay_alu instid0(VALU_DEP_1) | instskip(NEXT) | instid1(VALU_DEP_2)
	v_add_co_u32 v3, vcc_lo, v5, v3
	v_add_co_ci_u32_e32 v4, vcc_lo, v6, v4, vcc_lo
	global_load_b32 v9, v[3:4], off
	s_waitcnt vmcnt(0)
	v_fmac_f32_e32 v10, s12, v9
	global_store_b32 v[3:4], v10, off
.LBB77_56:
	s_cbranch_execz .LBB77_59
.LBB77_57:
	s_nop 0
	s_sendmsg sendmsg(MSG_DEALLOC_VGPRS)
	s_endpgm
.LBB77_58:
.LBB77_59:
	v_mul_f32_e32 v2, s6, v2
	s_and_not1_b32 vcc_lo, exec_lo, s1
	s_mov_b32 s0, -1
	s_cbranch_vccnz .LBB77_61
; %bb.60:
	v_lshlrev_b64 v[3:4], 2, v[0:1]
	s_mov_b32 s0, 0
	s_delay_alu instid0(VALU_DEP_1) | instskip(NEXT) | instid1(VALU_DEP_2)
	v_add_co_u32 v3, vcc_lo, v7, v3
	v_add_co_ci_u32_e32 v4, vcc_lo, v8, v4, vcc_lo
	global_store_b32 v[3:4], v2, off
.LBB77_61:
	s_and_not1_b32 vcc_lo, exec_lo, s0
	s_cbranch_vccnz .LBB77_57
; %bb.62:
	v_mul_lo_u32 v1, v1, s2
	v_mul_lo_u32 v7, v0, s3
	v_mad_u64_u32 v[3:4], null, v0, s2, 0
	s_delay_alu instid0(VALU_DEP_1) | instskip(NEXT) | instid1(VALU_DEP_1)
	v_add3_u32 v4, v4, v7, v1
	v_lshlrev_b64 v[0:1], 2, v[3:4]
	s_delay_alu instid0(VALU_DEP_1) | instskip(NEXT) | instid1(VALU_DEP_2)
	v_add_co_u32 v0, vcc_lo, v5, v0
	v_add_co_ci_u32_e32 v1, vcc_lo, v6, v1, vcc_lo
	global_store_b32 v[0:1], v2, off
	s_nop 0
	s_sendmsg sendmsg(MSG_DEALLOC_VGPRS)
	s_endpgm
	.section	.rodata,"a",@progbits
	.p2align	6, 0x0
	.amdhsa_kernel _ZN9rocsparseL31bsrmm_large_blockdim_kernel_extILj4ELj16ELj2EliaaffEEvb20rocsparse_direction_T3_S2_llNS_24const_host_device_scalarIT7_EEPKT2_PKS2_PKT4_S2_PKT5_llS5_PT6_ll16rocsparse_order_21rocsparse_index_base_b
		.amdhsa_group_segment_fixed_size 576
		.amdhsa_private_segment_fixed_size 0
		.amdhsa_kernarg_size 140
		.amdhsa_user_sgpr_count 14
		.amdhsa_user_sgpr_dispatch_ptr 0
		.amdhsa_user_sgpr_queue_ptr 0
		.amdhsa_user_sgpr_kernarg_segment_ptr 1
		.amdhsa_user_sgpr_dispatch_id 0
		.amdhsa_user_sgpr_private_segment_size 0
		.amdhsa_wavefront_size32 1
		.amdhsa_uses_dynamic_stack 0
		.amdhsa_enable_private_segment 0
		.amdhsa_system_sgpr_workgroup_id_x 1
		.amdhsa_system_sgpr_workgroup_id_y 1
		.amdhsa_system_sgpr_workgroup_id_z 0
		.amdhsa_system_sgpr_workgroup_info 0
		.amdhsa_system_vgpr_workitem_id 1
		.amdhsa_next_free_vgpr 36
		.amdhsa_next_free_sgpr 36
		.amdhsa_reserve_vcc 1
		.amdhsa_float_round_mode_32 0
		.amdhsa_float_round_mode_16_64 0
		.amdhsa_float_denorm_mode_32 3
		.amdhsa_float_denorm_mode_16_64 3
		.amdhsa_dx10_clamp 1
		.amdhsa_ieee_mode 1
		.amdhsa_fp16_overflow 0
		.amdhsa_workgroup_processor_mode 1
		.amdhsa_memory_ordered 1
		.amdhsa_forward_progress 0
		.amdhsa_shared_vgpr_count 0
		.amdhsa_exception_fp_ieee_invalid_op 0
		.amdhsa_exception_fp_denorm_src 0
		.amdhsa_exception_fp_ieee_div_zero 0
		.amdhsa_exception_fp_ieee_overflow 0
		.amdhsa_exception_fp_ieee_underflow 0
		.amdhsa_exception_fp_ieee_inexact 0
		.amdhsa_exception_int_div_zero 0
	.end_amdhsa_kernel
	.section	.text._ZN9rocsparseL31bsrmm_large_blockdim_kernel_extILj4ELj16ELj2EliaaffEEvb20rocsparse_direction_T3_S2_llNS_24const_host_device_scalarIT7_EEPKT2_PKS2_PKT4_S2_PKT5_llS5_PT6_ll16rocsparse_order_21rocsparse_index_base_b,"axG",@progbits,_ZN9rocsparseL31bsrmm_large_blockdim_kernel_extILj4ELj16ELj2EliaaffEEvb20rocsparse_direction_T3_S2_llNS_24const_host_device_scalarIT7_EEPKT2_PKS2_PKT4_S2_PKT5_llS5_PT6_ll16rocsparse_order_21rocsparse_index_base_b,comdat
.Lfunc_end77:
	.size	_ZN9rocsparseL31bsrmm_large_blockdim_kernel_extILj4ELj16ELj2EliaaffEEvb20rocsparse_direction_T3_S2_llNS_24const_host_device_scalarIT7_EEPKT2_PKS2_PKT4_S2_PKT5_llS5_PT6_ll16rocsparse_order_21rocsparse_index_base_b, .Lfunc_end77-_ZN9rocsparseL31bsrmm_large_blockdim_kernel_extILj4ELj16ELj2EliaaffEEvb20rocsparse_direction_T3_S2_llNS_24const_host_device_scalarIT7_EEPKT2_PKS2_PKT4_S2_PKT5_llS5_PT6_ll16rocsparse_order_21rocsparse_index_base_b
                                        ; -- End function
	.section	.AMDGPU.csdata,"",@progbits
; Kernel info:
; codeLenInByte = 2420
; NumSgprs: 38
; NumVgprs: 36
; ScratchSize: 0
; MemoryBound: 0
; FloatMode: 240
; IeeeMode: 1
; LDSByteSize: 576 bytes/workgroup (compile time only)
; SGPRBlocks: 4
; VGPRBlocks: 4
; NumSGPRsForWavesPerEU: 38
; NumVGPRsForWavesPerEU: 36
; Occupancy: 16
; WaveLimiterHint : 1
; COMPUTE_PGM_RSRC2:SCRATCH_EN: 0
; COMPUTE_PGM_RSRC2:USER_SGPR: 14
; COMPUTE_PGM_RSRC2:TRAP_HANDLER: 0
; COMPUTE_PGM_RSRC2:TGID_X_EN: 1
; COMPUTE_PGM_RSRC2:TGID_Y_EN: 1
; COMPUTE_PGM_RSRC2:TGID_Z_EN: 0
; COMPUTE_PGM_RSRC2:TIDIG_COMP_CNT: 1
	.section	.text._ZN9rocsparseL31bsrmm_large_blockdim_kernel_extILj16ELj16ELj2EliaaffEEvb20rocsparse_direction_T3_S2_llNS_24const_host_device_scalarIT7_EEPKT2_PKS2_PKT4_S2_PKT5_llS5_PT6_ll16rocsparse_order_21rocsparse_index_base_b,"axG",@progbits,_ZN9rocsparseL31bsrmm_large_blockdim_kernel_extILj16ELj16ELj2EliaaffEEvb20rocsparse_direction_T3_S2_llNS_24const_host_device_scalarIT7_EEPKT2_PKS2_PKT4_S2_PKT5_llS5_PT6_ll16rocsparse_order_21rocsparse_index_base_b,comdat
	.globl	_ZN9rocsparseL31bsrmm_large_blockdim_kernel_extILj16ELj16ELj2EliaaffEEvb20rocsparse_direction_T3_S2_llNS_24const_host_device_scalarIT7_EEPKT2_PKS2_PKT4_S2_PKT5_llS5_PT6_ll16rocsparse_order_21rocsparse_index_base_b ; -- Begin function _ZN9rocsparseL31bsrmm_large_blockdim_kernel_extILj16ELj16ELj2EliaaffEEvb20rocsparse_direction_T3_S2_llNS_24const_host_device_scalarIT7_EEPKT2_PKS2_PKT4_S2_PKT5_llS5_PT6_ll16rocsparse_order_21rocsparse_index_base_b
	.p2align	8
	.type	_ZN9rocsparseL31bsrmm_large_blockdim_kernel_extILj16ELj16ELj2EliaaffEEvb20rocsparse_direction_T3_S2_llNS_24const_host_device_scalarIT7_EEPKT2_PKS2_PKT4_S2_PKT5_llS5_PT6_ll16rocsparse_order_21rocsparse_index_base_b,@function
_ZN9rocsparseL31bsrmm_large_blockdim_kernel_extILj16ELj16ELj2EliaaffEEvb20rocsparse_direction_T3_S2_llNS_24const_host_device_scalarIT7_EEPKT2_PKS2_PKT4_S2_PKT5_llS5_PT6_ll16rocsparse_order_21rocsparse_index_base_b: ; @_ZN9rocsparseL31bsrmm_large_blockdim_kernel_extILj16ELj16ELj2EliaaffEEvb20rocsparse_direction_T3_S2_llNS_24const_host_device_scalarIT7_EEPKT2_PKS2_PKT4_S2_PKT5_llS5_PT6_ll16rocsparse_order_21rocsparse_index_base_b
; %bb.0:
	s_clause 0x2
	s_load_b128 s[16:19], s[0:1], 0x80
	s_load_b64 s[6:7], s[0:1], 0x20
	s_load_b64 s[12:13], s[0:1], 0x60
	s_mov_b32 s2, s15
	s_waitcnt lgkmcnt(0)
	s_bitcmp1_b32 s18, 0
	s_cselect_b32 s3, -1, 0
	s_delay_alu instid0(SALU_CYCLE_1)
	s_and_b32 vcc_lo, exec_lo, s3
	s_xor_b32 s3, s3, -1
	s_cbranch_vccnz .LBB78_2
; %bb.1:
	s_load_b32 s6, s[6:7], 0x0
.LBB78_2:
	s_and_not1_b32 vcc_lo, exec_lo, s3
	s_cbranch_vccnz .LBB78_4
; %bb.3:
	s_load_b32 s12, s[12:13], 0x0
.LBB78_4:
	s_waitcnt lgkmcnt(0)
	v_cmp_eq_f32_e64 s3, s6, 0
	v_cmp_eq_f32_e64 s4, s12, 1.0
	s_delay_alu instid0(VALU_DEP_1) | instskip(NEXT) | instid1(SALU_CYCLE_1)
	s_and_b32 s3, s3, s4
	s_and_b32 vcc_lo, exec_lo, s3
	s_cbranch_vccnz .LBB78_57
; %bb.5:
	s_clause 0x1
	s_load_b128 s[8:11], s[0:1], 0x0
	s_load_b64 s[4:5], s[0:1], 0x28
	s_mov_b64 s[28:29], 0
	s_mov_b64 s[30:31], 0
	s_waitcnt lgkmcnt(0)
	s_cmp_lt_i32 s14, s10
	s_cselect_b32 s7, -1, 0
	s_cmp_ge_i32 s14, s10
	s_cbranch_scc1 .LBB78_7
; %bb.6:
	s_ashr_i32 s15, s14, 31
	s_delay_alu instid0(SALU_CYCLE_1) | instskip(NEXT) | instid1(SALU_CYCLE_1)
	s_lshl_b64 s[18:19], s[14:15], 3
	s_add_u32 s18, s4, s18
	s_addc_u32 s19, s5, s19
	s_load_b64 s[18:19], s[18:19], 0x0
	s_waitcnt lgkmcnt(0)
	s_sub_u32 s30, s18, s17
	s_subb_u32 s31, s19, 0
.LBB78_7:
	s_and_not1_b32 vcc_lo, exec_lo, s7
	s_cbranch_vccnz .LBB78_9
; %bb.8:
	s_ashr_i32 s15, s14, 31
	s_delay_alu instid0(SALU_CYCLE_1) | instskip(NEXT) | instid1(SALU_CYCLE_1)
	s_lshl_b64 s[18:19], s[14:15], 3
	s_add_u32 s4, s4, s18
	s_addc_u32 s5, s5, s19
	s_load_b64 s[4:5], s[4:5], 0x8
	s_waitcnt lgkmcnt(0)
	s_sub_u32 s28, s4, s17
	s_subb_u32 s29, s5, 0
.LBB78_9:
	s_clause 0x1
	s_load_b32 s10, s[0:1], 0x40
	s_load_b64 s[18:19], s[0:1], 0x68
	v_bfe_u32 v11, v0, 10, 10
	s_mov_b32 s34, 0
	s_delay_alu instid0(SALU_CYCLE_1) | instskip(SKIP_1) | instid1(VALU_DEP_2)
	s_mov_b32 s35, s34
	v_dual_mov_b32 v1, s34 :: v_dual_and_b32 v4, 0x3ff, v0
	v_lshl_add_u32 v3, s2, 5, v11
	v_cmp_ge_i64_e64 s2, s[30:31], s[28:29]
	v_mov_b32_e32 v2, s35
	s_delay_alu instid0(VALU_DEP_3) | instskip(SKIP_1) | instid1(VALU_DEP_4)
	v_add_nc_u32_e32 v0, 16, v3
	v_cmp_gt_i32_e64 s3, s11, v3
	s_and_b32 vcc_lo, exec_lo, s2
	s_delay_alu instid0(VALU_DEP_2)
	v_cmp_gt_i32_e64 s4, s11, v0
	s_waitcnt lgkmcnt(0)
	v_cmp_gt_i32_e64 s2, s10, v4
	s_cbranch_vccnz .LBB78_37
; %bb.10:
	s_clause 0x1
	s_load_b128 s[20:23], s[0:1], 0x30
	s_load_b128 s[24:27], s[0:1], 0x48
	v_mul_lo_u32 v2, v11, s10
	v_cmp_gt_i32_e32 vcc_lo, s10, v11
	v_mul_lo_u32 v5, v4, s10
	v_ashrrev_i32_e32 v13, 31, v3
	v_lshl_add_u32 v9, v4, 4, v11
	v_ashrrev_i32_e32 v14, 31, v0
	s_and_b32 s13, s2, vcc_lo
	s_bitcmp1_b32 s8, 0
	s_delay_alu instid0(VALU_DEP_2) | instskip(SKIP_4) | instid1(VALU_DEP_1)
	v_lshl_add_u32 v15, v9, 2, 0x800
	s_cselect_b32 s5, -1, 0
	s_cmp_eq_u32 s9, 0
	s_waitcnt lgkmcnt(0)
	v_add_co_u32 v2, s8, s22, v2
	v_add_co_ci_u32_e64 v6, null, s23, 0, s8
	v_add_co_u32 v10, s8, s22, v5
	s_delay_alu instid0(VALU_DEP_3) | instskip(SKIP_1) | instid1(VALU_DEP_4)
	v_add_co_u32 v2, vcc_lo, v2, v4
	v_mul_lo_u32 v17, v3, s27
	v_add_co_ci_u32_e32 v18, vcc_lo, 0, v6, vcc_lo
	v_mul_lo_u32 v19, v13, s26
	v_mad_u64_u32 v[5:6], null, v3, s26, 0
	v_add_co_ci_u32_e64 v12, null, s23, 0, s8
	v_add_co_u32 v9, vcc_lo, v10, v11
	v_mul_lo_u32 v20, v0, s27
	v_mul_lo_u32 v21, v14, s26
	v_mad_u64_u32 v[7:8], null, v0, s26, 0
	v_add_co_ci_u32_e32 v10, vcc_lo, 0, v12, vcc_lo
	s_cselect_b32 vcc_lo, -1, 0
	v_lshlrev_b32_e32 v1, 4, v11
	v_add3_u32 v6, v6, v17, v19
	s_delay_alu instid0(VALU_DEP_3)
	v_dual_cndmask_b32 v10, v18, v10 :: v_dual_lshlrev_b32 v17, 6, v11
	s_add_i32 s9, s10, -1
	s_and_b32 s8, s10, 7
	s_cmp_gt_u32 s9, 6
	v_add_lshl_u32 v16, v1, v4, 2
	v_cndmask_b32_e32 v9, v2, v9, vcc_lo
	v_dual_mov_b32 v1, s34 :: v_dual_mov_b32 v2, s35
	v_add3_u32 v8, v8, v20, v21
	s_cselect_b32 s9, -1, 0
	s_and_b32 s15, s10, -8
	v_lshl_add_u32 v18, v4, 6, 0x800
	v_add_nc_u32_e32 v19, 0x400, v17
	s_cmp_lg_u32 s8, 0
	s_mul_i32 s23, s10, s10
	s_cselect_b32 s22, -1, 0
	s_branch .LBB78_13
.LBB78_11:                              ;   in Loop: Header=BB78_13 Depth=1
	s_or_b32 exec_lo, exec_lo, s34
.LBB78_12:                              ;   in Loop: Header=BB78_13 Depth=1
	s_delay_alu instid0(SALU_CYCLE_1) | instskip(SKIP_2) | instid1(SALU_CYCLE_1)
	s_or_b32 exec_lo, exec_lo, s33
	s_add_u32 s30, s30, 1
	s_addc_u32 s31, s31, 0
	v_cmp_ge_i64_e64 s33, s[30:31], s[28:29]
	s_barrier
	buffer_gl0_inv
	s_and_b32 vcc_lo, exec_lo, s33
	s_cbranch_vccnz .LBB78_37
.LBB78_13:                              ; =>This Loop Header: Depth=1
                                        ;     Child Loop BB78_24 Depth 2
                                        ;     Child Loop BB78_28 Depth 2
	;; [unrolled: 1-line block ×4, first 2 shown]
	s_and_saveexec_b32 s33, s2
	s_cbranch_execz .LBB78_18
; %bb.14:                               ;   in Loop: Header=BB78_13 Depth=1
	s_lshl_b64 s[34:35], s[30:31], 2
	s_delay_alu instid0(SALU_CYCLE_1) | instskip(SKIP_4) | instid1(SALU_CYCLE_1)
	s_add_u32 s34, s20, s34
	s_addc_u32 s35, s21, s35
	s_load_b32 s34, s[34:35], 0x0
	s_waitcnt lgkmcnt(0)
	s_sub_i32 s34, s34, s17
	v_mad_u64_u32 v[20:21], null, s34, s10, v[4:5]
	s_delay_alu instid0(VALU_DEP_1) | instskip(SKIP_3) | instid1(VALU_DEP_4)
	v_ashrrev_i32_e32 v21, 31, v20
	v_mul_lo_u32 v22, v20, s27
	v_mad_u64_u32 v[11:12], null, v20, s26, s[24:25]
	v_add_co_u32 v20, vcc_lo, s24, v20
	v_mul_lo_u32 v23, v21, s26
	v_add_co_ci_u32_e32 v21, vcc_lo, s25, v21, vcc_lo
	s_delay_alu instid0(VALU_DEP_2)
	v_add3_u32 v12, v23, v12, v22
	s_and_saveexec_b32 s34, s3
	s_cbranch_execz .LBB78_16
; %bb.15:                               ;   in Loop: Header=BB78_13 Depth=1
	v_add_co_u32 v22, vcc_lo, v20, v5
	v_add_co_ci_u32_e32 v23, vcc_lo, v21, v6, vcc_lo
	v_add_co_u32 v24, vcc_lo, v11, v3
	v_add_co_ci_u32_e32 v25, vcc_lo, v12, v13, vcc_lo
	s_delay_alu instid0(VALU_DEP_2) | instskip(NEXT) | instid1(VALU_DEP_2)
	v_cndmask_b32_e64 v22, v24, v22, s5
	v_cndmask_b32_e64 v23, v25, v23, s5
	global_load_i8 v22, v[22:23], off
	s_waitcnt vmcnt(0)
	v_cvt_f32_i32_e32 v22, v22
	ds_store_b32 v16, v22
.LBB78_16:                              ;   in Loop: Header=BB78_13 Depth=1
	s_or_b32 exec_lo, exec_lo, s34
	s_delay_alu instid0(SALU_CYCLE_1)
	s_and_b32 exec_lo, exec_lo, s4
	s_cbranch_execz .LBB78_18
; %bb.17:                               ;   in Loop: Header=BB78_13 Depth=1
	v_add_co_u32 v20, vcc_lo, v20, v7
	v_add_co_ci_u32_e32 v21, vcc_lo, v21, v8, vcc_lo
	v_add_co_u32 v11, vcc_lo, v11, v0
	v_add_co_ci_u32_e32 v12, vcc_lo, v12, v14, vcc_lo
	s_delay_alu instid0(VALU_DEP_2) | instskip(NEXT) | instid1(VALU_DEP_2)
	v_cndmask_b32_e64 v11, v11, v20, s5
	v_cndmask_b32_e64 v12, v12, v21, s5
	global_load_i8 v11, v[11:12], off
	s_waitcnt vmcnt(0)
	v_cvt_f32_i32_e32 v11, v11
	ds_store_b32 v16, v11 offset:1024
.LBB78_18:                              ;   in Loop: Header=BB78_13 Depth=1
	s_or_b32 exec_lo, exec_lo, s33
	s_and_saveexec_b32 s33, s13
	s_cbranch_execz .LBB78_20
; %bb.19:                               ;   in Loop: Header=BB78_13 Depth=1
	v_mad_u64_u32 v[11:12], null, s30, s23, v[9:10]
	s_delay_alu instid0(VALU_DEP_1) | instskip(NEXT) | instid1(VALU_DEP_1)
	v_mad_u64_u32 v[20:21], null, s31, s23, v[12:13]
	v_mov_b32_e32 v12, v20
	global_load_i8 v11, v[11:12], off
	s_waitcnt vmcnt(0)
	v_cvt_f32_i32_e32 v11, v11
	ds_store_b32 v15, v11
.LBB78_20:                              ;   in Loop: Header=BB78_13 Depth=1
	s_or_b32 exec_lo, exec_lo, s33
	s_waitcnt lgkmcnt(0)
	s_barrier
	buffer_gl0_inv
	s_and_saveexec_b32 s33, s2
	s_cbranch_execz .LBB78_12
; %bb.21:                               ;   in Loop: Header=BB78_13 Depth=1
	s_and_saveexec_b32 s34, s3
	s_cbranch_execz .LBB78_29
; %bb.22:                               ;   in Loop: Header=BB78_13 Depth=1
	s_and_not1_b32 vcc_lo, exec_lo, s9
	s_cbranch_vccnz .LBB78_26
; %bb.23:                               ;   in Loop: Header=BB78_13 Depth=1
	v_dual_mov_b32 v11, v18 :: v_dual_mov_b32 v12, v17
	s_mov_b32 s35, 0
	.p2align	6
.LBB78_24:                              ;   Parent Loop BB78_13 Depth=1
                                        ; =>  This Inner Loop Header: Depth=2
	ds_load_b128 v[20:23], v12
	ds_load_b128 v[24:27], v11
	ds_load_b128 v[28:31], v11 offset:16
	ds_load_b128 v[32:35], v12 offset:16
	v_add_nc_u32_e32 v11, 32, v11
	s_add_i32 s35, s35, 8
	v_add_nc_u32_e32 v12, 32, v12
	s_cmp_lg_u32 s15, s35
	s_waitcnt lgkmcnt(2)
	v_fma_f32 v1, v24, v20, v1
	s_delay_alu instid0(VALU_DEP_1) | instskip(NEXT) | instid1(VALU_DEP_1)
	v_fmac_f32_e32 v1, v25, v21
	v_fmac_f32_e32 v1, v26, v22
	s_delay_alu instid0(VALU_DEP_1) | instskip(SKIP_1) | instid1(VALU_DEP_1)
	v_fmac_f32_e32 v1, v27, v23
	s_waitcnt lgkmcnt(0)
	v_fmac_f32_e32 v1, v28, v32
	s_delay_alu instid0(VALU_DEP_1) | instskip(NEXT) | instid1(VALU_DEP_1)
	v_fmac_f32_e32 v1, v29, v33
	v_fmac_f32_e32 v1, v30, v34
	s_delay_alu instid0(VALU_DEP_1)
	v_fmac_f32_e32 v1, v31, v35
	s_cbranch_scc1 .LBB78_24
; %bb.25:                               ;   in Loop: Header=BB78_13 Depth=1
	s_mov_b32 s35, s15
	s_and_not1_b32 vcc_lo, exec_lo, s22
	s_cbranch_vccz .LBB78_27
	s_branch .LBB78_29
.LBB78_26:                              ;   in Loop: Header=BB78_13 Depth=1
	s_mov_b32 s35, 0
	s_and_not1_b32 vcc_lo, exec_lo, s22
	s_cbranch_vccnz .LBB78_29
.LBB78_27:                              ;   in Loop: Header=BB78_13 Depth=1
	s_lshl_b32 s35, s35, 2
	s_delay_alu instid0(SALU_CYCLE_1)
	v_add_nc_u32_e32 v11, s35, v17
	v_add_nc_u32_e32 v12, s35, v18
	s_mov_b32 s35, s8
.LBB78_28:                              ;   Parent Loop BB78_13 Depth=1
                                        ; =>  This Inner Loop Header: Depth=2
	ds_load_b32 v20, v12
	ds_load_b32 v21, v11
	v_add_nc_u32_e32 v11, 4, v11
	v_add_nc_u32_e32 v12, 4, v12
	s_add_i32 s35, s35, -1
	s_delay_alu instid0(SALU_CYCLE_1)
	s_cmp_lg_u32 s35, 0
	s_waitcnt lgkmcnt(0)
	v_fma_f32 v1, v20, v21, v1
	s_cbranch_scc1 .LBB78_28
.LBB78_29:                              ;   in Loop: Header=BB78_13 Depth=1
	s_or_b32 exec_lo, exec_lo, s34
	s_and_saveexec_b32 s34, s4
	s_cbranch_execz .LBB78_11
; %bb.30:                               ;   in Loop: Header=BB78_13 Depth=1
	s_and_not1_b32 vcc_lo, exec_lo, s9
	s_cbranch_vccnz .LBB78_34
; %bb.31:                               ;   in Loop: Header=BB78_13 Depth=1
	v_dual_mov_b32 v11, v18 :: v_dual_mov_b32 v12, v19
	s_mov_b32 s35, 0
	.p2align	6
.LBB78_32:                              ;   Parent Loop BB78_13 Depth=1
                                        ; =>  This Inner Loop Header: Depth=2
	ds_load_b128 v[20:23], v12
	ds_load_b128 v[24:27], v11
	ds_load_b128 v[28:31], v11 offset:16
	ds_load_b128 v[32:35], v12 offset:16
	v_add_nc_u32_e32 v12, 32, v12
	s_add_i32 s35, s35, 8
	v_add_nc_u32_e32 v11, 32, v11
	s_cmp_lg_u32 s15, s35
	s_waitcnt lgkmcnt(2)
	v_fma_f32 v2, v24, v20, v2
	s_delay_alu instid0(VALU_DEP_1) | instskip(NEXT) | instid1(VALU_DEP_1)
	v_fmac_f32_e32 v2, v25, v21
	v_fmac_f32_e32 v2, v26, v22
	s_delay_alu instid0(VALU_DEP_1) | instskip(SKIP_1) | instid1(VALU_DEP_1)
	v_fmac_f32_e32 v2, v27, v23
	s_waitcnt lgkmcnt(0)
	v_fmac_f32_e32 v2, v28, v32
	s_delay_alu instid0(VALU_DEP_1) | instskip(NEXT) | instid1(VALU_DEP_1)
	v_fmac_f32_e32 v2, v29, v33
	v_fmac_f32_e32 v2, v30, v34
	s_delay_alu instid0(VALU_DEP_1)
	v_fmac_f32_e32 v2, v31, v35
	s_cbranch_scc1 .LBB78_32
; %bb.33:                               ;   in Loop: Header=BB78_13 Depth=1
	s_mov_b32 s35, s15
	s_and_not1_b32 vcc_lo, exec_lo, s22
	s_cbranch_vccz .LBB78_35
	s_branch .LBB78_11
.LBB78_34:                              ;   in Loop: Header=BB78_13 Depth=1
	s_mov_b32 s35, 0
	s_and_not1_b32 vcc_lo, exec_lo, s22
	s_cbranch_vccnz .LBB78_11
.LBB78_35:                              ;   in Loop: Header=BB78_13 Depth=1
	s_lshl_b32 s35, s35, 2
	s_delay_alu instid0(SALU_CYCLE_1)
	v_add_nc_u32_e32 v11, s35, v19
	v_add_nc_u32_e32 v12, s35, v18
	s_mov_b32 s35, s8
.LBB78_36:                              ;   Parent Loop BB78_13 Depth=1
                                        ; =>  This Inner Loop Header: Depth=2
	ds_load_b32 v20, v12
	ds_load_b32 v21, v11
	v_add_nc_u32_e32 v11, 4, v11
	v_add_nc_u32_e32 v12, 4, v12
	s_add_i32 s35, s35, -1
	s_delay_alu instid0(SALU_CYCLE_1)
	s_cmp_lg_u32 s35, 0
	s_waitcnt lgkmcnt(0)
	v_fma_f32 v2, v20, v21, v2
	s_cbranch_scc1 .LBB78_36
	s_branch .LBB78_11
.LBB78_37:
	s_delay_alu instid0(VALU_DEP_1) | instskip(NEXT) | instid1(SALU_CYCLE_1)
	s_and_b32 s2, s7, s2
	s_and_saveexec_b32 s3, s2
	s_cbranch_execz .LBB78_57
; %bb.38:
	s_load_b64 s[2:3], s[0:1], 0x70
	v_mad_u64_u32 v[5:6], null, s14, s10, v[4:5]
	v_cmp_neq_f32_e64 s4, s12, 0
	s_cmp_lg_u32 s16, 1
	s_mov_b32 s0, exec_lo
	s_cselect_b32 s1, -1, 0
	s_delay_alu instid0(VALU_DEP_2) | instskip(SKIP_1) | instid1(VALU_DEP_1)
	v_ashrrev_i32_e32 v6, 31, v5
	s_waitcnt lgkmcnt(0)
	v_mul_lo_u32 v4, v6, s2
	v_mul_lo_u32 v9, v5, s3
	v_mad_u64_u32 v[7:8], null, v5, s2, 0
	v_lshlrev_b64 v[5:6], 2, v[5:6]
	s_delay_alu instid0(VALU_DEP_1) | instskip(NEXT) | instid1(VALU_DEP_3)
	v_add_co_u32 v5, vcc_lo, s18, v5
	v_add3_u32 v8, v8, v9, v4
	s_delay_alu instid0(VALU_DEP_3) | instskip(NEXT) | instid1(VALU_DEP_2)
	v_add_co_ci_u32_e32 v6, vcc_lo, s19, v6, vcc_lo
	v_lshlrev_b64 v[7:8], 2, v[7:8]
	s_delay_alu instid0(VALU_DEP_1) | instskip(NEXT) | instid1(VALU_DEP_2)
	v_add_co_u32 v7, vcc_lo, s18, v7
	v_add_co_ci_u32_e32 v8, vcc_lo, s19, v8, vcc_lo
	v_cmpx_gt_i32_e64 s11, v3
	s_cbranch_execz .LBB78_50
; %bb.39:
	v_ashrrev_i32_e32 v4, 31, v3
	s_and_b32 vcc_lo, exec_lo, s4
	s_cbranch_vccz .LBB78_45
; %bb.40:
	s_and_b32 vcc_lo, exec_lo, s1
	s_mov_b32 s5, -1
	s_cbranch_vccz .LBB78_42
; %bb.41:
	v_lshlrev_b64 v[9:10], 2, v[3:4]
	v_mul_f32_e32 v12, s6, v1
	s_mov_b32 s5, 0
	s_delay_alu instid0(VALU_DEP_2) | instskip(NEXT) | instid1(VALU_DEP_3)
	v_add_co_u32 v9, vcc_lo, v7, v9
	v_add_co_ci_u32_e32 v10, vcc_lo, v8, v10, vcc_lo
	global_load_b32 v11, v[9:10], off
	s_waitcnt vmcnt(0)
	v_fmac_f32_e32 v12, s12, v11
	global_store_b32 v[9:10], v12, off
.LBB78_42:
	s_and_not1_b32 vcc_lo, exec_lo, s5
	s_cbranch_vccnz .LBB78_44
; %bb.43:
	v_mul_lo_u32 v11, v4, s2
	v_mul_lo_u32 v12, v3, s3
	v_mad_u64_u32 v[9:10], null, v3, s2, 0
	s_delay_alu instid0(VALU_DEP_1) | instskip(SKIP_1) | instid1(VALU_DEP_2)
	v_add3_u32 v10, v10, v12, v11
	v_mul_f32_e32 v12, s6, v1
	v_lshlrev_b64 v[9:10], 2, v[9:10]
	s_delay_alu instid0(VALU_DEP_1) | instskip(NEXT) | instid1(VALU_DEP_2)
	v_add_co_u32 v9, vcc_lo, v5, v9
	v_add_co_ci_u32_e32 v10, vcc_lo, v6, v10, vcc_lo
	global_load_b32 v11, v[9:10], off
	s_waitcnt vmcnt(0)
	v_fmac_f32_e32 v12, s12, v11
	global_store_b32 v[9:10], v12, off
.LBB78_44:
	s_cbranch_execz .LBB78_46
	s_branch .LBB78_50
.LBB78_45:
.LBB78_46:
	v_mul_f32_e32 v1, s6, v1
	s_and_b32 vcc_lo, exec_lo, s1
	s_mov_b32 s5, -1
	s_cbranch_vccz .LBB78_48
; %bb.47:
	v_lshlrev_b64 v[9:10], 2, v[3:4]
	s_mov_b32 s5, 0
	s_delay_alu instid0(VALU_DEP_1) | instskip(NEXT) | instid1(VALU_DEP_2)
	v_add_co_u32 v9, vcc_lo, v7, v9
	v_add_co_ci_u32_e32 v10, vcc_lo, v8, v10, vcc_lo
	global_store_b32 v[9:10], v1, off
.LBB78_48:
	s_and_not1_b32 vcc_lo, exec_lo, s5
	s_cbranch_vccnz .LBB78_50
; %bb.49:
	v_mul_lo_u32 v4, v4, s2
	v_mul_lo_u32 v11, v3, s3
	v_mad_u64_u32 v[9:10], null, v3, s2, 0
	s_delay_alu instid0(VALU_DEP_1) | instskip(NEXT) | instid1(VALU_DEP_1)
	v_add3_u32 v10, v10, v11, v4
	v_lshlrev_b64 v[3:4], 2, v[9:10]
	s_delay_alu instid0(VALU_DEP_1) | instskip(NEXT) | instid1(VALU_DEP_2)
	v_add_co_u32 v3, vcc_lo, v5, v3
	v_add_co_ci_u32_e32 v4, vcc_lo, v6, v4, vcc_lo
	global_store_b32 v[3:4], v1, off
.LBB78_50:
	s_or_b32 exec_lo, exec_lo, s0
	v_cmp_gt_i32_e32 vcc_lo, s11, v0
	s_and_b32 exec_lo, exec_lo, vcc_lo
	s_cbranch_execz .LBB78_57
; %bb.51:
	v_cndmask_b32_e64 v3, 0, 1, s1
	v_ashrrev_i32_e32 v1, 31, v0
	s_and_not1_b32 vcc_lo, exec_lo, s4
	s_delay_alu instid0(VALU_DEP_2)
	v_cmp_ne_u32_e64 s0, 1, v3
	s_cbranch_vccnz .LBB78_58
; %bb.52:
	s_delay_alu instid0(VALU_DEP_1)
	s_and_b32 vcc_lo, exec_lo, s0
	s_mov_b32 s0, -1
	s_cbranch_vccnz .LBB78_54
; %bb.53:
	v_lshlrev_b64 v[3:4], 2, v[0:1]
	v_mul_f32_e32 v10, s6, v2
	s_mov_b32 s0, 0
	s_delay_alu instid0(VALU_DEP_2) | instskip(NEXT) | instid1(VALU_DEP_3)
	v_add_co_u32 v3, vcc_lo, v7, v3
	v_add_co_ci_u32_e32 v4, vcc_lo, v8, v4, vcc_lo
	global_load_b32 v9, v[3:4], off
	s_waitcnt vmcnt(0)
	v_fmac_f32_e32 v10, s12, v9
	global_store_b32 v[3:4], v10, off
.LBB78_54:
	s_and_not1_b32 vcc_lo, exec_lo, s0
	s_cbranch_vccnz .LBB78_56
; %bb.55:
	v_mul_lo_u32 v9, v1, s2
	v_mul_lo_u32 v10, v0, s3
	v_mad_u64_u32 v[3:4], null, v0, s2, 0
	s_delay_alu instid0(VALU_DEP_1) | instskip(SKIP_1) | instid1(VALU_DEP_2)
	v_add3_u32 v4, v4, v10, v9
	v_mul_f32_e32 v10, s6, v2
	v_lshlrev_b64 v[3:4], 2, v[3:4]
	s_delay_alu instid0(VALU_DEP_1) | instskip(NEXT) | instid1(VALU_DEP_2)
	v_add_co_u32 v3, vcc_lo, v5, v3
	v_add_co_ci_u32_e32 v4, vcc_lo, v6, v4, vcc_lo
	global_load_b32 v9, v[3:4], off
	s_waitcnt vmcnt(0)
	v_fmac_f32_e32 v10, s12, v9
	global_store_b32 v[3:4], v10, off
.LBB78_56:
	s_cbranch_execz .LBB78_59
.LBB78_57:
	s_nop 0
	s_sendmsg sendmsg(MSG_DEALLOC_VGPRS)
	s_endpgm
.LBB78_58:
.LBB78_59:
	v_mul_f32_e32 v2, s6, v2
	s_and_not1_b32 vcc_lo, exec_lo, s1
	s_mov_b32 s0, -1
	s_cbranch_vccnz .LBB78_61
; %bb.60:
	v_lshlrev_b64 v[3:4], 2, v[0:1]
	s_mov_b32 s0, 0
	s_delay_alu instid0(VALU_DEP_1) | instskip(NEXT) | instid1(VALU_DEP_2)
	v_add_co_u32 v3, vcc_lo, v7, v3
	v_add_co_ci_u32_e32 v4, vcc_lo, v8, v4, vcc_lo
	global_store_b32 v[3:4], v2, off
.LBB78_61:
	s_and_not1_b32 vcc_lo, exec_lo, s0
	s_cbranch_vccnz .LBB78_57
; %bb.62:
	v_mul_lo_u32 v1, v1, s2
	v_mul_lo_u32 v7, v0, s3
	v_mad_u64_u32 v[3:4], null, v0, s2, 0
	s_delay_alu instid0(VALU_DEP_1) | instskip(NEXT) | instid1(VALU_DEP_1)
	v_add3_u32 v4, v4, v7, v1
	v_lshlrev_b64 v[0:1], 2, v[3:4]
	s_delay_alu instid0(VALU_DEP_1) | instskip(NEXT) | instid1(VALU_DEP_2)
	v_add_co_u32 v0, vcc_lo, v5, v0
	v_add_co_ci_u32_e32 v1, vcc_lo, v6, v1, vcc_lo
	global_store_b32 v[0:1], v2, off
	s_nop 0
	s_sendmsg sendmsg(MSG_DEALLOC_VGPRS)
	s_endpgm
	.section	.rodata,"a",@progbits
	.p2align	6, 0x0
	.amdhsa_kernel _ZN9rocsparseL31bsrmm_large_blockdim_kernel_extILj16ELj16ELj2EliaaffEEvb20rocsparse_direction_T3_S2_llNS_24const_host_device_scalarIT7_EEPKT2_PKS2_PKT4_S2_PKT5_llS5_PT6_ll16rocsparse_order_21rocsparse_index_base_b
		.amdhsa_group_segment_fixed_size 3072
		.amdhsa_private_segment_fixed_size 0
		.amdhsa_kernarg_size 140
		.amdhsa_user_sgpr_count 14
		.amdhsa_user_sgpr_dispatch_ptr 0
		.amdhsa_user_sgpr_queue_ptr 0
		.amdhsa_user_sgpr_kernarg_segment_ptr 1
		.amdhsa_user_sgpr_dispatch_id 0
		.amdhsa_user_sgpr_private_segment_size 0
		.amdhsa_wavefront_size32 1
		.amdhsa_uses_dynamic_stack 0
		.amdhsa_enable_private_segment 0
		.amdhsa_system_sgpr_workgroup_id_x 1
		.amdhsa_system_sgpr_workgroup_id_y 1
		.amdhsa_system_sgpr_workgroup_id_z 0
		.amdhsa_system_sgpr_workgroup_info 0
		.amdhsa_system_vgpr_workitem_id 1
		.amdhsa_next_free_vgpr 36
		.amdhsa_next_free_sgpr 36
		.amdhsa_reserve_vcc 1
		.amdhsa_float_round_mode_32 0
		.amdhsa_float_round_mode_16_64 0
		.amdhsa_float_denorm_mode_32 3
		.amdhsa_float_denorm_mode_16_64 3
		.amdhsa_dx10_clamp 1
		.amdhsa_ieee_mode 1
		.amdhsa_fp16_overflow 0
		.amdhsa_workgroup_processor_mode 1
		.amdhsa_memory_ordered 1
		.amdhsa_forward_progress 0
		.amdhsa_shared_vgpr_count 0
		.amdhsa_exception_fp_ieee_invalid_op 0
		.amdhsa_exception_fp_denorm_src 0
		.amdhsa_exception_fp_ieee_div_zero 0
		.amdhsa_exception_fp_ieee_overflow 0
		.amdhsa_exception_fp_ieee_underflow 0
		.amdhsa_exception_fp_ieee_inexact 0
		.amdhsa_exception_int_div_zero 0
	.end_amdhsa_kernel
	.section	.text._ZN9rocsparseL31bsrmm_large_blockdim_kernel_extILj16ELj16ELj2EliaaffEEvb20rocsparse_direction_T3_S2_llNS_24const_host_device_scalarIT7_EEPKT2_PKS2_PKT4_S2_PKT5_llS5_PT6_ll16rocsparse_order_21rocsparse_index_base_b,"axG",@progbits,_ZN9rocsparseL31bsrmm_large_blockdim_kernel_extILj16ELj16ELj2EliaaffEEvb20rocsparse_direction_T3_S2_llNS_24const_host_device_scalarIT7_EEPKT2_PKS2_PKT4_S2_PKT5_llS5_PT6_ll16rocsparse_order_21rocsparse_index_base_b,comdat
.Lfunc_end78:
	.size	_ZN9rocsparseL31bsrmm_large_blockdim_kernel_extILj16ELj16ELj2EliaaffEEvb20rocsparse_direction_T3_S2_llNS_24const_host_device_scalarIT7_EEPKT2_PKS2_PKT4_S2_PKT5_llS5_PT6_ll16rocsparse_order_21rocsparse_index_base_b, .Lfunc_end78-_ZN9rocsparseL31bsrmm_large_blockdim_kernel_extILj16ELj16ELj2EliaaffEEvb20rocsparse_direction_T3_S2_llNS_24const_host_device_scalarIT7_EEPKT2_PKS2_PKT4_S2_PKT5_llS5_PT6_ll16rocsparse_order_21rocsparse_index_base_b
                                        ; -- End function
	.section	.AMDGPU.csdata,"",@progbits
; Kernel info:
; codeLenInByte = 2420
; NumSgprs: 38
; NumVgprs: 36
; ScratchSize: 0
; MemoryBound: 0
; FloatMode: 240
; IeeeMode: 1
; LDSByteSize: 3072 bytes/workgroup (compile time only)
; SGPRBlocks: 4
; VGPRBlocks: 4
; NumSGPRsForWavesPerEU: 38
; NumVGPRsForWavesPerEU: 36
; Occupancy: 16
; WaveLimiterHint : 1
; COMPUTE_PGM_RSRC2:SCRATCH_EN: 0
; COMPUTE_PGM_RSRC2:USER_SGPR: 14
; COMPUTE_PGM_RSRC2:TRAP_HANDLER: 0
; COMPUTE_PGM_RSRC2:TGID_X_EN: 1
; COMPUTE_PGM_RSRC2:TGID_Y_EN: 1
; COMPUTE_PGM_RSRC2:TGID_Z_EN: 0
; COMPUTE_PGM_RSRC2:TIDIG_COMP_CNT: 1
	.section	.text._ZN9rocsparseL31bsrmm_large_blockdim_kernel_extILj32ELj32ELj2EliaaffEEvb20rocsparse_direction_T3_S2_llNS_24const_host_device_scalarIT7_EEPKT2_PKS2_PKT4_S2_PKT5_llS5_PT6_ll16rocsparse_order_21rocsparse_index_base_b,"axG",@progbits,_ZN9rocsparseL31bsrmm_large_blockdim_kernel_extILj32ELj32ELj2EliaaffEEvb20rocsparse_direction_T3_S2_llNS_24const_host_device_scalarIT7_EEPKT2_PKS2_PKT4_S2_PKT5_llS5_PT6_ll16rocsparse_order_21rocsparse_index_base_b,comdat
	.globl	_ZN9rocsparseL31bsrmm_large_blockdim_kernel_extILj32ELj32ELj2EliaaffEEvb20rocsparse_direction_T3_S2_llNS_24const_host_device_scalarIT7_EEPKT2_PKS2_PKT4_S2_PKT5_llS5_PT6_ll16rocsparse_order_21rocsparse_index_base_b ; -- Begin function _ZN9rocsparseL31bsrmm_large_blockdim_kernel_extILj32ELj32ELj2EliaaffEEvb20rocsparse_direction_T3_S2_llNS_24const_host_device_scalarIT7_EEPKT2_PKS2_PKT4_S2_PKT5_llS5_PT6_ll16rocsparse_order_21rocsparse_index_base_b
	.p2align	8
	.type	_ZN9rocsparseL31bsrmm_large_blockdim_kernel_extILj32ELj32ELj2EliaaffEEvb20rocsparse_direction_T3_S2_llNS_24const_host_device_scalarIT7_EEPKT2_PKS2_PKT4_S2_PKT5_llS5_PT6_ll16rocsparse_order_21rocsparse_index_base_b,@function
_ZN9rocsparseL31bsrmm_large_blockdim_kernel_extILj32ELj32ELj2EliaaffEEvb20rocsparse_direction_T3_S2_llNS_24const_host_device_scalarIT7_EEPKT2_PKS2_PKT4_S2_PKT5_llS5_PT6_ll16rocsparse_order_21rocsparse_index_base_b: ; @_ZN9rocsparseL31bsrmm_large_blockdim_kernel_extILj32ELj32ELj2EliaaffEEvb20rocsparse_direction_T3_S2_llNS_24const_host_device_scalarIT7_EEPKT2_PKS2_PKT4_S2_PKT5_llS5_PT6_ll16rocsparse_order_21rocsparse_index_base_b
; %bb.0:
	s_clause 0x2
	s_load_b128 s[16:19], s[0:1], 0x80
	s_load_b64 s[6:7], s[0:1], 0x20
	s_load_b64 s[12:13], s[0:1], 0x60
	s_mov_b32 s2, s15
	s_waitcnt lgkmcnt(0)
	s_bitcmp1_b32 s18, 0
	s_cselect_b32 s3, -1, 0
	s_delay_alu instid0(SALU_CYCLE_1)
	s_and_b32 vcc_lo, exec_lo, s3
	s_xor_b32 s3, s3, -1
	s_cbranch_vccnz .LBB79_2
; %bb.1:
	s_load_b32 s6, s[6:7], 0x0
.LBB79_2:
	s_and_not1_b32 vcc_lo, exec_lo, s3
	s_cbranch_vccnz .LBB79_4
; %bb.3:
	s_load_b32 s12, s[12:13], 0x0
.LBB79_4:
	s_waitcnt lgkmcnt(0)
	v_cmp_eq_f32_e64 s3, s6, 0
	v_cmp_eq_f32_e64 s4, s12, 1.0
	s_delay_alu instid0(VALU_DEP_1) | instskip(NEXT) | instid1(SALU_CYCLE_1)
	s_and_b32 s3, s3, s4
	s_and_b32 vcc_lo, exec_lo, s3
	s_cbranch_vccnz .LBB79_57
; %bb.5:
	s_clause 0x1
	s_load_b128 s[8:11], s[0:1], 0x0
	s_load_b64 s[4:5], s[0:1], 0x28
	s_mov_b64 s[28:29], 0
	s_mov_b64 s[30:31], 0
	s_waitcnt lgkmcnt(0)
	s_cmp_lt_i32 s14, s10
	s_cselect_b32 s7, -1, 0
	s_cmp_ge_i32 s14, s10
	s_cbranch_scc1 .LBB79_7
; %bb.6:
	s_ashr_i32 s15, s14, 31
	s_delay_alu instid0(SALU_CYCLE_1) | instskip(NEXT) | instid1(SALU_CYCLE_1)
	s_lshl_b64 s[18:19], s[14:15], 3
	s_add_u32 s18, s4, s18
	s_addc_u32 s19, s5, s19
	s_load_b64 s[18:19], s[18:19], 0x0
	s_waitcnt lgkmcnt(0)
	s_sub_u32 s30, s18, s17
	s_subb_u32 s31, s19, 0
.LBB79_7:
	s_and_not1_b32 vcc_lo, exec_lo, s7
	s_cbranch_vccnz .LBB79_9
; %bb.8:
	s_ashr_i32 s15, s14, 31
	s_delay_alu instid0(SALU_CYCLE_1) | instskip(NEXT) | instid1(SALU_CYCLE_1)
	s_lshl_b64 s[18:19], s[14:15], 3
	s_add_u32 s4, s4, s18
	s_addc_u32 s5, s5, s19
	s_load_b64 s[4:5], s[4:5], 0x8
	s_waitcnt lgkmcnt(0)
	s_sub_u32 s28, s4, s17
	s_subb_u32 s29, s5, 0
.LBB79_9:
	s_clause 0x1
	s_load_b32 s10, s[0:1], 0x40
	s_load_b64 s[18:19], s[0:1], 0x68
	v_bfe_u32 v11, v0, 10, 10
	s_mov_b32 s34, 0
	s_delay_alu instid0(SALU_CYCLE_1) | instskip(SKIP_1) | instid1(VALU_DEP_2)
	s_mov_b32 s35, s34
	v_dual_mov_b32 v1, s34 :: v_dual_and_b32 v4, 0x3ff, v0
	v_lshl_add_u32 v3, s2, 6, v11
	v_cmp_ge_i64_e64 s2, s[30:31], s[28:29]
	v_mov_b32_e32 v2, s35
	s_delay_alu instid0(VALU_DEP_3) | instskip(SKIP_1) | instid1(VALU_DEP_4)
	v_add_nc_u32_e32 v0, 32, v3
	v_cmp_gt_i32_e64 s3, s11, v3
	s_and_b32 vcc_lo, exec_lo, s2
	s_delay_alu instid0(VALU_DEP_2)
	v_cmp_gt_i32_e64 s4, s11, v0
	s_waitcnt lgkmcnt(0)
	v_cmp_gt_i32_e64 s2, s10, v4
	s_cbranch_vccnz .LBB79_37
; %bb.10:
	s_clause 0x1
	s_load_b128 s[20:23], s[0:1], 0x30
	s_load_b128 s[24:27], s[0:1], 0x48
	v_mul_lo_u32 v2, v11, s10
	v_cmp_gt_i32_e32 vcc_lo, s10, v11
	v_mul_lo_u32 v5, v4, s10
	v_ashrrev_i32_e32 v13, 31, v3
	v_lshl_add_u32 v9, v4, 5, v11
	v_ashrrev_i32_e32 v14, 31, v0
	s_and_b32 s13, s2, vcc_lo
	s_bitcmp1_b32 s8, 0
	s_delay_alu instid0(VALU_DEP_2) | instskip(SKIP_4) | instid1(VALU_DEP_1)
	v_lshl_add_u32 v15, v9, 2, 0x2000
	s_cselect_b32 s5, -1, 0
	s_cmp_eq_u32 s9, 0
	s_waitcnt lgkmcnt(0)
	v_add_co_u32 v2, s8, s22, v2
	v_add_co_ci_u32_e64 v6, null, s23, 0, s8
	v_add_co_u32 v10, s8, s22, v5
	s_delay_alu instid0(VALU_DEP_3) | instskip(SKIP_1) | instid1(VALU_DEP_4)
	v_add_co_u32 v2, vcc_lo, v2, v4
	v_mul_lo_u32 v17, v3, s27
	v_add_co_ci_u32_e32 v18, vcc_lo, 0, v6, vcc_lo
	v_mul_lo_u32 v19, v13, s26
	v_mad_u64_u32 v[5:6], null, v3, s26, 0
	v_add_co_ci_u32_e64 v12, null, s23, 0, s8
	v_add_co_u32 v9, vcc_lo, v10, v11
	v_mul_lo_u32 v20, v0, s27
	v_mul_lo_u32 v21, v14, s26
	v_mad_u64_u32 v[7:8], null, v0, s26, 0
	v_add_co_ci_u32_e32 v10, vcc_lo, 0, v12, vcc_lo
	s_cselect_b32 vcc_lo, -1, 0
	v_lshlrev_b32_e32 v1, 5, v11
	v_add3_u32 v6, v6, v17, v19
	s_delay_alu instid0(VALU_DEP_3)
	v_dual_cndmask_b32 v10, v18, v10 :: v_dual_lshlrev_b32 v17, 7, v11
	s_add_i32 s9, s10, -1
	s_and_b32 s8, s10, 7
	s_cmp_gt_u32 s9, 6
	v_add_lshl_u32 v16, v1, v4, 2
	v_cndmask_b32_e32 v9, v2, v9, vcc_lo
	v_dual_mov_b32 v1, s34 :: v_dual_mov_b32 v2, s35
	v_add3_u32 v8, v8, v20, v21
	s_cselect_b32 s9, -1, 0
	s_and_b32 s15, s10, -8
	v_lshl_add_u32 v18, v4, 7, 0x2000
	v_add_nc_u32_e32 v19, 0x1000, v17
	s_cmp_lg_u32 s8, 0
	s_mul_i32 s23, s10, s10
	s_cselect_b32 s22, -1, 0
	s_branch .LBB79_13
.LBB79_11:                              ;   in Loop: Header=BB79_13 Depth=1
	s_or_b32 exec_lo, exec_lo, s34
.LBB79_12:                              ;   in Loop: Header=BB79_13 Depth=1
	s_delay_alu instid0(SALU_CYCLE_1) | instskip(SKIP_2) | instid1(SALU_CYCLE_1)
	s_or_b32 exec_lo, exec_lo, s33
	s_add_u32 s30, s30, 1
	s_addc_u32 s31, s31, 0
	v_cmp_ge_i64_e64 s33, s[30:31], s[28:29]
	s_barrier
	buffer_gl0_inv
	s_and_b32 vcc_lo, exec_lo, s33
	s_cbranch_vccnz .LBB79_37
.LBB79_13:                              ; =>This Loop Header: Depth=1
                                        ;     Child Loop BB79_24 Depth 2
                                        ;     Child Loop BB79_28 Depth 2
	;; [unrolled: 1-line block ×4, first 2 shown]
	s_and_saveexec_b32 s33, s2
	s_cbranch_execz .LBB79_18
; %bb.14:                               ;   in Loop: Header=BB79_13 Depth=1
	s_lshl_b64 s[34:35], s[30:31], 2
	s_delay_alu instid0(SALU_CYCLE_1) | instskip(SKIP_4) | instid1(SALU_CYCLE_1)
	s_add_u32 s34, s20, s34
	s_addc_u32 s35, s21, s35
	s_load_b32 s34, s[34:35], 0x0
	s_waitcnt lgkmcnt(0)
	s_sub_i32 s34, s34, s17
	v_mad_u64_u32 v[20:21], null, s34, s10, v[4:5]
	s_delay_alu instid0(VALU_DEP_1) | instskip(SKIP_3) | instid1(VALU_DEP_4)
	v_ashrrev_i32_e32 v21, 31, v20
	v_mul_lo_u32 v22, v20, s27
	v_mad_u64_u32 v[11:12], null, v20, s26, s[24:25]
	v_add_co_u32 v20, vcc_lo, s24, v20
	v_mul_lo_u32 v23, v21, s26
	v_add_co_ci_u32_e32 v21, vcc_lo, s25, v21, vcc_lo
	s_delay_alu instid0(VALU_DEP_2)
	v_add3_u32 v12, v23, v12, v22
	s_and_saveexec_b32 s34, s3
	s_cbranch_execz .LBB79_16
; %bb.15:                               ;   in Loop: Header=BB79_13 Depth=1
	v_add_co_u32 v22, vcc_lo, v20, v5
	v_add_co_ci_u32_e32 v23, vcc_lo, v21, v6, vcc_lo
	v_add_co_u32 v24, vcc_lo, v11, v3
	v_add_co_ci_u32_e32 v25, vcc_lo, v12, v13, vcc_lo
	s_delay_alu instid0(VALU_DEP_2) | instskip(NEXT) | instid1(VALU_DEP_2)
	v_cndmask_b32_e64 v22, v24, v22, s5
	v_cndmask_b32_e64 v23, v25, v23, s5
	global_load_i8 v22, v[22:23], off
	s_waitcnt vmcnt(0)
	v_cvt_f32_i32_e32 v22, v22
	ds_store_b32 v16, v22
.LBB79_16:                              ;   in Loop: Header=BB79_13 Depth=1
	s_or_b32 exec_lo, exec_lo, s34
	s_delay_alu instid0(SALU_CYCLE_1)
	s_and_b32 exec_lo, exec_lo, s4
	s_cbranch_execz .LBB79_18
; %bb.17:                               ;   in Loop: Header=BB79_13 Depth=1
	v_add_co_u32 v20, vcc_lo, v20, v7
	v_add_co_ci_u32_e32 v21, vcc_lo, v21, v8, vcc_lo
	v_add_co_u32 v11, vcc_lo, v11, v0
	v_add_co_ci_u32_e32 v12, vcc_lo, v12, v14, vcc_lo
	s_delay_alu instid0(VALU_DEP_2) | instskip(NEXT) | instid1(VALU_DEP_2)
	v_cndmask_b32_e64 v11, v11, v20, s5
	v_cndmask_b32_e64 v12, v12, v21, s5
	global_load_i8 v11, v[11:12], off
	s_waitcnt vmcnt(0)
	v_cvt_f32_i32_e32 v11, v11
	ds_store_b32 v16, v11 offset:4096
.LBB79_18:                              ;   in Loop: Header=BB79_13 Depth=1
	s_or_b32 exec_lo, exec_lo, s33
	s_and_saveexec_b32 s33, s13
	s_cbranch_execz .LBB79_20
; %bb.19:                               ;   in Loop: Header=BB79_13 Depth=1
	v_mad_u64_u32 v[11:12], null, s30, s23, v[9:10]
	s_delay_alu instid0(VALU_DEP_1) | instskip(NEXT) | instid1(VALU_DEP_1)
	v_mad_u64_u32 v[20:21], null, s31, s23, v[12:13]
	v_mov_b32_e32 v12, v20
	global_load_i8 v11, v[11:12], off
	s_waitcnt vmcnt(0)
	v_cvt_f32_i32_e32 v11, v11
	ds_store_b32 v15, v11
.LBB79_20:                              ;   in Loop: Header=BB79_13 Depth=1
	s_or_b32 exec_lo, exec_lo, s33
	s_waitcnt lgkmcnt(0)
	s_barrier
	buffer_gl0_inv
	s_and_saveexec_b32 s33, s2
	s_cbranch_execz .LBB79_12
; %bb.21:                               ;   in Loop: Header=BB79_13 Depth=1
	s_and_saveexec_b32 s34, s3
	s_cbranch_execz .LBB79_29
; %bb.22:                               ;   in Loop: Header=BB79_13 Depth=1
	s_and_not1_b32 vcc_lo, exec_lo, s9
	s_cbranch_vccnz .LBB79_26
; %bb.23:                               ;   in Loop: Header=BB79_13 Depth=1
	v_dual_mov_b32 v11, v18 :: v_dual_mov_b32 v12, v17
	s_mov_b32 s35, 0
	.p2align	6
.LBB79_24:                              ;   Parent Loop BB79_13 Depth=1
                                        ; =>  This Inner Loop Header: Depth=2
	ds_load_b128 v[20:23], v12
	ds_load_b128 v[24:27], v11
	ds_load_b128 v[28:31], v11 offset:16
	ds_load_b128 v[32:35], v12 offset:16
	v_add_nc_u32_e32 v11, 32, v11
	s_add_i32 s35, s35, 8
	v_add_nc_u32_e32 v12, 32, v12
	s_cmp_lg_u32 s15, s35
	s_waitcnt lgkmcnt(2)
	v_fma_f32 v1, v24, v20, v1
	s_delay_alu instid0(VALU_DEP_1) | instskip(NEXT) | instid1(VALU_DEP_1)
	v_fmac_f32_e32 v1, v25, v21
	v_fmac_f32_e32 v1, v26, v22
	s_delay_alu instid0(VALU_DEP_1) | instskip(SKIP_1) | instid1(VALU_DEP_1)
	v_fmac_f32_e32 v1, v27, v23
	s_waitcnt lgkmcnt(0)
	v_fmac_f32_e32 v1, v28, v32
	s_delay_alu instid0(VALU_DEP_1) | instskip(NEXT) | instid1(VALU_DEP_1)
	v_fmac_f32_e32 v1, v29, v33
	v_fmac_f32_e32 v1, v30, v34
	s_delay_alu instid0(VALU_DEP_1)
	v_fmac_f32_e32 v1, v31, v35
	s_cbranch_scc1 .LBB79_24
; %bb.25:                               ;   in Loop: Header=BB79_13 Depth=1
	s_mov_b32 s35, s15
	s_and_not1_b32 vcc_lo, exec_lo, s22
	s_cbranch_vccz .LBB79_27
	s_branch .LBB79_29
.LBB79_26:                              ;   in Loop: Header=BB79_13 Depth=1
	s_mov_b32 s35, 0
	s_and_not1_b32 vcc_lo, exec_lo, s22
	s_cbranch_vccnz .LBB79_29
.LBB79_27:                              ;   in Loop: Header=BB79_13 Depth=1
	s_lshl_b32 s35, s35, 2
	s_delay_alu instid0(SALU_CYCLE_1)
	v_add_nc_u32_e32 v11, s35, v17
	v_add_nc_u32_e32 v12, s35, v18
	s_mov_b32 s35, s8
.LBB79_28:                              ;   Parent Loop BB79_13 Depth=1
                                        ; =>  This Inner Loop Header: Depth=2
	ds_load_b32 v20, v12
	ds_load_b32 v21, v11
	v_add_nc_u32_e32 v11, 4, v11
	v_add_nc_u32_e32 v12, 4, v12
	s_add_i32 s35, s35, -1
	s_delay_alu instid0(SALU_CYCLE_1)
	s_cmp_lg_u32 s35, 0
	s_waitcnt lgkmcnt(0)
	v_fma_f32 v1, v20, v21, v1
	s_cbranch_scc1 .LBB79_28
.LBB79_29:                              ;   in Loop: Header=BB79_13 Depth=1
	s_or_b32 exec_lo, exec_lo, s34
	s_and_saveexec_b32 s34, s4
	s_cbranch_execz .LBB79_11
; %bb.30:                               ;   in Loop: Header=BB79_13 Depth=1
	s_and_not1_b32 vcc_lo, exec_lo, s9
	s_cbranch_vccnz .LBB79_34
; %bb.31:                               ;   in Loop: Header=BB79_13 Depth=1
	v_dual_mov_b32 v11, v18 :: v_dual_mov_b32 v12, v19
	s_mov_b32 s35, 0
	.p2align	6
.LBB79_32:                              ;   Parent Loop BB79_13 Depth=1
                                        ; =>  This Inner Loop Header: Depth=2
	ds_load_b128 v[20:23], v12
	ds_load_b128 v[24:27], v11
	ds_load_b128 v[28:31], v11 offset:16
	ds_load_b128 v[32:35], v12 offset:16
	v_add_nc_u32_e32 v12, 32, v12
	s_add_i32 s35, s35, 8
	v_add_nc_u32_e32 v11, 32, v11
	s_cmp_lg_u32 s15, s35
	s_waitcnt lgkmcnt(2)
	v_fma_f32 v2, v24, v20, v2
	s_delay_alu instid0(VALU_DEP_1) | instskip(NEXT) | instid1(VALU_DEP_1)
	v_fmac_f32_e32 v2, v25, v21
	v_fmac_f32_e32 v2, v26, v22
	s_delay_alu instid0(VALU_DEP_1) | instskip(SKIP_1) | instid1(VALU_DEP_1)
	v_fmac_f32_e32 v2, v27, v23
	s_waitcnt lgkmcnt(0)
	v_fmac_f32_e32 v2, v28, v32
	s_delay_alu instid0(VALU_DEP_1) | instskip(NEXT) | instid1(VALU_DEP_1)
	v_fmac_f32_e32 v2, v29, v33
	v_fmac_f32_e32 v2, v30, v34
	s_delay_alu instid0(VALU_DEP_1)
	v_fmac_f32_e32 v2, v31, v35
	s_cbranch_scc1 .LBB79_32
; %bb.33:                               ;   in Loop: Header=BB79_13 Depth=1
	s_mov_b32 s35, s15
	s_and_not1_b32 vcc_lo, exec_lo, s22
	s_cbranch_vccz .LBB79_35
	s_branch .LBB79_11
.LBB79_34:                              ;   in Loop: Header=BB79_13 Depth=1
	s_mov_b32 s35, 0
	s_and_not1_b32 vcc_lo, exec_lo, s22
	s_cbranch_vccnz .LBB79_11
.LBB79_35:                              ;   in Loop: Header=BB79_13 Depth=1
	s_lshl_b32 s35, s35, 2
	s_delay_alu instid0(SALU_CYCLE_1)
	v_add_nc_u32_e32 v11, s35, v19
	v_add_nc_u32_e32 v12, s35, v18
	s_mov_b32 s35, s8
.LBB79_36:                              ;   Parent Loop BB79_13 Depth=1
                                        ; =>  This Inner Loop Header: Depth=2
	ds_load_b32 v20, v12
	ds_load_b32 v21, v11
	v_add_nc_u32_e32 v11, 4, v11
	v_add_nc_u32_e32 v12, 4, v12
	s_add_i32 s35, s35, -1
	s_delay_alu instid0(SALU_CYCLE_1)
	s_cmp_lg_u32 s35, 0
	s_waitcnt lgkmcnt(0)
	v_fma_f32 v2, v20, v21, v2
	s_cbranch_scc1 .LBB79_36
	s_branch .LBB79_11
.LBB79_37:
	s_delay_alu instid0(VALU_DEP_1) | instskip(NEXT) | instid1(SALU_CYCLE_1)
	s_and_b32 s2, s7, s2
	s_and_saveexec_b32 s3, s2
	s_cbranch_execz .LBB79_57
; %bb.38:
	s_load_b64 s[2:3], s[0:1], 0x70
	v_mad_u64_u32 v[5:6], null, s14, s10, v[4:5]
	v_cmp_neq_f32_e64 s4, s12, 0
	s_cmp_lg_u32 s16, 1
	s_mov_b32 s0, exec_lo
	s_cselect_b32 s1, -1, 0
	s_delay_alu instid0(VALU_DEP_2) | instskip(SKIP_1) | instid1(VALU_DEP_1)
	v_ashrrev_i32_e32 v6, 31, v5
	s_waitcnt lgkmcnt(0)
	v_mul_lo_u32 v4, v6, s2
	v_mul_lo_u32 v9, v5, s3
	v_mad_u64_u32 v[7:8], null, v5, s2, 0
	v_lshlrev_b64 v[5:6], 2, v[5:6]
	s_delay_alu instid0(VALU_DEP_1) | instskip(NEXT) | instid1(VALU_DEP_3)
	v_add_co_u32 v5, vcc_lo, s18, v5
	v_add3_u32 v8, v8, v9, v4
	s_delay_alu instid0(VALU_DEP_3) | instskip(NEXT) | instid1(VALU_DEP_2)
	v_add_co_ci_u32_e32 v6, vcc_lo, s19, v6, vcc_lo
	v_lshlrev_b64 v[7:8], 2, v[7:8]
	s_delay_alu instid0(VALU_DEP_1) | instskip(NEXT) | instid1(VALU_DEP_2)
	v_add_co_u32 v7, vcc_lo, s18, v7
	v_add_co_ci_u32_e32 v8, vcc_lo, s19, v8, vcc_lo
	v_cmpx_gt_i32_e64 s11, v3
	s_cbranch_execz .LBB79_50
; %bb.39:
	v_ashrrev_i32_e32 v4, 31, v3
	s_and_b32 vcc_lo, exec_lo, s4
	s_cbranch_vccz .LBB79_45
; %bb.40:
	s_and_b32 vcc_lo, exec_lo, s1
	s_mov_b32 s5, -1
	s_cbranch_vccz .LBB79_42
; %bb.41:
	v_lshlrev_b64 v[9:10], 2, v[3:4]
	v_mul_f32_e32 v12, s6, v1
	s_mov_b32 s5, 0
	s_delay_alu instid0(VALU_DEP_2) | instskip(NEXT) | instid1(VALU_DEP_3)
	v_add_co_u32 v9, vcc_lo, v7, v9
	v_add_co_ci_u32_e32 v10, vcc_lo, v8, v10, vcc_lo
	global_load_b32 v11, v[9:10], off
	s_waitcnt vmcnt(0)
	v_fmac_f32_e32 v12, s12, v11
	global_store_b32 v[9:10], v12, off
.LBB79_42:
	s_and_not1_b32 vcc_lo, exec_lo, s5
	s_cbranch_vccnz .LBB79_44
; %bb.43:
	v_mul_lo_u32 v11, v4, s2
	v_mul_lo_u32 v12, v3, s3
	v_mad_u64_u32 v[9:10], null, v3, s2, 0
	s_delay_alu instid0(VALU_DEP_1) | instskip(SKIP_1) | instid1(VALU_DEP_2)
	v_add3_u32 v10, v10, v12, v11
	v_mul_f32_e32 v12, s6, v1
	v_lshlrev_b64 v[9:10], 2, v[9:10]
	s_delay_alu instid0(VALU_DEP_1) | instskip(NEXT) | instid1(VALU_DEP_2)
	v_add_co_u32 v9, vcc_lo, v5, v9
	v_add_co_ci_u32_e32 v10, vcc_lo, v6, v10, vcc_lo
	global_load_b32 v11, v[9:10], off
	s_waitcnt vmcnt(0)
	v_fmac_f32_e32 v12, s12, v11
	global_store_b32 v[9:10], v12, off
.LBB79_44:
	s_cbranch_execz .LBB79_46
	s_branch .LBB79_50
.LBB79_45:
.LBB79_46:
	v_mul_f32_e32 v1, s6, v1
	s_and_b32 vcc_lo, exec_lo, s1
	s_mov_b32 s5, -1
	s_cbranch_vccz .LBB79_48
; %bb.47:
	v_lshlrev_b64 v[9:10], 2, v[3:4]
	s_mov_b32 s5, 0
	s_delay_alu instid0(VALU_DEP_1) | instskip(NEXT) | instid1(VALU_DEP_2)
	v_add_co_u32 v9, vcc_lo, v7, v9
	v_add_co_ci_u32_e32 v10, vcc_lo, v8, v10, vcc_lo
	global_store_b32 v[9:10], v1, off
.LBB79_48:
	s_and_not1_b32 vcc_lo, exec_lo, s5
	s_cbranch_vccnz .LBB79_50
; %bb.49:
	v_mul_lo_u32 v4, v4, s2
	v_mul_lo_u32 v11, v3, s3
	v_mad_u64_u32 v[9:10], null, v3, s2, 0
	s_delay_alu instid0(VALU_DEP_1) | instskip(NEXT) | instid1(VALU_DEP_1)
	v_add3_u32 v10, v10, v11, v4
	v_lshlrev_b64 v[3:4], 2, v[9:10]
	s_delay_alu instid0(VALU_DEP_1) | instskip(NEXT) | instid1(VALU_DEP_2)
	v_add_co_u32 v3, vcc_lo, v5, v3
	v_add_co_ci_u32_e32 v4, vcc_lo, v6, v4, vcc_lo
	global_store_b32 v[3:4], v1, off
.LBB79_50:
	s_or_b32 exec_lo, exec_lo, s0
	v_cmp_gt_i32_e32 vcc_lo, s11, v0
	s_and_b32 exec_lo, exec_lo, vcc_lo
	s_cbranch_execz .LBB79_57
; %bb.51:
	v_cndmask_b32_e64 v3, 0, 1, s1
	v_ashrrev_i32_e32 v1, 31, v0
	s_and_not1_b32 vcc_lo, exec_lo, s4
	s_delay_alu instid0(VALU_DEP_2)
	v_cmp_ne_u32_e64 s0, 1, v3
	s_cbranch_vccnz .LBB79_58
; %bb.52:
	s_delay_alu instid0(VALU_DEP_1)
	s_and_b32 vcc_lo, exec_lo, s0
	s_mov_b32 s0, -1
	s_cbranch_vccnz .LBB79_54
; %bb.53:
	v_lshlrev_b64 v[3:4], 2, v[0:1]
	v_mul_f32_e32 v10, s6, v2
	s_mov_b32 s0, 0
	s_delay_alu instid0(VALU_DEP_2) | instskip(NEXT) | instid1(VALU_DEP_3)
	v_add_co_u32 v3, vcc_lo, v7, v3
	v_add_co_ci_u32_e32 v4, vcc_lo, v8, v4, vcc_lo
	global_load_b32 v9, v[3:4], off
	s_waitcnt vmcnt(0)
	v_fmac_f32_e32 v10, s12, v9
	global_store_b32 v[3:4], v10, off
.LBB79_54:
	s_and_not1_b32 vcc_lo, exec_lo, s0
	s_cbranch_vccnz .LBB79_56
; %bb.55:
	v_mul_lo_u32 v9, v1, s2
	v_mul_lo_u32 v10, v0, s3
	v_mad_u64_u32 v[3:4], null, v0, s2, 0
	s_delay_alu instid0(VALU_DEP_1) | instskip(SKIP_1) | instid1(VALU_DEP_2)
	v_add3_u32 v4, v4, v10, v9
	v_mul_f32_e32 v10, s6, v2
	v_lshlrev_b64 v[3:4], 2, v[3:4]
	s_delay_alu instid0(VALU_DEP_1) | instskip(NEXT) | instid1(VALU_DEP_2)
	v_add_co_u32 v3, vcc_lo, v5, v3
	v_add_co_ci_u32_e32 v4, vcc_lo, v6, v4, vcc_lo
	global_load_b32 v9, v[3:4], off
	s_waitcnt vmcnt(0)
	v_fmac_f32_e32 v10, s12, v9
	global_store_b32 v[3:4], v10, off
.LBB79_56:
	s_cbranch_execz .LBB79_59
.LBB79_57:
	s_nop 0
	s_sendmsg sendmsg(MSG_DEALLOC_VGPRS)
	s_endpgm
.LBB79_58:
.LBB79_59:
	v_mul_f32_e32 v2, s6, v2
	s_and_not1_b32 vcc_lo, exec_lo, s1
	s_mov_b32 s0, -1
	s_cbranch_vccnz .LBB79_61
; %bb.60:
	v_lshlrev_b64 v[3:4], 2, v[0:1]
	s_mov_b32 s0, 0
	s_delay_alu instid0(VALU_DEP_1) | instskip(NEXT) | instid1(VALU_DEP_2)
	v_add_co_u32 v3, vcc_lo, v7, v3
	v_add_co_ci_u32_e32 v4, vcc_lo, v8, v4, vcc_lo
	global_store_b32 v[3:4], v2, off
.LBB79_61:
	s_and_not1_b32 vcc_lo, exec_lo, s0
	s_cbranch_vccnz .LBB79_57
; %bb.62:
	v_mul_lo_u32 v1, v1, s2
	v_mul_lo_u32 v7, v0, s3
	v_mad_u64_u32 v[3:4], null, v0, s2, 0
	s_delay_alu instid0(VALU_DEP_1) | instskip(NEXT) | instid1(VALU_DEP_1)
	v_add3_u32 v4, v4, v7, v1
	v_lshlrev_b64 v[0:1], 2, v[3:4]
	s_delay_alu instid0(VALU_DEP_1) | instskip(NEXT) | instid1(VALU_DEP_2)
	v_add_co_u32 v0, vcc_lo, v5, v0
	v_add_co_ci_u32_e32 v1, vcc_lo, v6, v1, vcc_lo
	global_store_b32 v[0:1], v2, off
	s_nop 0
	s_sendmsg sendmsg(MSG_DEALLOC_VGPRS)
	s_endpgm
	.section	.rodata,"a",@progbits
	.p2align	6, 0x0
	.amdhsa_kernel _ZN9rocsparseL31bsrmm_large_blockdim_kernel_extILj32ELj32ELj2EliaaffEEvb20rocsparse_direction_T3_S2_llNS_24const_host_device_scalarIT7_EEPKT2_PKS2_PKT4_S2_PKT5_llS5_PT6_ll16rocsparse_order_21rocsparse_index_base_b
		.amdhsa_group_segment_fixed_size 12288
		.amdhsa_private_segment_fixed_size 0
		.amdhsa_kernarg_size 140
		.amdhsa_user_sgpr_count 14
		.amdhsa_user_sgpr_dispatch_ptr 0
		.amdhsa_user_sgpr_queue_ptr 0
		.amdhsa_user_sgpr_kernarg_segment_ptr 1
		.amdhsa_user_sgpr_dispatch_id 0
		.amdhsa_user_sgpr_private_segment_size 0
		.amdhsa_wavefront_size32 1
		.amdhsa_uses_dynamic_stack 0
		.amdhsa_enable_private_segment 0
		.amdhsa_system_sgpr_workgroup_id_x 1
		.amdhsa_system_sgpr_workgroup_id_y 1
		.amdhsa_system_sgpr_workgroup_id_z 0
		.amdhsa_system_sgpr_workgroup_info 0
		.amdhsa_system_vgpr_workitem_id 1
		.amdhsa_next_free_vgpr 36
		.amdhsa_next_free_sgpr 36
		.amdhsa_reserve_vcc 1
		.amdhsa_float_round_mode_32 0
		.amdhsa_float_round_mode_16_64 0
		.amdhsa_float_denorm_mode_32 3
		.amdhsa_float_denorm_mode_16_64 3
		.amdhsa_dx10_clamp 1
		.amdhsa_ieee_mode 1
		.amdhsa_fp16_overflow 0
		.amdhsa_workgroup_processor_mode 1
		.amdhsa_memory_ordered 1
		.amdhsa_forward_progress 0
		.amdhsa_shared_vgpr_count 0
		.amdhsa_exception_fp_ieee_invalid_op 0
		.amdhsa_exception_fp_denorm_src 0
		.amdhsa_exception_fp_ieee_div_zero 0
		.amdhsa_exception_fp_ieee_overflow 0
		.amdhsa_exception_fp_ieee_underflow 0
		.amdhsa_exception_fp_ieee_inexact 0
		.amdhsa_exception_int_div_zero 0
	.end_amdhsa_kernel
	.section	.text._ZN9rocsparseL31bsrmm_large_blockdim_kernel_extILj32ELj32ELj2EliaaffEEvb20rocsparse_direction_T3_S2_llNS_24const_host_device_scalarIT7_EEPKT2_PKS2_PKT4_S2_PKT5_llS5_PT6_ll16rocsparse_order_21rocsparse_index_base_b,"axG",@progbits,_ZN9rocsparseL31bsrmm_large_blockdim_kernel_extILj32ELj32ELj2EliaaffEEvb20rocsparse_direction_T3_S2_llNS_24const_host_device_scalarIT7_EEPKT2_PKS2_PKT4_S2_PKT5_llS5_PT6_ll16rocsparse_order_21rocsparse_index_base_b,comdat
.Lfunc_end79:
	.size	_ZN9rocsparseL31bsrmm_large_blockdim_kernel_extILj32ELj32ELj2EliaaffEEvb20rocsparse_direction_T3_S2_llNS_24const_host_device_scalarIT7_EEPKT2_PKS2_PKT4_S2_PKT5_llS5_PT6_ll16rocsparse_order_21rocsparse_index_base_b, .Lfunc_end79-_ZN9rocsparseL31bsrmm_large_blockdim_kernel_extILj32ELj32ELj2EliaaffEEvb20rocsparse_direction_T3_S2_llNS_24const_host_device_scalarIT7_EEPKT2_PKS2_PKT4_S2_PKT5_llS5_PT6_ll16rocsparse_order_21rocsparse_index_base_b
                                        ; -- End function
	.section	.AMDGPU.csdata,"",@progbits
; Kernel info:
; codeLenInByte = 2420
; NumSgprs: 38
; NumVgprs: 36
; ScratchSize: 0
; MemoryBound: 0
; FloatMode: 240
; IeeeMode: 1
; LDSByteSize: 12288 bytes/workgroup (compile time only)
; SGPRBlocks: 4
; VGPRBlocks: 4
; NumSGPRsForWavesPerEU: 38
; NumVGPRsForWavesPerEU: 36
; Occupancy: 16
; WaveLimiterHint : 1
; COMPUTE_PGM_RSRC2:SCRATCH_EN: 0
; COMPUTE_PGM_RSRC2:USER_SGPR: 14
; COMPUTE_PGM_RSRC2:TRAP_HANDLER: 0
; COMPUTE_PGM_RSRC2:TGID_X_EN: 1
; COMPUTE_PGM_RSRC2:TGID_Y_EN: 1
; COMPUTE_PGM_RSRC2:TGID_Z_EN: 0
; COMPUTE_PGM_RSRC2:TIDIG_COMP_CNT: 1
	.section	.text._ZN9rocsparseL31bsrmm_large_blockdim_kernel_extILj8ELj8ELj2EllaaffEEvb20rocsparse_direction_T3_S2_llNS_24const_host_device_scalarIT7_EEPKT2_PKS2_PKT4_S2_PKT5_llS5_PT6_ll16rocsparse_order_21rocsparse_index_base_b,"axG",@progbits,_ZN9rocsparseL31bsrmm_large_blockdim_kernel_extILj8ELj8ELj2EllaaffEEvb20rocsparse_direction_T3_S2_llNS_24const_host_device_scalarIT7_EEPKT2_PKS2_PKT4_S2_PKT5_llS5_PT6_ll16rocsparse_order_21rocsparse_index_base_b,comdat
	.globl	_ZN9rocsparseL31bsrmm_large_blockdim_kernel_extILj8ELj8ELj2EllaaffEEvb20rocsparse_direction_T3_S2_llNS_24const_host_device_scalarIT7_EEPKT2_PKS2_PKT4_S2_PKT5_llS5_PT6_ll16rocsparse_order_21rocsparse_index_base_b ; -- Begin function _ZN9rocsparseL31bsrmm_large_blockdim_kernel_extILj8ELj8ELj2EllaaffEEvb20rocsparse_direction_T3_S2_llNS_24const_host_device_scalarIT7_EEPKT2_PKS2_PKT4_S2_PKT5_llS5_PT6_ll16rocsparse_order_21rocsparse_index_base_b
	.p2align	8
	.type	_ZN9rocsparseL31bsrmm_large_blockdim_kernel_extILj8ELj8ELj2EllaaffEEvb20rocsparse_direction_T3_S2_llNS_24const_host_device_scalarIT7_EEPKT2_PKS2_PKT4_S2_PKT5_llS5_PT6_ll16rocsparse_order_21rocsparse_index_base_b,@function
_ZN9rocsparseL31bsrmm_large_blockdim_kernel_extILj8ELj8ELj2EllaaffEEvb20rocsparse_direction_T3_S2_llNS_24const_host_device_scalarIT7_EEPKT2_PKS2_PKT4_S2_PKT5_llS5_PT6_ll16rocsparse_order_21rocsparse_index_base_b: ; @_ZN9rocsparseL31bsrmm_large_blockdim_kernel_extILj8ELj8ELj2EllaaffEEvb20rocsparse_direction_T3_S2_llNS_24const_host_device_scalarIT7_EEPKT2_PKS2_PKT4_S2_PKT5_llS5_PT6_ll16rocsparse_order_21rocsparse_index_base_b
; %bb.0:
	s_clause 0x2
	s_load_b128 s[8:11], s[0:1], 0x88
	s_load_b64 s[12:13], s[0:1], 0x28
	s_load_b64 s[24:25], s[0:1], 0x68
	s_mov_b32 s2, s15
	s_waitcnt lgkmcnt(0)
	s_bitcmp1_b32 s10, 0
	s_cselect_b32 s3, -1, 0
	s_delay_alu instid0(SALU_CYCLE_1)
	s_and_b32 vcc_lo, exec_lo, s3
	s_xor_b32 s3, s3, -1
	s_cbranch_vccnz .LBB80_2
; %bb.1:
	s_load_b32 s12, s[12:13], 0x0
.LBB80_2:
	s_and_not1_b32 vcc_lo, exec_lo, s3
	s_cbranch_vccnz .LBB80_4
; %bb.3:
	s_load_b32 s24, s[24:25], 0x0
.LBB80_4:
	s_waitcnt lgkmcnt(0)
	v_cmp_eq_f32_e64 s3, s12, 0
	v_cmp_eq_f32_e64 s4, s24, 1.0
	s_delay_alu instid0(VALU_DEP_1) | instskip(NEXT) | instid1(SALU_CYCLE_1)
	s_and_b32 s3, s3, s4
	s_and_b32 vcc_lo, exec_lo, s3
	s_cbranch_vccnz .LBB80_57
; %bb.5:
	s_clause 0x1
	s_load_b128 s[4:7], s[0:1], 0x8
	s_load_b64 s[10:11], s[0:1], 0x30
	s_ashr_i32 s15, s14, 31
	s_mov_b64 s[26:27], 0
	s_mov_b64 s[28:29], 0
	s_waitcnt lgkmcnt(0)
	v_cmp_ge_i64_e64 s3, s[14:15], s[4:5]
	v_cmp_lt_i64_e64 s13, s[14:15], s[4:5]
	s_delay_alu instid0(VALU_DEP_2)
	s_and_b32 vcc_lo, exec_lo, s3
	s_cbranch_vccnz .LBB80_7
; %bb.6:
	s_lshl_b64 s[4:5], s[14:15], 3
	s_delay_alu instid0(SALU_CYCLE_1)
	s_add_u32 s4, s10, s4
	s_addc_u32 s5, s11, s5
	s_load_b64 s[4:5], s[4:5], 0x0
	s_waitcnt lgkmcnt(0)
	s_sub_u32 s28, s4, s9
	s_subb_u32 s29, s5, 0
.LBB80_7:
	s_delay_alu instid0(VALU_DEP_1)
	s_and_not1_b32 vcc_lo, exec_lo, s13
	s_cbranch_vccnz .LBB80_9
; %bb.8:
	s_lshl_b64 s[4:5], s[14:15], 3
	s_delay_alu instid0(SALU_CYCLE_1)
	s_add_u32 s4, s10, s4
	s_addc_u32 s5, s11, s5
	s_load_b64 s[4:5], s[4:5], 0x8
	s_waitcnt lgkmcnt(0)
	s_sub_u32 s26, s4, s9
	s_subb_u32 s27, s5, 0
.LBB80_9:
	s_clause 0x1
	s_load_b64 s[30:31], s[0:1], 0x48
	s_load_b64 s[10:11], s[0:1], 0x70
	v_bfe_u32 v15, v0, 10, 10
	v_dual_mov_b32 v3, 0 :: v_dual_and_b32 v6, 0x3ff, v0
	s_mov_b32 s36, 0
	s_delay_alu instid0(VALU_DEP_2) | instskip(SKIP_1) | instid1(VALU_DEP_3)
	v_lshl_add_u32 v2, s2, 4, v15
	v_cmp_ge_i64_e64 s2, s[28:29], s[26:27]
	v_mov_b32_e32 v1, v3
	s_mov_b32 s37, s36
	v_dual_mov_b32 v7, v3 :: v_dual_mov_b32 v4, s36
	v_add_nc_u32_e32 v0, 8, v2
	s_delay_alu instid0(VALU_DEP_4) | instskip(SKIP_2) | instid1(VALU_DEP_3)
	s_and_b32 vcc_lo, exec_lo, s2
	v_cmp_gt_i64_e64 s3, s[6:7], v[2:3]
	v_mov_b32_e32 v5, s37
	v_cmp_gt_i64_e64 s4, s[6:7], v[0:1]
	s_waitcnt lgkmcnt(0)
	v_cmp_gt_i64_e64 s2, s[30:31], v[6:7]
	s_cbranch_vccnz .LBB80_37
; %bb.10:
	s_clause 0x2
	s_load_b64 s[34:35], s[0:1], 0x0
	s_load_b128 s[16:19], s[0:1], 0x38
	s_load_b128 s[20:23], s[0:1], 0x50
	v_dual_mov_b32 v16, v3 :: v_dual_lshlrev_b32 v23, 3, v15
	v_lshl_add_u32 v4, v6, 3, v15
	s_mul_i32 s5, s30, s31
	s_mul_hi_u32 s25, s30, s30
	s_delay_alu instid0(VALU_DEP_2)
	v_cmp_gt_i64_e32 vcc_lo, s[30:31], v[15:16]
	s_add_i32 s25, s25, s5
	v_lshl_add_u32 v19, v4, 2, 0x200
	s_add_i32 s25, s25, s5
	s_mul_i32 s15, s30, s30
	s_and_b32 s33, s2, vcc_lo
	s_waitcnt lgkmcnt(0)
	s_bitcmp1_b32 s34, 0
	v_mad_u64_u32 v[16:17], null, v6, s30, s[18:19]
	v_mad_u64_u32 v[4:5], null, v15, s30, s[18:19]
	;; [unrolled: 1-line block ×4, first 2 shown]
	s_delay_alu instid0(VALU_DEP_4) | instskip(SKIP_3) | instid1(VALU_DEP_4)
	v_mov_b32_e32 v14, v17
	v_add_co_u32 v10, s5, s20, v6
	v_mad_u64_u32 v[17:18], null, v15, s31, v[5:6]
	v_mov_b32_e32 v5, v13
	v_mad_u64_u32 v[20:21], null, v6, s31, v[14:15]
	s_delay_alu instid0(VALU_DEP_4) | instskip(NEXT) | instid1(VALU_DEP_3)
	v_mad_u64_u32 v[13:14], null, v2, s23, v[9:10]
	v_mad_u64_u32 v[21:22], null, v0, s23, v[5:6]
	v_dual_mov_b32 v5, v17 :: v_dual_lshlrev_b32 v22, 5, v15
	s_delay_alu instid0(VALU_DEP_4) | instskip(SKIP_1) | instid1(VALU_DEP_3)
	v_mov_b32_e32 v9, v20
	v_add_co_u32 v4, vcc_lo, v4, v6
	v_add_nc_u32_e32 v24, 0x100, v22
	v_cmp_gt_i64_e64 s18, s[30:31], 0
	v_add_co_ci_u32_e32 v5, vcc_lo, 0, v5, vcc_lo
	v_add_co_u32 v16, vcc_lo, v16, v15
	v_add_co_ci_u32_e64 v11, null, s21, 0, s5
	s_cselect_b32 s5, -1, 0
	s_cmp_eq_u32 s35, 0
	v_add_co_ci_u32_e32 v14, vcc_lo, 0, v9, vcc_lo
	s_cselect_b32 vcc_lo, -1, 0
	s_and_b32 s38, s3, s18
	s_and_b32 s39, s4, s18
	s_add_u32 s40, s30, -1
	s_addc_u32 s41, s31, -1
	v_dual_mov_b32 v20, v13 :: v_dual_cndmask_b32 v13, v4, v16
	v_cndmask_b32_e32 v14, v5, v14, vcc_lo
	s_and_b32 s18, s30, 7
	s_mov_b32 s19, s36
	v_dual_mov_b32 v4, s36 :: v_dual_mov_b32 v5, s37
	v_cmp_gt_u64_e64 s40, s[40:41], 6
	v_add_lshl_u32 v9, v23, v6, 2
	s_and_b32 s35, s31, 0x7fffffff
	s_and_b32 s34, s30, -8
	v_lshl_add_u32 v23, v6, 5, 0x200
	s_cmp_lg_u64 s[18:19], 0
	s_cselect_b32 s41, -1, 0
	s_branch .LBB80_13
.LBB80_11:                              ;   in Loop: Header=BB80_13 Depth=1
	s_or_b32 exec_lo, exec_lo, s43
.LBB80_12:                              ;   in Loop: Header=BB80_13 Depth=1
	s_delay_alu instid0(SALU_CYCLE_1) | instskip(SKIP_2) | instid1(SALU_CYCLE_1)
	s_or_b32 exec_lo, exec_lo, s42
	s_add_u32 s28, s28, 1
	s_addc_u32 s29, s29, 0
	v_cmp_ge_i64_e64 s36, s[28:29], s[26:27]
	s_barrier
	buffer_gl0_inv
	s_and_b32 vcc_lo, exec_lo, s36
	s_cbranch_vccnz .LBB80_37
.LBB80_13:                              ; =>This Loop Header: Depth=1
                                        ;     Child Loop BB80_24 Depth 2
                                        ;     Child Loop BB80_28 Depth 2
	;; [unrolled: 1-line block ×4, first 2 shown]
	s_and_saveexec_b32 s36, s2
	s_cbranch_execz .LBB80_18
; %bb.14:                               ;   in Loop: Header=BB80_13 Depth=1
	s_lshl_b64 s[42:43], s[28:29], 3
	s_delay_alu instid0(SALU_CYCLE_1)
	s_add_u32 s42, s16, s42
	s_addc_u32 s43, s17, s43
	s_load_b64 s[42:43], s[42:43], 0x0
	s_waitcnt lgkmcnt(0)
	s_sub_u32 s37, s42, s9
	s_subb_u32 s42, s43, 0
	v_mad_u64_u32 v[17:18], null, s37, s30, v[6:7]
	s_mul_i32 s43, s37, s31
	s_mul_i32 s42, s42, s30
	s_delay_alu instid0(SALU_CYCLE_1)
	s_add_i32 s43, s43, s42
	s_delay_alu instid0(VALU_DEP_1) | instid1(SALU_CYCLE_1)
	v_add_nc_u32_e32 v18, s43, v18
	s_delay_alu instid0(VALU_DEP_2) | instskip(SKIP_1) | instid1(VALU_DEP_3)
	v_mul_lo_u32 v25, v17, s23
	v_mad_u64_u32 v[15:16], null, v17, s22, s[20:21]
	v_mul_lo_u32 v26, v18, s22
	v_mad_u64_u32 v[17:18], null, s37, s30, v[10:11]
	s_delay_alu instid0(VALU_DEP_2) | instskip(NEXT) | instid1(VALU_DEP_2)
	v_add3_u32 v16, v26, v16, v25
	v_add_nc_u32_e32 v18, s43, v18
	s_and_saveexec_b32 s37, s3
	s_cbranch_execz .LBB80_16
; %bb.15:                               ;   in Loop: Header=BB80_13 Depth=1
	s_delay_alu instid0(VALU_DEP_3) | instskip(NEXT) | instid1(VALU_DEP_2)
	v_add_co_u32 v25, vcc_lo, v17, v8
	v_add_co_ci_u32_e32 v26, vcc_lo, v18, v20, vcc_lo
	v_add_co_u32 v27, vcc_lo, v15, v2
	v_add_co_ci_u32_e32 v28, vcc_lo, 0, v16, vcc_lo
	s_delay_alu instid0(VALU_DEP_2) | instskip(NEXT) | instid1(VALU_DEP_2)
	v_cndmask_b32_e64 v25, v27, v25, s5
	v_cndmask_b32_e64 v26, v28, v26, s5
	global_load_i8 v25, v[25:26], off
	s_waitcnt vmcnt(0)
	v_cvt_f32_i32_e32 v25, v25
	ds_store_b32 v9, v25
.LBB80_16:                              ;   in Loop: Header=BB80_13 Depth=1
	s_or_b32 exec_lo, exec_lo, s37
	s_delay_alu instid0(SALU_CYCLE_1)
	s_and_b32 exec_lo, exec_lo, s4
	s_cbranch_execz .LBB80_18
; %bb.17:                               ;   in Loop: Header=BB80_13 Depth=1
	v_add_co_u32 v17, vcc_lo, v17, v12
	v_add_co_ci_u32_e32 v18, vcc_lo, v18, v21, vcc_lo
	v_add_co_u32 v15, vcc_lo, v15, v0
	v_add_co_ci_u32_e32 v16, vcc_lo, 0, v16, vcc_lo
	s_delay_alu instid0(VALU_DEP_2) | instskip(NEXT) | instid1(VALU_DEP_2)
	v_cndmask_b32_e64 v15, v15, v17, s5
	v_cndmask_b32_e64 v16, v16, v18, s5
	global_load_i8 v15, v[15:16], off
	s_waitcnt vmcnt(0)
	v_cvt_f32_i32_e32 v15, v15
	ds_store_b32 v9, v15 offset:256
.LBB80_18:                              ;   in Loop: Header=BB80_13 Depth=1
	s_or_b32 exec_lo, exec_lo, s36
	s_and_saveexec_b32 s36, s33
	s_cbranch_execz .LBB80_20
; %bb.19:                               ;   in Loop: Header=BB80_13 Depth=1
	v_mad_u64_u32 v[15:16], null, s15, s28, v[13:14]
	s_mul_i32 s37, s25, s28
	s_mul_i32 s42, s15, s29
	s_delay_alu instid0(VALU_DEP_1) | instid1(SALU_CYCLE_1)
	v_add3_u32 v16, s42, s37, v16
	global_load_i8 v15, v[15:16], off
	s_waitcnt vmcnt(0)
	v_cvt_f32_i32_e32 v15, v15
	ds_store_b32 v19, v15
.LBB80_20:                              ;   in Loop: Header=BB80_13 Depth=1
	s_or_b32 exec_lo, exec_lo, s36
	s_waitcnt lgkmcnt(0)
	s_barrier
	buffer_gl0_inv
	s_and_saveexec_b32 s42, s2
	s_cbranch_execz .LBB80_12
; %bb.21:                               ;   in Loop: Header=BB80_13 Depth=1
	s_and_saveexec_b32 s43, s38
	s_cbranch_execz .LBB80_29
; %bb.22:                               ;   in Loop: Header=BB80_13 Depth=1
	s_and_not1_b32 vcc_lo, exec_lo, s40
	s_cbranch_vccnz .LBB80_26
; %bb.23:                               ;   in Loop: Header=BB80_13 Depth=1
	v_dual_mov_b32 v15, v23 :: v_dual_mov_b32 v16, v22
	s_mov_b64 s[36:37], 0
	.p2align	6
.LBB80_24:                              ;   Parent Loop BB80_13 Depth=1
                                        ; =>  This Inner Loop Header: Depth=2
	ds_load_b128 v[25:28], v16
	ds_load_b128 v[29:32], v15
	ds_load_b128 v[33:36], v15 offset:16
	ds_load_b128 v[37:40], v16 offset:16
	s_add_u32 s36, s36, 8
	v_add_nc_u32_e32 v16, 32, v16
	s_addc_u32 s37, s37, 0
	v_add_nc_u32_e32 v15, 32, v15
	s_cmp_lg_u64 s[34:35], s[36:37]
	s_waitcnt lgkmcnt(2)
	v_fma_f32 v4, v29, v25, v4
	s_delay_alu instid0(VALU_DEP_1) | instskip(NEXT) | instid1(VALU_DEP_1)
	v_fmac_f32_e32 v4, v30, v26
	v_fmac_f32_e32 v4, v31, v27
	s_delay_alu instid0(VALU_DEP_1) | instskip(SKIP_1) | instid1(VALU_DEP_1)
	v_fmac_f32_e32 v4, v32, v28
	s_waitcnt lgkmcnt(0)
	v_fmac_f32_e32 v4, v33, v37
	s_delay_alu instid0(VALU_DEP_1) | instskip(NEXT) | instid1(VALU_DEP_1)
	v_fmac_f32_e32 v4, v34, v38
	v_fmac_f32_e32 v4, v35, v39
	s_delay_alu instid0(VALU_DEP_1)
	v_fmac_f32_e32 v4, v36, v40
	s_cbranch_scc1 .LBB80_24
; %bb.25:                               ;   in Loop: Header=BB80_13 Depth=1
	s_mov_b64 s[36:37], s[34:35]
	s_and_not1_b32 vcc_lo, exec_lo, s41
	s_cbranch_vccz .LBB80_27
	s_branch .LBB80_29
.LBB80_26:                              ;   in Loop: Header=BB80_13 Depth=1
	s_mov_b64 s[36:37], 0
	s_and_not1_b32 vcc_lo, exec_lo, s41
	s_cbranch_vccnz .LBB80_29
.LBB80_27:                              ;   in Loop: Header=BB80_13 Depth=1
	s_lshl_b32 s36, s36, 2
	s_delay_alu instid0(SALU_CYCLE_1)
	v_add_nc_u32_e32 v15, s36, v22
	v_add_nc_u32_e32 v16, s36, v23
	s_mov_b64 s[36:37], s[18:19]
.LBB80_28:                              ;   Parent Loop BB80_13 Depth=1
                                        ; =>  This Inner Loop Header: Depth=2
	ds_load_b32 v17, v16
	ds_load_b32 v18, v15
	v_add_nc_u32_e32 v15, 4, v15
	v_add_nc_u32_e32 v16, 4, v16
	s_add_u32 s36, s36, -1
	s_addc_u32 s37, s37, -1
	s_delay_alu instid0(SALU_CYCLE_1)
	s_cmp_lg_u64 s[36:37], 0
	s_waitcnt lgkmcnt(0)
	v_fma_f32 v4, v17, v18, v4
	s_cbranch_scc1 .LBB80_28
.LBB80_29:                              ;   in Loop: Header=BB80_13 Depth=1
	s_or_b32 exec_lo, exec_lo, s43
	s_and_saveexec_b32 s43, s39
	s_cbranch_execz .LBB80_11
; %bb.30:                               ;   in Loop: Header=BB80_13 Depth=1
	s_and_not1_b32 vcc_lo, exec_lo, s40
	s_cbranch_vccnz .LBB80_34
; %bb.31:                               ;   in Loop: Header=BB80_13 Depth=1
	v_dual_mov_b32 v15, v23 :: v_dual_mov_b32 v16, v24
	s_mov_b64 s[36:37], 0
	.p2align	6
.LBB80_32:                              ;   Parent Loop BB80_13 Depth=1
                                        ; =>  This Inner Loop Header: Depth=2
	ds_load_b128 v[25:28], v16
	ds_load_b128 v[29:32], v15
	ds_load_b128 v[33:36], v15 offset:16
	ds_load_b128 v[37:40], v16 offset:16
	s_add_u32 s36, s36, 8
	v_add_nc_u32_e32 v15, 32, v15
	s_addc_u32 s37, s37, 0
	v_add_nc_u32_e32 v16, 32, v16
	s_cmp_lg_u64 s[34:35], s[36:37]
	s_waitcnt lgkmcnt(2)
	v_fma_f32 v5, v29, v25, v5
	s_delay_alu instid0(VALU_DEP_1) | instskip(NEXT) | instid1(VALU_DEP_1)
	v_fmac_f32_e32 v5, v30, v26
	v_fmac_f32_e32 v5, v31, v27
	s_delay_alu instid0(VALU_DEP_1) | instskip(SKIP_1) | instid1(VALU_DEP_1)
	v_fmac_f32_e32 v5, v32, v28
	s_waitcnt lgkmcnt(0)
	v_fmac_f32_e32 v5, v33, v37
	s_delay_alu instid0(VALU_DEP_1) | instskip(NEXT) | instid1(VALU_DEP_1)
	v_fmac_f32_e32 v5, v34, v38
	v_fmac_f32_e32 v5, v35, v39
	s_delay_alu instid0(VALU_DEP_1)
	v_fmac_f32_e32 v5, v36, v40
	s_cbranch_scc1 .LBB80_32
; %bb.33:                               ;   in Loop: Header=BB80_13 Depth=1
	s_mov_b64 s[36:37], s[34:35]
	s_and_not1_b32 vcc_lo, exec_lo, s41
	s_cbranch_vccz .LBB80_35
	s_branch .LBB80_11
.LBB80_34:                              ;   in Loop: Header=BB80_13 Depth=1
	s_mov_b64 s[36:37], 0
	s_and_not1_b32 vcc_lo, exec_lo, s41
	s_cbranch_vccnz .LBB80_11
.LBB80_35:                              ;   in Loop: Header=BB80_13 Depth=1
	s_lshl_b32 s36, s36, 2
	s_delay_alu instid0(SALU_CYCLE_1)
	v_add_nc_u32_e32 v15, s36, v24
	v_add_nc_u32_e32 v16, s36, v23
	s_mov_b64 s[36:37], s[18:19]
.LBB80_36:                              ;   Parent Loop BB80_13 Depth=1
                                        ; =>  This Inner Loop Header: Depth=2
	ds_load_b32 v17, v16
	ds_load_b32 v18, v15
	v_add_nc_u32_e32 v15, 4, v15
	v_add_nc_u32_e32 v16, 4, v16
	s_add_u32 s36, s36, -1
	s_addc_u32 s37, s37, -1
	s_delay_alu instid0(SALU_CYCLE_1)
	s_cmp_lg_u64 s[36:37], 0
	s_waitcnt lgkmcnt(0)
	v_fma_f32 v5, v17, v18, v5
	s_cbranch_scc1 .LBB80_36
	s_branch .LBB80_11
.LBB80_37:
	s_delay_alu instid0(VALU_DEP_1) | instskip(NEXT) | instid1(SALU_CYCLE_1)
	s_and_b32 s2, s13, s2
	s_and_saveexec_b32 s3, s2
	s_cbranch_execz .LBB80_57
; %bb.38:
	v_mad_u64_u32 v[8:9], null, s14, s30, v[6:7]
	s_load_b64 s[2:3], s[0:1], 0x78
	v_cmp_neq_f32_e64 s4, s24, 0
	s_cmp_lg_u32 s8, 1
	s_cselect_b32 s1, -1, 0
	s_delay_alu instid0(VALU_DEP_2) | instskip(NEXT) | instid1(VALU_DEP_1)
	v_mov_b32_e32 v6, v9
	v_mad_u64_u32 v[9:10], null, s14, s31, v[6:7]
	s_waitcnt lgkmcnt(0)
	v_mul_lo_u32 v10, v8, s3
	v_mad_u64_u32 v[6:7], null, v8, s2, 0
	s_delay_alu instid0(VALU_DEP_3) | instskip(NEXT) | instid1(VALU_DEP_1)
	v_mul_lo_u32 v11, v9, s2
	v_add3_u32 v7, v7, v10, v11
	v_lshlrev_b64 v[10:11], 2, v[8:9]
	s_delay_alu instid0(VALU_DEP_2) | instskip(NEXT) | instid1(VALU_DEP_1)
	v_lshlrev_b64 v[6:7], 2, v[6:7]
	v_add_co_u32 v8, s0, s10, v6
	s_delay_alu instid0(VALU_DEP_1) | instskip(NEXT) | instid1(VALU_DEP_4)
	v_add_co_ci_u32_e64 v9, s0, s11, v7, s0
	v_add_co_u32 v6, s0, s10, v10
	s_delay_alu instid0(VALU_DEP_1)
	v_add_co_ci_u32_e64 v7, s0, s11, v11, s0
	s_mov_b32 s0, exec_lo
	v_cmpx_gt_i64_e64 s[6:7], v[2:3]
	s_cbranch_execz .LBB80_50
; %bb.39:
	s_and_b32 vcc_lo, exec_lo, s4
	s_cbranch_vccz .LBB80_45
; %bb.40:
	s_and_b32 vcc_lo, exec_lo, s1
	s_mov_b32 s5, -1
	s_cbranch_vccz .LBB80_42
; %bb.41:
	v_lshlrev_b64 v[10:11], 2, v[2:3]
	v_mul_f32_e32 v13, s12, v4
	s_mov_b32 s5, 0
	s_delay_alu instid0(VALU_DEP_2) | instskip(NEXT) | instid1(VALU_DEP_3)
	v_add_co_u32 v10, vcc_lo, v8, v10
	v_add_co_ci_u32_e32 v11, vcc_lo, v9, v11, vcc_lo
	global_load_b32 v12, v[10:11], off
	s_waitcnt vmcnt(0)
	v_fmac_f32_e32 v13, s24, v12
	global_store_b32 v[10:11], v13, off
.LBB80_42:
	s_and_not1_b32 vcc_lo, exec_lo, s5
	s_cbranch_vccnz .LBB80_44
; %bb.43:
	v_mad_u64_u32 v[10:11], null, v2, s2, 0
	s_delay_alu instid0(VALU_DEP_1) | instskip(SKIP_1) | instid1(VALU_DEP_2)
	v_mad_u64_u32 v[12:13], null, v2, s3, v[11:12]
	v_mul_f32_e32 v13, s12, v4
	v_mov_b32_e32 v11, v12
	s_delay_alu instid0(VALU_DEP_1) | instskip(NEXT) | instid1(VALU_DEP_1)
	v_lshlrev_b64 v[10:11], 2, v[10:11]
	v_add_co_u32 v10, vcc_lo, v6, v10
	s_delay_alu instid0(VALU_DEP_2)
	v_add_co_ci_u32_e32 v11, vcc_lo, v7, v11, vcc_lo
	global_load_b32 v12, v[10:11], off
	s_waitcnt vmcnt(0)
	v_fmac_f32_e32 v13, s24, v12
	global_store_b32 v[10:11], v13, off
.LBB80_44:
	s_cbranch_execz .LBB80_46
	s_branch .LBB80_50
.LBB80_45:
.LBB80_46:
	v_mul_f32_e32 v4, s12, v4
	s_and_b32 vcc_lo, exec_lo, s1
	s_mov_b32 s5, -1
	s_cbranch_vccz .LBB80_48
; %bb.47:
	v_lshlrev_b64 v[10:11], 2, v[2:3]
	s_mov_b32 s5, 0
	s_delay_alu instid0(VALU_DEP_1) | instskip(NEXT) | instid1(VALU_DEP_2)
	v_add_co_u32 v10, vcc_lo, v8, v10
	v_add_co_ci_u32_e32 v11, vcc_lo, v9, v11, vcc_lo
	global_store_b32 v[10:11], v4, off
.LBB80_48:
	s_and_not1_b32 vcc_lo, exec_lo, s5
	s_cbranch_vccnz .LBB80_50
; %bb.49:
	v_mad_u64_u32 v[10:11], null, v2, s2, 0
	s_delay_alu instid0(VALU_DEP_1) | instskip(NEXT) | instid1(VALU_DEP_1)
	v_mov_b32_e32 v3, v11
	v_mad_u64_u32 v[11:12], null, v2, s3, v[3:4]
	s_delay_alu instid0(VALU_DEP_1) | instskip(NEXT) | instid1(VALU_DEP_1)
	v_lshlrev_b64 v[2:3], 2, v[10:11]
	v_add_co_u32 v2, vcc_lo, v6, v2
	s_delay_alu instid0(VALU_DEP_2)
	v_add_co_ci_u32_e32 v3, vcc_lo, v7, v3, vcc_lo
	global_store_b32 v[2:3], v4, off
.LBB80_50:
	s_or_b32 exec_lo, exec_lo, s0
	v_cmp_gt_i64_e32 vcc_lo, s[6:7], v[0:1]
	s_and_b32 exec_lo, exec_lo, vcc_lo
	s_cbranch_execz .LBB80_57
; %bb.51:
	v_cndmask_b32_e64 v2, 0, 1, s1
	s_and_not1_b32 vcc_lo, exec_lo, s4
	s_delay_alu instid0(VALU_DEP_1)
	v_cmp_ne_u32_e64 s0, 1, v2
	s_cbranch_vccnz .LBB80_58
; %bb.52:
	s_delay_alu instid0(VALU_DEP_1)
	s_and_b32 vcc_lo, exec_lo, s0
	s_mov_b32 s0, -1
	s_cbranch_vccnz .LBB80_54
; %bb.53:
	v_lshlrev_b64 v[2:3], 2, v[0:1]
	v_mul_f32_e32 v10, s12, v5
	s_mov_b32 s0, 0
	s_delay_alu instid0(VALU_DEP_2) | instskip(NEXT) | instid1(VALU_DEP_3)
	v_add_co_u32 v2, vcc_lo, v8, v2
	v_add_co_ci_u32_e32 v3, vcc_lo, v9, v3, vcc_lo
	global_load_b32 v4, v[2:3], off
	s_waitcnt vmcnt(0)
	v_fmac_f32_e32 v10, s24, v4
	global_store_b32 v[2:3], v10, off
.LBB80_54:
	s_and_not1_b32 vcc_lo, exec_lo, s0
	s_cbranch_vccnz .LBB80_56
; %bb.55:
	v_mad_u64_u32 v[2:3], null, v0, s2, 0
	s_delay_alu instid0(VALU_DEP_1) | instskip(NEXT) | instid1(VALU_DEP_1)
	v_mad_u64_u32 v[10:11], null, v0, s3, v[3:4]
	v_dual_mov_b32 v3, v10 :: v_dual_mul_f32 v10, s12, v5
	s_delay_alu instid0(VALU_DEP_1) | instskip(NEXT) | instid1(VALU_DEP_1)
	v_lshlrev_b64 v[2:3], 2, v[2:3]
	v_add_co_u32 v2, vcc_lo, v6, v2
	s_delay_alu instid0(VALU_DEP_2)
	v_add_co_ci_u32_e32 v3, vcc_lo, v7, v3, vcc_lo
	global_load_b32 v4, v[2:3], off
	s_waitcnt vmcnt(0)
	v_fmac_f32_e32 v10, s24, v4
	global_store_b32 v[2:3], v10, off
.LBB80_56:
	s_cbranch_execz .LBB80_59
.LBB80_57:
	s_nop 0
	s_sendmsg sendmsg(MSG_DEALLOC_VGPRS)
	s_endpgm
.LBB80_58:
.LBB80_59:
	v_mul_f32_e32 v2, s12, v5
	s_and_not1_b32 vcc_lo, exec_lo, s1
	s_mov_b32 s0, -1
	s_cbranch_vccnz .LBB80_61
; %bb.60:
	v_lshlrev_b64 v[3:4], 2, v[0:1]
	s_mov_b32 s0, 0
	s_delay_alu instid0(VALU_DEP_1) | instskip(NEXT) | instid1(VALU_DEP_2)
	v_add_co_u32 v3, vcc_lo, v8, v3
	v_add_co_ci_u32_e32 v4, vcc_lo, v9, v4, vcc_lo
	global_store_b32 v[3:4], v2, off
.LBB80_61:
	s_and_not1_b32 vcc_lo, exec_lo, s0
	s_cbranch_vccnz .LBB80_57
; %bb.62:
	v_mad_u64_u32 v[3:4], null, v0, s2, 0
	s_delay_alu instid0(VALU_DEP_1) | instskip(NEXT) | instid1(VALU_DEP_1)
	v_mov_b32_e32 v1, v4
	v_mad_u64_u32 v[4:5], null, v0, s3, v[1:2]
	s_delay_alu instid0(VALU_DEP_1) | instskip(NEXT) | instid1(VALU_DEP_1)
	v_lshlrev_b64 v[0:1], 2, v[3:4]
	v_add_co_u32 v0, vcc_lo, v6, v0
	s_delay_alu instid0(VALU_DEP_2)
	v_add_co_ci_u32_e32 v1, vcc_lo, v7, v1, vcc_lo
	global_store_b32 v[0:1], v2, off
	s_nop 0
	s_sendmsg sendmsg(MSG_DEALLOC_VGPRS)
	s_endpgm
	.section	.rodata,"a",@progbits
	.p2align	6, 0x0
	.amdhsa_kernel _ZN9rocsparseL31bsrmm_large_blockdim_kernel_extILj8ELj8ELj2EllaaffEEvb20rocsparse_direction_T3_S2_llNS_24const_host_device_scalarIT7_EEPKT2_PKS2_PKT4_S2_PKT5_llS5_PT6_ll16rocsparse_order_21rocsparse_index_base_b
		.amdhsa_group_segment_fixed_size 768
		.amdhsa_private_segment_fixed_size 0
		.amdhsa_kernarg_size 148
		.amdhsa_user_sgpr_count 14
		.amdhsa_user_sgpr_dispatch_ptr 0
		.amdhsa_user_sgpr_queue_ptr 0
		.amdhsa_user_sgpr_kernarg_segment_ptr 1
		.amdhsa_user_sgpr_dispatch_id 0
		.amdhsa_user_sgpr_private_segment_size 0
		.amdhsa_wavefront_size32 1
		.amdhsa_uses_dynamic_stack 0
		.amdhsa_enable_private_segment 0
		.amdhsa_system_sgpr_workgroup_id_x 1
		.amdhsa_system_sgpr_workgroup_id_y 1
		.amdhsa_system_sgpr_workgroup_id_z 0
		.amdhsa_system_sgpr_workgroup_info 0
		.amdhsa_system_vgpr_workitem_id 1
		.amdhsa_next_free_vgpr 41
		.amdhsa_next_free_sgpr 44
		.amdhsa_reserve_vcc 1
		.amdhsa_float_round_mode_32 0
		.amdhsa_float_round_mode_16_64 0
		.amdhsa_float_denorm_mode_32 3
		.amdhsa_float_denorm_mode_16_64 3
		.amdhsa_dx10_clamp 1
		.amdhsa_ieee_mode 1
		.amdhsa_fp16_overflow 0
		.amdhsa_workgroup_processor_mode 1
		.amdhsa_memory_ordered 1
		.amdhsa_forward_progress 0
		.amdhsa_shared_vgpr_count 0
		.amdhsa_exception_fp_ieee_invalid_op 0
		.amdhsa_exception_fp_denorm_src 0
		.amdhsa_exception_fp_ieee_div_zero 0
		.amdhsa_exception_fp_ieee_overflow 0
		.amdhsa_exception_fp_ieee_underflow 0
		.amdhsa_exception_fp_ieee_inexact 0
		.amdhsa_exception_int_div_zero 0
	.end_amdhsa_kernel
	.section	.text._ZN9rocsparseL31bsrmm_large_blockdim_kernel_extILj8ELj8ELj2EllaaffEEvb20rocsparse_direction_T3_S2_llNS_24const_host_device_scalarIT7_EEPKT2_PKS2_PKT4_S2_PKT5_llS5_PT6_ll16rocsparse_order_21rocsparse_index_base_b,"axG",@progbits,_ZN9rocsparseL31bsrmm_large_blockdim_kernel_extILj8ELj8ELj2EllaaffEEvb20rocsparse_direction_T3_S2_llNS_24const_host_device_scalarIT7_EEPKT2_PKS2_PKT4_S2_PKT5_llS5_PT6_ll16rocsparse_order_21rocsparse_index_base_b,comdat
.Lfunc_end80:
	.size	_ZN9rocsparseL31bsrmm_large_blockdim_kernel_extILj8ELj8ELj2EllaaffEEvb20rocsparse_direction_T3_S2_llNS_24const_host_device_scalarIT7_EEPKT2_PKS2_PKT4_S2_PKT5_llS5_PT6_ll16rocsparse_order_21rocsparse_index_base_b, .Lfunc_end80-_ZN9rocsparseL31bsrmm_large_blockdim_kernel_extILj8ELj8ELj2EllaaffEEvb20rocsparse_direction_T3_S2_llNS_24const_host_device_scalarIT7_EEPKT2_PKS2_PKT4_S2_PKT5_llS5_PT6_ll16rocsparse_order_21rocsparse_index_base_b
                                        ; -- End function
	.section	.AMDGPU.csdata,"",@progbits
; Kernel info:
; codeLenInByte = 2512
; NumSgprs: 46
; NumVgprs: 41
; ScratchSize: 0
; MemoryBound: 0
; FloatMode: 240
; IeeeMode: 1
; LDSByteSize: 768 bytes/workgroup (compile time only)
; SGPRBlocks: 5
; VGPRBlocks: 5
; NumSGPRsForWavesPerEU: 46
; NumVGPRsForWavesPerEU: 41
; Occupancy: 16
; WaveLimiterHint : 1
; COMPUTE_PGM_RSRC2:SCRATCH_EN: 0
; COMPUTE_PGM_RSRC2:USER_SGPR: 14
; COMPUTE_PGM_RSRC2:TRAP_HANDLER: 0
; COMPUTE_PGM_RSRC2:TGID_X_EN: 1
; COMPUTE_PGM_RSRC2:TGID_Y_EN: 1
; COMPUTE_PGM_RSRC2:TGID_Z_EN: 0
; COMPUTE_PGM_RSRC2:TIDIG_COMP_CNT: 1
	.section	.text._ZN9rocsparseL31bsrmm_large_blockdim_kernel_extILj4ELj16ELj2EllaaffEEvb20rocsparse_direction_T3_S2_llNS_24const_host_device_scalarIT7_EEPKT2_PKS2_PKT4_S2_PKT5_llS5_PT6_ll16rocsparse_order_21rocsparse_index_base_b,"axG",@progbits,_ZN9rocsparseL31bsrmm_large_blockdim_kernel_extILj4ELj16ELj2EllaaffEEvb20rocsparse_direction_T3_S2_llNS_24const_host_device_scalarIT7_EEPKT2_PKS2_PKT4_S2_PKT5_llS5_PT6_ll16rocsparse_order_21rocsparse_index_base_b,comdat
	.globl	_ZN9rocsparseL31bsrmm_large_blockdim_kernel_extILj4ELj16ELj2EllaaffEEvb20rocsparse_direction_T3_S2_llNS_24const_host_device_scalarIT7_EEPKT2_PKS2_PKT4_S2_PKT5_llS5_PT6_ll16rocsparse_order_21rocsparse_index_base_b ; -- Begin function _ZN9rocsparseL31bsrmm_large_blockdim_kernel_extILj4ELj16ELj2EllaaffEEvb20rocsparse_direction_T3_S2_llNS_24const_host_device_scalarIT7_EEPKT2_PKS2_PKT4_S2_PKT5_llS5_PT6_ll16rocsparse_order_21rocsparse_index_base_b
	.p2align	8
	.type	_ZN9rocsparseL31bsrmm_large_blockdim_kernel_extILj4ELj16ELj2EllaaffEEvb20rocsparse_direction_T3_S2_llNS_24const_host_device_scalarIT7_EEPKT2_PKS2_PKT4_S2_PKT5_llS5_PT6_ll16rocsparse_order_21rocsparse_index_base_b,@function
_ZN9rocsparseL31bsrmm_large_blockdim_kernel_extILj4ELj16ELj2EllaaffEEvb20rocsparse_direction_T3_S2_llNS_24const_host_device_scalarIT7_EEPKT2_PKS2_PKT4_S2_PKT5_llS5_PT6_ll16rocsparse_order_21rocsparse_index_base_b: ; @_ZN9rocsparseL31bsrmm_large_blockdim_kernel_extILj4ELj16ELj2EllaaffEEvb20rocsparse_direction_T3_S2_llNS_24const_host_device_scalarIT7_EEPKT2_PKS2_PKT4_S2_PKT5_llS5_PT6_ll16rocsparse_order_21rocsparse_index_base_b
; %bb.0:
	s_clause 0x2
	s_load_b128 s[8:11], s[0:1], 0x88
	s_load_b64 s[12:13], s[0:1], 0x28
	s_load_b64 s[24:25], s[0:1], 0x68
	s_mov_b32 s2, s15
	s_waitcnt lgkmcnt(0)
	s_bitcmp1_b32 s10, 0
	s_cselect_b32 s3, -1, 0
	s_delay_alu instid0(SALU_CYCLE_1)
	s_and_b32 vcc_lo, exec_lo, s3
	s_xor_b32 s3, s3, -1
	s_cbranch_vccnz .LBB81_2
; %bb.1:
	s_load_b32 s12, s[12:13], 0x0
.LBB81_2:
	s_and_not1_b32 vcc_lo, exec_lo, s3
	s_cbranch_vccnz .LBB81_4
; %bb.3:
	s_load_b32 s24, s[24:25], 0x0
.LBB81_4:
	s_waitcnt lgkmcnt(0)
	v_cmp_eq_f32_e64 s3, s12, 0
	v_cmp_eq_f32_e64 s4, s24, 1.0
	s_delay_alu instid0(VALU_DEP_1) | instskip(NEXT) | instid1(SALU_CYCLE_1)
	s_and_b32 s3, s3, s4
	s_and_b32 vcc_lo, exec_lo, s3
	s_cbranch_vccnz .LBB81_57
; %bb.5:
	s_clause 0x1
	s_load_b128 s[4:7], s[0:1], 0x8
	s_load_b64 s[10:11], s[0:1], 0x30
	s_ashr_i32 s15, s14, 31
	s_mov_b64 s[26:27], 0
	s_mov_b64 s[28:29], 0
	s_waitcnt lgkmcnt(0)
	v_cmp_ge_i64_e64 s3, s[14:15], s[4:5]
	v_cmp_lt_i64_e64 s13, s[14:15], s[4:5]
	s_delay_alu instid0(VALU_DEP_2)
	s_and_b32 vcc_lo, exec_lo, s3
	s_cbranch_vccnz .LBB81_7
; %bb.6:
	s_lshl_b64 s[4:5], s[14:15], 3
	s_delay_alu instid0(SALU_CYCLE_1)
	s_add_u32 s4, s10, s4
	s_addc_u32 s5, s11, s5
	s_load_b64 s[4:5], s[4:5], 0x0
	s_waitcnt lgkmcnt(0)
	s_sub_u32 s28, s4, s9
	s_subb_u32 s29, s5, 0
.LBB81_7:
	s_delay_alu instid0(VALU_DEP_1)
	s_and_not1_b32 vcc_lo, exec_lo, s13
	s_cbranch_vccnz .LBB81_9
; %bb.8:
	s_lshl_b64 s[4:5], s[14:15], 3
	s_delay_alu instid0(SALU_CYCLE_1)
	s_add_u32 s4, s10, s4
	s_addc_u32 s5, s11, s5
	s_load_b64 s[4:5], s[4:5], 0x8
	s_waitcnt lgkmcnt(0)
	s_sub_u32 s26, s4, s9
	s_subb_u32 s27, s5, 0
.LBB81_9:
	s_clause 0x1
	s_load_b64 s[30:31], s[0:1], 0x48
	s_load_b64 s[10:11], s[0:1], 0x70
	v_bfe_u32 v15, v0, 10, 10
	v_dual_mov_b32 v3, 0 :: v_dual_and_b32 v6, 0x3ff, v0
	s_mov_b32 s36, 0
	s_delay_alu instid0(VALU_DEP_2) | instskip(SKIP_1) | instid1(VALU_DEP_3)
	v_lshl_add_u32 v2, s2, 5, v15
	v_cmp_ge_i64_e64 s2, s[28:29], s[26:27]
	v_mov_b32_e32 v1, v3
	s_mov_b32 s37, s36
	v_dual_mov_b32 v7, v3 :: v_dual_mov_b32 v4, s36
	v_add_nc_u32_e32 v0, 16, v2
	s_delay_alu instid0(VALU_DEP_4) | instskip(SKIP_2) | instid1(VALU_DEP_3)
	s_and_b32 vcc_lo, exec_lo, s2
	v_cmp_gt_i64_e64 s3, s[6:7], v[2:3]
	v_mov_b32_e32 v5, s37
	v_cmp_gt_i64_e64 s4, s[6:7], v[0:1]
	s_waitcnt lgkmcnt(0)
	v_cmp_gt_i64_e64 s2, s[30:31], v[6:7]
	s_cbranch_vccnz .LBB81_37
; %bb.10:
	s_clause 0x2
	s_load_b64 s[34:35], s[0:1], 0x0
	s_load_b128 s[16:19], s[0:1], 0x38
	s_load_b128 s[20:23], s[0:1], 0x50
	v_dual_mov_b32 v16, v3 :: v_dual_lshlrev_b32 v23, 2, v15
	v_lshl_add_u32 v4, v6, 2, v15
	s_mul_i32 s5, s30, s31
	s_mul_hi_u32 s25, s30, s30
	s_delay_alu instid0(VALU_DEP_2)
	v_cmp_gt_i64_e32 vcc_lo, s[30:31], v[15:16]
	s_add_i32 s25, s25, s5
	v_lshl_add_u32 v19, v4, 2, 0x200
	s_add_i32 s25, s25, s5
	s_mul_i32 s15, s30, s30
	s_and_b32 s33, s2, vcc_lo
	s_waitcnt lgkmcnt(0)
	s_bitcmp1_b32 s34, 0
	v_mad_u64_u32 v[16:17], null, v6, s30, s[18:19]
	v_mad_u64_u32 v[4:5], null, v15, s30, s[18:19]
	;; [unrolled: 1-line block ×4, first 2 shown]
	s_delay_alu instid0(VALU_DEP_4) | instskip(SKIP_3) | instid1(VALU_DEP_4)
	v_mov_b32_e32 v14, v17
	v_add_co_u32 v10, s5, s20, v6
	v_mad_u64_u32 v[17:18], null, v15, s31, v[5:6]
	v_mov_b32_e32 v5, v13
	v_mad_u64_u32 v[20:21], null, v6, s31, v[14:15]
	s_delay_alu instid0(VALU_DEP_4) | instskip(NEXT) | instid1(VALU_DEP_3)
	v_mad_u64_u32 v[13:14], null, v2, s23, v[9:10]
	v_mad_u64_u32 v[21:22], null, v0, s23, v[5:6]
	v_dual_mov_b32 v5, v17 :: v_dual_lshlrev_b32 v22, 4, v15
	s_delay_alu instid0(VALU_DEP_4) | instskip(SKIP_1) | instid1(VALU_DEP_3)
	v_mov_b32_e32 v9, v20
	v_add_co_u32 v4, vcc_lo, v4, v6
	v_add_nc_u32_e32 v24, 0x100, v22
	v_cmp_gt_i64_e64 s18, s[30:31], 0
	v_add_co_ci_u32_e32 v5, vcc_lo, 0, v5, vcc_lo
	v_add_co_u32 v16, vcc_lo, v16, v15
	v_add_co_ci_u32_e64 v11, null, s21, 0, s5
	s_cselect_b32 s5, -1, 0
	s_cmp_eq_u32 s35, 0
	v_add_co_ci_u32_e32 v14, vcc_lo, 0, v9, vcc_lo
	s_cselect_b32 vcc_lo, -1, 0
	s_and_b32 s38, s3, s18
	s_and_b32 s39, s4, s18
	s_add_u32 s40, s30, -1
	s_addc_u32 s41, s31, -1
	v_dual_mov_b32 v20, v13 :: v_dual_cndmask_b32 v13, v4, v16
	v_cndmask_b32_e32 v14, v5, v14, vcc_lo
	s_and_b32 s18, s30, 7
	s_mov_b32 s19, s36
	v_dual_mov_b32 v4, s36 :: v_dual_mov_b32 v5, s37
	v_cmp_gt_u64_e64 s40, s[40:41], 6
	v_add_lshl_u32 v9, v23, v6, 2
	s_and_b32 s35, s31, 0x7fffffff
	s_and_b32 s34, s30, -8
	v_lshl_add_u32 v23, v6, 4, 0x200
	s_cmp_lg_u64 s[18:19], 0
	s_cselect_b32 s41, -1, 0
	s_branch .LBB81_13
.LBB81_11:                              ;   in Loop: Header=BB81_13 Depth=1
	s_or_b32 exec_lo, exec_lo, s43
.LBB81_12:                              ;   in Loop: Header=BB81_13 Depth=1
	s_delay_alu instid0(SALU_CYCLE_1) | instskip(SKIP_2) | instid1(SALU_CYCLE_1)
	s_or_b32 exec_lo, exec_lo, s42
	s_add_u32 s28, s28, 1
	s_addc_u32 s29, s29, 0
	v_cmp_ge_i64_e64 s36, s[28:29], s[26:27]
	s_barrier
	buffer_gl0_inv
	s_and_b32 vcc_lo, exec_lo, s36
	s_cbranch_vccnz .LBB81_37
.LBB81_13:                              ; =>This Loop Header: Depth=1
                                        ;     Child Loop BB81_24 Depth 2
                                        ;     Child Loop BB81_28 Depth 2
	;; [unrolled: 1-line block ×4, first 2 shown]
	s_and_saveexec_b32 s36, s2
	s_cbranch_execz .LBB81_18
; %bb.14:                               ;   in Loop: Header=BB81_13 Depth=1
	s_lshl_b64 s[42:43], s[28:29], 3
	s_delay_alu instid0(SALU_CYCLE_1)
	s_add_u32 s42, s16, s42
	s_addc_u32 s43, s17, s43
	s_load_b64 s[42:43], s[42:43], 0x0
	s_waitcnt lgkmcnt(0)
	s_sub_u32 s37, s42, s9
	s_subb_u32 s42, s43, 0
	v_mad_u64_u32 v[17:18], null, s37, s30, v[6:7]
	s_mul_i32 s43, s37, s31
	s_mul_i32 s42, s42, s30
	s_delay_alu instid0(SALU_CYCLE_1)
	s_add_i32 s43, s43, s42
	s_delay_alu instid0(VALU_DEP_1) | instid1(SALU_CYCLE_1)
	v_add_nc_u32_e32 v18, s43, v18
	s_delay_alu instid0(VALU_DEP_2) | instskip(SKIP_1) | instid1(VALU_DEP_3)
	v_mul_lo_u32 v25, v17, s23
	v_mad_u64_u32 v[15:16], null, v17, s22, s[20:21]
	v_mul_lo_u32 v26, v18, s22
	v_mad_u64_u32 v[17:18], null, s37, s30, v[10:11]
	s_delay_alu instid0(VALU_DEP_2) | instskip(NEXT) | instid1(VALU_DEP_2)
	v_add3_u32 v16, v26, v16, v25
	v_add_nc_u32_e32 v18, s43, v18
	s_and_saveexec_b32 s37, s3
	s_cbranch_execz .LBB81_16
; %bb.15:                               ;   in Loop: Header=BB81_13 Depth=1
	s_delay_alu instid0(VALU_DEP_3) | instskip(NEXT) | instid1(VALU_DEP_2)
	v_add_co_u32 v25, vcc_lo, v17, v8
	v_add_co_ci_u32_e32 v26, vcc_lo, v18, v20, vcc_lo
	v_add_co_u32 v27, vcc_lo, v15, v2
	v_add_co_ci_u32_e32 v28, vcc_lo, 0, v16, vcc_lo
	s_delay_alu instid0(VALU_DEP_2) | instskip(NEXT) | instid1(VALU_DEP_2)
	v_cndmask_b32_e64 v25, v27, v25, s5
	v_cndmask_b32_e64 v26, v28, v26, s5
	global_load_i8 v25, v[25:26], off
	s_waitcnt vmcnt(0)
	v_cvt_f32_i32_e32 v25, v25
	ds_store_b32 v9, v25
.LBB81_16:                              ;   in Loop: Header=BB81_13 Depth=1
	s_or_b32 exec_lo, exec_lo, s37
	s_delay_alu instid0(SALU_CYCLE_1)
	s_and_b32 exec_lo, exec_lo, s4
	s_cbranch_execz .LBB81_18
; %bb.17:                               ;   in Loop: Header=BB81_13 Depth=1
	v_add_co_u32 v17, vcc_lo, v17, v12
	v_add_co_ci_u32_e32 v18, vcc_lo, v18, v21, vcc_lo
	v_add_co_u32 v15, vcc_lo, v15, v0
	v_add_co_ci_u32_e32 v16, vcc_lo, 0, v16, vcc_lo
	s_delay_alu instid0(VALU_DEP_2) | instskip(NEXT) | instid1(VALU_DEP_2)
	v_cndmask_b32_e64 v15, v15, v17, s5
	v_cndmask_b32_e64 v16, v16, v18, s5
	global_load_i8 v15, v[15:16], off
	s_waitcnt vmcnt(0)
	v_cvt_f32_i32_e32 v15, v15
	ds_store_b32 v9, v15 offset:256
.LBB81_18:                              ;   in Loop: Header=BB81_13 Depth=1
	s_or_b32 exec_lo, exec_lo, s36
	s_and_saveexec_b32 s36, s33
	s_cbranch_execz .LBB81_20
; %bb.19:                               ;   in Loop: Header=BB81_13 Depth=1
	v_mad_u64_u32 v[15:16], null, s15, s28, v[13:14]
	s_mul_i32 s37, s25, s28
	s_mul_i32 s42, s15, s29
	s_delay_alu instid0(VALU_DEP_1) | instid1(SALU_CYCLE_1)
	v_add3_u32 v16, s42, s37, v16
	global_load_i8 v15, v[15:16], off
	s_waitcnt vmcnt(0)
	v_cvt_f32_i32_e32 v15, v15
	ds_store_b32 v19, v15
.LBB81_20:                              ;   in Loop: Header=BB81_13 Depth=1
	s_or_b32 exec_lo, exec_lo, s36
	s_waitcnt lgkmcnt(0)
	s_barrier
	buffer_gl0_inv
	s_and_saveexec_b32 s42, s2
	s_cbranch_execz .LBB81_12
; %bb.21:                               ;   in Loop: Header=BB81_13 Depth=1
	s_and_saveexec_b32 s43, s38
	s_cbranch_execz .LBB81_29
; %bb.22:                               ;   in Loop: Header=BB81_13 Depth=1
	s_and_not1_b32 vcc_lo, exec_lo, s40
	s_cbranch_vccnz .LBB81_26
; %bb.23:                               ;   in Loop: Header=BB81_13 Depth=1
	v_dual_mov_b32 v15, v23 :: v_dual_mov_b32 v16, v22
	s_mov_b64 s[36:37], 0
	.p2align	6
.LBB81_24:                              ;   Parent Loop BB81_13 Depth=1
                                        ; =>  This Inner Loop Header: Depth=2
	ds_load_b128 v[25:28], v16
	ds_load_b128 v[29:32], v15
	ds_load_b128 v[33:36], v15 offset:16
	ds_load_b128 v[37:40], v16 offset:16
	s_add_u32 s36, s36, 8
	v_add_nc_u32_e32 v16, 32, v16
	s_addc_u32 s37, s37, 0
	v_add_nc_u32_e32 v15, 32, v15
	s_cmp_lg_u64 s[34:35], s[36:37]
	s_waitcnt lgkmcnt(2)
	v_fma_f32 v4, v29, v25, v4
	s_delay_alu instid0(VALU_DEP_1) | instskip(NEXT) | instid1(VALU_DEP_1)
	v_fmac_f32_e32 v4, v30, v26
	v_fmac_f32_e32 v4, v31, v27
	s_delay_alu instid0(VALU_DEP_1) | instskip(SKIP_1) | instid1(VALU_DEP_1)
	v_fmac_f32_e32 v4, v32, v28
	s_waitcnt lgkmcnt(0)
	v_fmac_f32_e32 v4, v33, v37
	s_delay_alu instid0(VALU_DEP_1) | instskip(NEXT) | instid1(VALU_DEP_1)
	v_fmac_f32_e32 v4, v34, v38
	v_fmac_f32_e32 v4, v35, v39
	s_delay_alu instid0(VALU_DEP_1)
	v_fmac_f32_e32 v4, v36, v40
	s_cbranch_scc1 .LBB81_24
; %bb.25:                               ;   in Loop: Header=BB81_13 Depth=1
	s_mov_b64 s[36:37], s[34:35]
	s_and_not1_b32 vcc_lo, exec_lo, s41
	s_cbranch_vccz .LBB81_27
	s_branch .LBB81_29
.LBB81_26:                              ;   in Loop: Header=BB81_13 Depth=1
	s_mov_b64 s[36:37], 0
	s_and_not1_b32 vcc_lo, exec_lo, s41
	s_cbranch_vccnz .LBB81_29
.LBB81_27:                              ;   in Loop: Header=BB81_13 Depth=1
	s_lshl_b32 s36, s36, 2
	s_delay_alu instid0(SALU_CYCLE_1)
	v_add_nc_u32_e32 v15, s36, v22
	v_add_nc_u32_e32 v16, s36, v23
	s_mov_b64 s[36:37], s[18:19]
.LBB81_28:                              ;   Parent Loop BB81_13 Depth=1
                                        ; =>  This Inner Loop Header: Depth=2
	ds_load_b32 v17, v16
	ds_load_b32 v18, v15
	v_add_nc_u32_e32 v15, 4, v15
	v_add_nc_u32_e32 v16, 4, v16
	s_add_u32 s36, s36, -1
	s_addc_u32 s37, s37, -1
	s_delay_alu instid0(SALU_CYCLE_1)
	s_cmp_lg_u64 s[36:37], 0
	s_waitcnt lgkmcnt(0)
	v_fma_f32 v4, v17, v18, v4
	s_cbranch_scc1 .LBB81_28
.LBB81_29:                              ;   in Loop: Header=BB81_13 Depth=1
	s_or_b32 exec_lo, exec_lo, s43
	s_and_saveexec_b32 s43, s39
	s_cbranch_execz .LBB81_11
; %bb.30:                               ;   in Loop: Header=BB81_13 Depth=1
	s_and_not1_b32 vcc_lo, exec_lo, s40
	s_cbranch_vccnz .LBB81_34
; %bb.31:                               ;   in Loop: Header=BB81_13 Depth=1
	v_dual_mov_b32 v15, v23 :: v_dual_mov_b32 v16, v24
	s_mov_b64 s[36:37], 0
	.p2align	6
.LBB81_32:                              ;   Parent Loop BB81_13 Depth=1
                                        ; =>  This Inner Loop Header: Depth=2
	ds_load_b128 v[25:28], v16
	ds_load_b128 v[29:32], v15
	ds_load_b128 v[33:36], v15 offset:16
	ds_load_b128 v[37:40], v16 offset:16
	s_add_u32 s36, s36, 8
	v_add_nc_u32_e32 v15, 32, v15
	s_addc_u32 s37, s37, 0
	v_add_nc_u32_e32 v16, 32, v16
	s_cmp_lg_u64 s[34:35], s[36:37]
	s_waitcnt lgkmcnt(2)
	v_fma_f32 v5, v29, v25, v5
	s_delay_alu instid0(VALU_DEP_1) | instskip(NEXT) | instid1(VALU_DEP_1)
	v_fmac_f32_e32 v5, v30, v26
	v_fmac_f32_e32 v5, v31, v27
	s_delay_alu instid0(VALU_DEP_1) | instskip(SKIP_1) | instid1(VALU_DEP_1)
	v_fmac_f32_e32 v5, v32, v28
	s_waitcnt lgkmcnt(0)
	v_fmac_f32_e32 v5, v33, v37
	s_delay_alu instid0(VALU_DEP_1) | instskip(NEXT) | instid1(VALU_DEP_1)
	v_fmac_f32_e32 v5, v34, v38
	v_fmac_f32_e32 v5, v35, v39
	s_delay_alu instid0(VALU_DEP_1)
	v_fmac_f32_e32 v5, v36, v40
	s_cbranch_scc1 .LBB81_32
; %bb.33:                               ;   in Loop: Header=BB81_13 Depth=1
	s_mov_b64 s[36:37], s[34:35]
	s_and_not1_b32 vcc_lo, exec_lo, s41
	s_cbranch_vccz .LBB81_35
	s_branch .LBB81_11
.LBB81_34:                              ;   in Loop: Header=BB81_13 Depth=1
	s_mov_b64 s[36:37], 0
	s_and_not1_b32 vcc_lo, exec_lo, s41
	s_cbranch_vccnz .LBB81_11
.LBB81_35:                              ;   in Loop: Header=BB81_13 Depth=1
	s_lshl_b32 s36, s36, 2
	s_delay_alu instid0(SALU_CYCLE_1)
	v_add_nc_u32_e32 v15, s36, v24
	v_add_nc_u32_e32 v16, s36, v23
	s_mov_b64 s[36:37], s[18:19]
.LBB81_36:                              ;   Parent Loop BB81_13 Depth=1
                                        ; =>  This Inner Loop Header: Depth=2
	ds_load_b32 v17, v16
	ds_load_b32 v18, v15
	v_add_nc_u32_e32 v15, 4, v15
	v_add_nc_u32_e32 v16, 4, v16
	s_add_u32 s36, s36, -1
	s_addc_u32 s37, s37, -1
	s_delay_alu instid0(SALU_CYCLE_1)
	s_cmp_lg_u64 s[36:37], 0
	s_waitcnt lgkmcnt(0)
	v_fma_f32 v5, v17, v18, v5
	s_cbranch_scc1 .LBB81_36
	s_branch .LBB81_11
.LBB81_37:
	s_delay_alu instid0(VALU_DEP_1) | instskip(NEXT) | instid1(SALU_CYCLE_1)
	s_and_b32 s2, s13, s2
	s_and_saveexec_b32 s3, s2
	s_cbranch_execz .LBB81_57
; %bb.38:
	v_mad_u64_u32 v[8:9], null, s14, s30, v[6:7]
	s_load_b64 s[2:3], s[0:1], 0x78
	v_cmp_neq_f32_e64 s4, s24, 0
	s_cmp_lg_u32 s8, 1
	s_cselect_b32 s1, -1, 0
	s_delay_alu instid0(VALU_DEP_2) | instskip(NEXT) | instid1(VALU_DEP_1)
	v_mov_b32_e32 v6, v9
	v_mad_u64_u32 v[9:10], null, s14, s31, v[6:7]
	s_waitcnt lgkmcnt(0)
	v_mul_lo_u32 v10, v8, s3
	v_mad_u64_u32 v[6:7], null, v8, s2, 0
	s_delay_alu instid0(VALU_DEP_3) | instskip(NEXT) | instid1(VALU_DEP_1)
	v_mul_lo_u32 v11, v9, s2
	v_add3_u32 v7, v7, v10, v11
	v_lshlrev_b64 v[10:11], 2, v[8:9]
	s_delay_alu instid0(VALU_DEP_2) | instskip(NEXT) | instid1(VALU_DEP_1)
	v_lshlrev_b64 v[6:7], 2, v[6:7]
	v_add_co_u32 v8, s0, s10, v6
	s_delay_alu instid0(VALU_DEP_1) | instskip(NEXT) | instid1(VALU_DEP_4)
	v_add_co_ci_u32_e64 v9, s0, s11, v7, s0
	v_add_co_u32 v6, s0, s10, v10
	s_delay_alu instid0(VALU_DEP_1)
	v_add_co_ci_u32_e64 v7, s0, s11, v11, s0
	s_mov_b32 s0, exec_lo
	v_cmpx_gt_i64_e64 s[6:7], v[2:3]
	s_cbranch_execz .LBB81_50
; %bb.39:
	s_and_b32 vcc_lo, exec_lo, s4
	s_cbranch_vccz .LBB81_45
; %bb.40:
	s_and_b32 vcc_lo, exec_lo, s1
	s_mov_b32 s5, -1
	s_cbranch_vccz .LBB81_42
; %bb.41:
	v_lshlrev_b64 v[10:11], 2, v[2:3]
	v_mul_f32_e32 v13, s12, v4
	s_mov_b32 s5, 0
	s_delay_alu instid0(VALU_DEP_2) | instskip(NEXT) | instid1(VALU_DEP_3)
	v_add_co_u32 v10, vcc_lo, v8, v10
	v_add_co_ci_u32_e32 v11, vcc_lo, v9, v11, vcc_lo
	global_load_b32 v12, v[10:11], off
	s_waitcnt vmcnt(0)
	v_fmac_f32_e32 v13, s24, v12
	global_store_b32 v[10:11], v13, off
.LBB81_42:
	s_and_not1_b32 vcc_lo, exec_lo, s5
	s_cbranch_vccnz .LBB81_44
; %bb.43:
	v_mad_u64_u32 v[10:11], null, v2, s2, 0
	s_delay_alu instid0(VALU_DEP_1) | instskip(SKIP_1) | instid1(VALU_DEP_2)
	v_mad_u64_u32 v[12:13], null, v2, s3, v[11:12]
	v_mul_f32_e32 v13, s12, v4
	v_mov_b32_e32 v11, v12
	s_delay_alu instid0(VALU_DEP_1) | instskip(NEXT) | instid1(VALU_DEP_1)
	v_lshlrev_b64 v[10:11], 2, v[10:11]
	v_add_co_u32 v10, vcc_lo, v6, v10
	s_delay_alu instid0(VALU_DEP_2)
	v_add_co_ci_u32_e32 v11, vcc_lo, v7, v11, vcc_lo
	global_load_b32 v12, v[10:11], off
	s_waitcnt vmcnt(0)
	v_fmac_f32_e32 v13, s24, v12
	global_store_b32 v[10:11], v13, off
.LBB81_44:
	s_cbranch_execz .LBB81_46
	s_branch .LBB81_50
.LBB81_45:
.LBB81_46:
	v_mul_f32_e32 v4, s12, v4
	s_and_b32 vcc_lo, exec_lo, s1
	s_mov_b32 s5, -1
	s_cbranch_vccz .LBB81_48
; %bb.47:
	v_lshlrev_b64 v[10:11], 2, v[2:3]
	s_mov_b32 s5, 0
	s_delay_alu instid0(VALU_DEP_1) | instskip(NEXT) | instid1(VALU_DEP_2)
	v_add_co_u32 v10, vcc_lo, v8, v10
	v_add_co_ci_u32_e32 v11, vcc_lo, v9, v11, vcc_lo
	global_store_b32 v[10:11], v4, off
.LBB81_48:
	s_and_not1_b32 vcc_lo, exec_lo, s5
	s_cbranch_vccnz .LBB81_50
; %bb.49:
	v_mad_u64_u32 v[10:11], null, v2, s2, 0
	s_delay_alu instid0(VALU_DEP_1) | instskip(NEXT) | instid1(VALU_DEP_1)
	v_mov_b32_e32 v3, v11
	v_mad_u64_u32 v[11:12], null, v2, s3, v[3:4]
	s_delay_alu instid0(VALU_DEP_1) | instskip(NEXT) | instid1(VALU_DEP_1)
	v_lshlrev_b64 v[2:3], 2, v[10:11]
	v_add_co_u32 v2, vcc_lo, v6, v2
	s_delay_alu instid0(VALU_DEP_2)
	v_add_co_ci_u32_e32 v3, vcc_lo, v7, v3, vcc_lo
	global_store_b32 v[2:3], v4, off
.LBB81_50:
	s_or_b32 exec_lo, exec_lo, s0
	v_cmp_gt_i64_e32 vcc_lo, s[6:7], v[0:1]
	s_and_b32 exec_lo, exec_lo, vcc_lo
	s_cbranch_execz .LBB81_57
; %bb.51:
	v_cndmask_b32_e64 v2, 0, 1, s1
	s_and_not1_b32 vcc_lo, exec_lo, s4
	s_delay_alu instid0(VALU_DEP_1)
	v_cmp_ne_u32_e64 s0, 1, v2
	s_cbranch_vccnz .LBB81_58
; %bb.52:
	s_delay_alu instid0(VALU_DEP_1)
	s_and_b32 vcc_lo, exec_lo, s0
	s_mov_b32 s0, -1
	s_cbranch_vccnz .LBB81_54
; %bb.53:
	v_lshlrev_b64 v[2:3], 2, v[0:1]
	v_mul_f32_e32 v10, s12, v5
	s_mov_b32 s0, 0
	s_delay_alu instid0(VALU_DEP_2) | instskip(NEXT) | instid1(VALU_DEP_3)
	v_add_co_u32 v2, vcc_lo, v8, v2
	v_add_co_ci_u32_e32 v3, vcc_lo, v9, v3, vcc_lo
	global_load_b32 v4, v[2:3], off
	s_waitcnt vmcnt(0)
	v_fmac_f32_e32 v10, s24, v4
	global_store_b32 v[2:3], v10, off
.LBB81_54:
	s_and_not1_b32 vcc_lo, exec_lo, s0
	s_cbranch_vccnz .LBB81_56
; %bb.55:
	v_mad_u64_u32 v[2:3], null, v0, s2, 0
	s_delay_alu instid0(VALU_DEP_1) | instskip(NEXT) | instid1(VALU_DEP_1)
	v_mad_u64_u32 v[10:11], null, v0, s3, v[3:4]
	v_dual_mov_b32 v3, v10 :: v_dual_mul_f32 v10, s12, v5
	s_delay_alu instid0(VALU_DEP_1) | instskip(NEXT) | instid1(VALU_DEP_1)
	v_lshlrev_b64 v[2:3], 2, v[2:3]
	v_add_co_u32 v2, vcc_lo, v6, v2
	s_delay_alu instid0(VALU_DEP_2)
	v_add_co_ci_u32_e32 v3, vcc_lo, v7, v3, vcc_lo
	global_load_b32 v4, v[2:3], off
	s_waitcnt vmcnt(0)
	v_fmac_f32_e32 v10, s24, v4
	global_store_b32 v[2:3], v10, off
.LBB81_56:
	s_cbranch_execz .LBB81_59
.LBB81_57:
	s_nop 0
	s_sendmsg sendmsg(MSG_DEALLOC_VGPRS)
	s_endpgm
.LBB81_58:
.LBB81_59:
	v_mul_f32_e32 v2, s12, v5
	s_and_not1_b32 vcc_lo, exec_lo, s1
	s_mov_b32 s0, -1
	s_cbranch_vccnz .LBB81_61
; %bb.60:
	v_lshlrev_b64 v[3:4], 2, v[0:1]
	s_mov_b32 s0, 0
	s_delay_alu instid0(VALU_DEP_1) | instskip(NEXT) | instid1(VALU_DEP_2)
	v_add_co_u32 v3, vcc_lo, v8, v3
	v_add_co_ci_u32_e32 v4, vcc_lo, v9, v4, vcc_lo
	global_store_b32 v[3:4], v2, off
.LBB81_61:
	s_and_not1_b32 vcc_lo, exec_lo, s0
	s_cbranch_vccnz .LBB81_57
; %bb.62:
	v_mad_u64_u32 v[3:4], null, v0, s2, 0
	s_delay_alu instid0(VALU_DEP_1) | instskip(NEXT) | instid1(VALU_DEP_1)
	v_mov_b32_e32 v1, v4
	v_mad_u64_u32 v[4:5], null, v0, s3, v[1:2]
	s_delay_alu instid0(VALU_DEP_1) | instskip(NEXT) | instid1(VALU_DEP_1)
	v_lshlrev_b64 v[0:1], 2, v[3:4]
	v_add_co_u32 v0, vcc_lo, v6, v0
	s_delay_alu instid0(VALU_DEP_2)
	v_add_co_ci_u32_e32 v1, vcc_lo, v7, v1, vcc_lo
	global_store_b32 v[0:1], v2, off
	s_nop 0
	s_sendmsg sendmsg(MSG_DEALLOC_VGPRS)
	s_endpgm
	.section	.rodata,"a",@progbits
	.p2align	6, 0x0
	.amdhsa_kernel _ZN9rocsparseL31bsrmm_large_blockdim_kernel_extILj4ELj16ELj2EllaaffEEvb20rocsparse_direction_T3_S2_llNS_24const_host_device_scalarIT7_EEPKT2_PKS2_PKT4_S2_PKT5_llS5_PT6_ll16rocsparse_order_21rocsparse_index_base_b
		.amdhsa_group_segment_fixed_size 576
		.amdhsa_private_segment_fixed_size 0
		.amdhsa_kernarg_size 148
		.amdhsa_user_sgpr_count 14
		.amdhsa_user_sgpr_dispatch_ptr 0
		.amdhsa_user_sgpr_queue_ptr 0
		.amdhsa_user_sgpr_kernarg_segment_ptr 1
		.amdhsa_user_sgpr_dispatch_id 0
		.amdhsa_user_sgpr_private_segment_size 0
		.amdhsa_wavefront_size32 1
		.amdhsa_uses_dynamic_stack 0
		.amdhsa_enable_private_segment 0
		.amdhsa_system_sgpr_workgroup_id_x 1
		.amdhsa_system_sgpr_workgroup_id_y 1
		.amdhsa_system_sgpr_workgroup_id_z 0
		.amdhsa_system_sgpr_workgroup_info 0
		.amdhsa_system_vgpr_workitem_id 1
		.amdhsa_next_free_vgpr 41
		.amdhsa_next_free_sgpr 44
		.amdhsa_reserve_vcc 1
		.amdhsa_float_round_mode_32 0
		.amdhsa_float_round_mode_16_64 0
		.amdhsa_float_denorm_mode_32 3
		.amdhsa_float_denorm_mode_16_64 3
		.amdhsa_dx10_clamp 1
		.amdhsa_ieee_mode 1
		.amdhsa_fp16_overflow 0
		.amdhsa_workgroup_processor_mode 1
		.amdhsa_memory_ordered 1
		.amdhsa_forward_progress 0
		.amdhsa_shared_vgpr_count 0
		.amdhsa_exception_fp_ieee_invalid_op 0
		.amdhsa_exception_fp_denorm_src 0
		.amdhsa_exception_fp_ieee_div_zero 0
		.amdhsa_exception_fp_ieee_overflow 0
		.amdhsa_exception_fp_ieee_underflow 0
		.amdhsa_exception_fp_ieee_inexact 0
		.amdhsa_exception_int_div_zero 0
	.end_amdhsa_kernel
	.section	.text._ZN9rocsparseL31bsrmm_large_blockdim_kernel_extILj4ELj16ELj2EllaaffEEvb20rocsparse_direction_T3_S2_llNS_24const_host_device_scalarIT7_EEPKT2_PKS2_PKT4_S2_PKT5_llS5_PT6_ll16rocsparse_order_21rocsparse_index_base_b,"axG",@progbits,_ZN9rocsparseL31bsrmm_large_blockdim_kernel_extILj4ELj16ELj2EllaaffEEvb20rocsparse_direction_T3_S2_llNS_24const_host_device_scalarIT7_EEPKT2_PKS2_PKT4_S2_PKT5_llS5_PT6_ll16rocsparse_order_21rocsparse_index_base_b,comdat
.Lfunc_end81:
	.size	_ZN9rocsparseL31bsrmm_large_blockdim_kernel_extILj4ELj16ELj2EllaaffEEvb20rocsparse_direction_T3_S2_llNS_24const_host_device_scalarIT7_EEPKT2_PKS2_PKT4_S2_PKT5_llS5_PT6_ll16rocsparse_order_21rocsparse_index_base_b, .Lfunc_end81-_ZN9rocsparseL31bsrmm_large_blockdim_kernel_extILj4ELj16ELj2EllaaffEEvb20rocsparse_direction_T3_S2_llNS_24const_host_device_scalarIT7_EEPKT2_PKS2_PKT4_S2_PKT5_llS5_PT6_ll16rocsparse_order_21rocsparse_index_base_b
                                        ; -- End function
	.section	.AMDGPU.csdata,"",@progbits
; Kernel info:
; codeLenInByte = 2512
; NumSgprs: 46
; NumVgprs: 41
; ScratchSize: 0
; MemoryBound: 0
; FloatMode: 240
; IeeeMode: 1
; LDSByteSize: 576 bytes/workgroup (compile time only)
; SGPRBlocks: 5
; VGPRBlocks: 5
; NumSGPRsForWavesPerEU: 46
; NumVGPRsForWavesPerEU: 41
; Occupancy: 16
; WaveLimiterHint : 1
; COMPUTE_PGM_RSRC2:SCRATCH_EN: 0
; COMPUTE_PGM_RSRC2:USER_SGPR: 14
; COMPUTE_PGM_RSRC2:TRAP_HANDLER: 0
; COMPUTE_PGM_RSRC2:TGID_X_EN: 1
; COMPUTE_PGM_RSRC2:TGID_Y_EN: 1
; COMPUTE_PGM_RSRC2:TGID_Z_EN: 0
; COMPUTE_PGM_RSRC2:TIDIG_COMP_CNT: 1
	.section	.text._ZN9rocsparseL31bsrmm_large_blockdim_kernel_extILj16ELj16ELj2EllaaffEEvb20rocsparse_direction_T3_S2_llNS_24const_host_device_scalarIT7_EEPKT2_PKS2_PKT4_S2_PKT5_llS5_PT6_ll16rocsparse_order_21rocsparse_index_base_b,"axG",@progbits,_ZN9rocsparseL31bsrmm_large_blockdim_kernel_extILj16ELj16ELj2EllaaffEEvb20rocsparse_direction_T3_S2_llNS_24const_host_device_scalarIT7_EEPKT2_PKS2_PKT4_S2_PKT5_llS5_PT6_ll16rocsparse_order_21rocsparse_index_base_b,comdat
	.globl	_ZN9rocsparseL31bsrmm_large_blockdim_kernel_extILj16ELj16ELj2EllaaffEEvb20rocsparse_direction_T3_S2_llNS_24const_host_device_scalarIT7_EEPKT2_PKS2_PKT4_S2_PKT5_llS5_PT6_ll16rocsparse_order_21rocsparse_index_base_b ; -- Begin function _ZN9rocsparseL31bsrmm_large_blockdim_kernel_extILj16ELj16ELj2EllaaffEEvb20rocsparse_direction_T3_S2_llNS_24const_host_device_scalarIT7_EEPKT2_PKS2_PKT4_S2_PKT5_llS5_PT6_ll16rocsparse_order_21rocsparse_index_base_b
	.p2align	8
	.type	_ZN9rocsparseL31bsrmm_large_blockdim_kernel_extILj16ELj16ELj2EllaaffEEvb20rocsparse_direction_T3_S2_llNS_24const_host_device_scalarIT7_EEPKT2_PKS2_PKT4_S2_PKT5_llS5_PT6_ll16rocsparse_order_21rocsparse_index_base_b,@function
_ZN9rocsparseL31bsrmm_large_blockdim_kernel_extILj16ELj16ELj2EllaaffEEvb20rocsparse_direction_T3_S2_llNS_24const_host_device_scalarIT7_EEPKT2_PKS2_PKT4_S2_PKT5_llS5_PT6_ll16rocsparse_order_21rocsparse_index_base_b: ; @_ZN9rocsparseL31bsrmm_large_blockdim_kernel_extILj16ELj16ELj2EllaaffEEvb20rocsparse_direction_T3_S2_llNS_24const_host_device_scalarIT7_EEPKT2_PKS2_PKT4_S2_PKT5_llS5_PT6_ll16rocsparse_order_21rocsparse_index_base_b
; %bb.0:
	s_clause 0x2
	s_load_b128 s[8:11], s[0:1], 0x88
	s_load_b64 s[12:13], s[0:1], 0x28
	s_load_b64 s[24:25], s[0:1], 0x68
	s_mov_b32 s2, s15
	s_waitcnt lgkmcnt(0)
	s_bitcmp1_b32 s10, 0
	s_cselect_b32 s3, -1, 0
	s_delay_alu instid0(SALU_CYCLE_1)
	s_and_b32 vcc_lo, exec_lo, s3
	s_xor_b32 s3, s3, -1
	s_cbranch_vccnz .LBB82_2
; %bb.1:
	s_load_b32 s12, s[12:13], 0x0
.LBB82_2:
	s_and_not1_b32 vcc_lo, exec_lo, s3
	s_cbranch_vccnz .LBB82_4
; %bb.3:
	s_load_b32 s24, s[24:25], 0x0
.LBB82_4:
	s_waitcnt lgkmcnt(0)
	v_cmp_eq_f32_e64 s3, s12, 0
	v_cmp_eq_f32_e64 s4, s24, 1.0
	s_delay_alu instid0(VALU_DEP_1) | instskip(NEXT) | instid1(SALU_CYCLE_1)
	s_and_b32 s3, s3, s4
	s_and_b32 vcc_lo, exec_lo, s3
	s_cbranch_vccnz .LBB82_57
; %bb.5:
	s_clause 0x1
	s_load_b128 s[4:7], s[0:1], 0x8
	s_load_b64 s[10:11], s[0:1], 0x30
	s_ashr_i32 s15, s14, 31
	s_mov_b64 s[26:27], 0
	s_mov_b64 s[28:29], 0
	s_waitcnt lgkmcnt(0)
	v_cmp_ge_i64_e64 s3, s[14:15], s[4:5]
	v_cmp_lt_i64_e64 s13, s[14:15], s[4:5]
	s_delay_alu instid0(VALU_DEP_2)
	s_and_b32 vcc_lo, exec_lo, s3
	s_cbranch_vccnz .LBB82_7
; %bb.6:
	s_lshl_b64 s[4:5], s[14:15], 3
	s_delay_alu instid0(SALU_CYCLE_1)
	s_add_u32 s4, s10, s4
	s_addc_u32 s5, s11, s5
	s_load_b64 s[4:5], s[4:5], 0x0
	s_waitcnt lgkmcnt(0)
	s_sub_u32 s28, s4, s9
	s_subb_u32 s29, s5, 0
.LBB82_7:
	s_delay_alu instid0(VALU_DEP_1)
	s_and_not1_b32 vcc_lo, exec_lo, s13
	s_cbranch_vccnz .LBB82_9
; %bb.8:
	s_lshl_b64 s[4:5], s[14:15], 3
	s_delay_alu instid0(SALU_CYCLE_1)
	s_add_u32 s4, s10, s4
	s_addc_u32 s5, s11, s5
	s_load_b64 s[4:5], s[4:5], 0x8
	s_waitcnt lgkmcnt(0)
	s_sub_u32 s26, s4, s9
	s_subb_u32 s27, s5, 0
.LBB82_9:
	s_clause 0x1
	s_load_b64 s[30:31], s[0:1], 0x48
	s_load_b64 s[10:11], s[0:1], 0x70
	v_bfe_u32 v15, v0, 10, 10
	v_dual_mov_b32 v3, 0 :: v_dual_and_b32 v6, 0x3ff, v0
	s_mov_b32 s36, 0
	s_delay_alu instid0(VALU_DEP_2) | instskip(SKIP_1) | instid1(VALU_DEP_3)
	v_lshl_add_u32 v2, s2, 5, v15
	v_cmp_ge_i64_e64 s2, s[28:29], s[26:27]
	v_mov_b32_e32 v1, v3
	s_mov_b32 s37, s36
	v_dual_mov_b32 v7, v3 :: v_dual_mov_b32 v4, s36
	v_add_nc_u32_e32 v0, 16, v2
	s_delay_alu instid0(VALU_DEP_4) | instskip(SKIP_2) | instid1(VALU_DEP_3)
	s_and_b32 vcc_lo, exec_lo, s2
	v_cmp_gt_i64_e64 s3, s[6:7], v[2:3]
	v_mov_b32_e32 v5, s37
	v_cmp_gt_i64_e64 s4, s[6:7], v[0:1]
	s_waitcnt lgkmcnt(0)
	v_cmp_gt_i64_e64 s2, s[30:31], v[6:7]
	s_cbranch_vccnz .LBB82_37
; %bb.10:
	s_clause 0x2
	s_load_b64 s[34:35], s[0:1], 0x0
	s_load_b128 s[16:19], s[0:1], 0x38
	s_load_b128 s[20:23], s[0:1], 0x50
	v_dual_mov_b32 v16, v3 :: v_dual_lshlrev_b32 v23, 4, v15
	v_lshl_add_u32 v4, v6, 4, v15
	s_mul_i32 s5, s30, s31
	s_mul_hi_u32 s25, s30, s30
	s_delay_alu instid0(VALU_DEP_2)
	v_cmp_gt_i64_e32 vcc_lo, s[30:31], v[15:16]
	s_add_i32 s25, s25, s5
	v_lshl_add_u32 v19, v4, 2, 0x800
	s_add_i32 s25, s25, s5
	s_mul_i32 s15, s30, s30
	s_and_b32 s33, s2, vcc_lo
	s_waitcnt lgkmcnt(0)
	s_bitcmp1_b32 s34, 0
	v_mad_u64_u32 v[16:17], null, v6, s30, s[18:19]
	v_mad_u64_u32 v[4:5], null, v15, s30, s[18:19]
	;; [unrolled: 1-line block ×4, first 2 shown]
	s_delay_alu instid0(VALU_DEP_4) | instskip(SKIP_3) | instid1(VALU_DEP_4)
	v_mov_b32_e32 v14, v17
	v_add_co_u32 v10, s5, s20, v6
	v_mad_u64_u32 v[17:18], null, v15, s31, v[5:6]
	v_mov_b32_e32 v5, v13
	v_mad_u64_u32 v[20:21], null, v6, s31, v[14:15]
	s_delay_alu instid0(VALU_DEP_4) | instskip(NEXT) | instid1(VALU_DEP_3)
	v_mad_u64_u32 v[13:14], null, v2, s23, v[9:10]
	v_mad_u64_u32 v[21:22], null, v0, s23, v[5:6]
	v_dual_mov_b32 v5, v17 :: v_dual_lshlrev_b32 v22, 6, v15
	s_delay_alu instid0(VALU_DEP_4) | instskip(SKIP_1) | instid1(VALU_DEP_3)
	v_mov_b32_e32 v9, v20
	v_add_co_u32 v4, vcc_lo, v4, v6
	v_add_nc_u32_e32 v24, 0x400, v22
	v_cmp_gt_i64_e64 s18, s[30:31], 0
	v_add_co_ci_u32_e32 v5, vcc_lo, 0, v5, vcc_lo
	v_add_co_u32 v16, vcc_lo, v16, v15
	v_add_co_ci_u32_e64 v11, null, s21, 0, s5
	s_cselect_b32 s5, -1, 0
	s_cmp_eq_u32 s35, 0
	v_add_co_ci_u32_e32 v14, vcc_lo, 0, v9, vcc_lo
	s_cselect_b32 vcc_lo, -1, 0
	s_and_b32 s38, s3, s18
	s_and_b32 s39, s4, s18
	s_add_u32 s40, s30, -1
	s_addc_u32 s41, s31, -1
	v_dual_mov_b32 v20, v13 :: v_dual_cndmask_b32 v13, v4, v16
	v_cndmask_b32_e32 v14, v5, v14, vcc_lo
	s_and_b32 s18, s30, 7
	s_mov_b32 s19, s36
	v_dual_mov_b32 v4, s36 :: v_dual_mov_b32 v5, s37
	v_cmp_gt_u64_e64 s40, s[40:41], 6
	v_add_lshl_u32 v9, v23, v6, 2
	s_and_b32 s35, s31, 0x7fffffff
	s_and_b32 s34, s30, -8
	v_lshl_add_u32 v23, v6, 6, 0x800
	s_cmp_lg_u64 s[18:19], 0
	s_cselect_b32 s41, -1, 0
	s_branch .LBB82_13
.LBB82_11:                              ;   in Loop: Header=BB82_13 Depth=1
	s_or_b32 exec_lo, exec_lo, s43
.LBB82_12:                              ;   in Loop: Header=BB82_13 Depth=1
	s_delay_alu instid0(SALU_CYCLE_1) | instskip(SKIP_2) | instid1(SALU_CYCLE_1)
	s_or_b32 exec_lo, exec_lo, s42
	s_add_u32 s28, s28, 1
	s_addc_u32 s29, s29, 0
	v_cmp_ge_i64_e64 s36, s[28:29], s[26:27]
	s_barrier
	buffer_gl0_inv
	s_and_b32 vcc_lo, exec_lo, s36
	s_cbranch_vccnz .LBB82_37
.LBB82_13:                              ; =>This Loop Header: Depth=1
                                        ;     Child Loop BB82_24 Depth 2
                                        ;     Child Loop BB82_28 Depth 2
	;; [unrolled: 1-line block ×4, first 2 shown]
	s_and_saveexec_b32 s36, s2
	s_cbranch_execz .LBB82_18
; %bb.14:                               ;   in Loop: Header=BB82_13 Depth=1
	s_lshl_b64 s[42:43], s[28:29], 3
	s_delay_alu instid0(SALU_CYCLE_1)
	s_add_u32 s42, s16, s42
	s_addc_u32 s43, s17, s43
	s_load_b64 s[42:43], s[42:43], 0x0
	s_waitcnt lgkmcnt(0)
	s_sub_u32 s37, s42, s9
	s_subb_u32 s42, s43, 0
	v_mad_u64_u32 v[17:18], null, s37, s30, v[6:7]
	s_mul_i32 s43, s37, s31
	s_mul_i32 s42, s42, s30
	s_delay_alu instid0(SALU_CYCLE_1)
	s_add_i32 s43, s43, s42
	s_delay_alu instid0(VALU_DEP_1) | instid1(SALU_CYCLE_1)
	v_add_nc_u32_e32 v18, s43, v18
	s_delay_alu instid0(VALU_DEP_2) | instskip(SKIP_1) | instid1(VALU_DEP_3)
	v_mul_lo_u32 v25, v17, s23
	v_mad_u64_u32 v[15:16], null, v17, s22, s[20:21]
	v_mul_lo_u32 v26, v18, s22
	v_mad_u64_u32 v[17:18], null, s37, s30, v[10:11]
	s_delay_alu instid0(VALU_DEP_2) | instskip(NEXT) | instid1(VALU_DEP_2)
	v_add3_u32 v16, v26, v16, v25
	v_add_nc_u32_e32 v18, s43, v18
	s_and_saveexec_b32 s37, s3
	s_cbranch_execz .LBB82_16
; %bb.15:                               ;   in Loop: Header=BB82_13 Depth=1
	s_delay_alu instid0(VALU_DEP_3) | instskip(NEXT) | instid1(VALU_DEP_2)
	v_add_co_u32 v25, vcc_lo, v17, v8
	v_add_co_ci_u32_e32 v26, vcc_lo, v18, v20, vcc_lo
	v_add_co_u32 v27, vcc_lo, v15, v2
	v_add_co_ci_u32_e32 v28, vcc_lo, 0, v16, vcc_lo
	s_delay_alu instid0(VALU_DEP_2) | instskip(NEXT) | instid1(VALU_DEP_2)
	v_cndmask_b32_e64 v25, v27, v25, s5
	v_cndmask_b32_e64 v26, v28, v26, s5
	global_load_i8 v25, v[25:26], off
	s_waitcnt vmcnt(0)
	v_cvt_f32_i32_e32 v25, v25
	ds_store_b32 v9, v25
.LBB82_16:                              ;   in Loop: Header=BB82_13 Depth=1
	s_or_b32 exec_lo, exec_lo, s37
	s_delay_alu instid0(SALU_CYCLE_1)
	s_and_b32 exec_lo, exec_lo, s4
	s_cbranch_execz .LBB82_18
; %bb.17:                               ;   in Loop: Header=BB82_13 Depth=1
	v_add_co_u32 v17, vcc_lo, v17, v12
	v_add_co_ci_u32_e32 v18, vcc_lo, v18, v21, vcc_lo
	v_add_co_u32 v15, vcc_lo, v15, v0
	v_add_co_ci_u32_e32 v16, vcc_lo, 0, v16, vcc_lo
	s_delay_alu instid0(VALU_DEP_2) | instskip(NEXT) | instid1(VALU_DEP_2)
	v_cndmask_b32_e64 v15, v15, v17, s5
	v_cndmask_b32_e64 v16, v16, v18, s5
	global_load_i8 v15, v[15:16], off
	s_waitcnt vmcnt(0)
	v_cvt_f32_i32_e32 v15, v15
	ds_store_b32 v9, v15 offset:1024
.LBB82_18:                              ;   in Loop: Header=BB82_13 Depth=1
	s_or_b32 exec_lo, exec_lo, s36
	s_and_saveexec_b32 s36, s33
	s_cbranch_execz .LBB82_20
; %bb.19:                               ;   in Loop: Header=BB82_13 Depth=1
	v_mad_u64_u32 v[15:16], null, s15, s28, v[13:14]
	s_mul_i32 s37, s25, s28
	s_mul_i32 s42, s15, s29
	s_delay_alu instid0(VALU_DEP_1) | instid1(SALU_CYCLE_1)
	v_add3_u32 v16, s42, s37, v16
	global_load_i8 v15, v[15:16], off
	s_waitcnt vmcnt(0)
	v_cvt_f32_i32_e32 v15, v15
	ds_store_b32 v19, v15
.LBB82_20:                              ;   in Loop: Header=BB82_13 Depth=1
	s_or_b32 exec_lo, exec_lo, s36
	s_waitcnt lgkmcnt(0)
	s_barrier
	buffer_gl0_inv
	s_and_saveexec_b32 s42, s2
	s_cbranch_execz .LBB82_12
; %bb.21:                               ;   in Loop: Header=BB82_13 Depth=1
	s_and_saveexec_b32 s43, s38
	s_cbranch_execz .LBB82_29
; %bb.22:                               ;   in Loop: Header=BB82_13 Depth=1
	s_and_not1_b32 vcc_lo, exec_lo, s40
	s_cbranch_vccnz .LBB82_26
; %bb.23:                               ;   in Loop: Header=BB82_13 Depth=1
	v_dual_mov_b32 v15, v23 :: v_dual_mov_b32 v16, v22
	s_mov_b64 s[36:37], 0
	.p2align	6
.LBB82_24:                              ;   Parent Loop BB82_13 Depth=1
                                        ; =>  This Inner Loop Header: Depth=2
	ds_load_b128 v[25:28], v16
	ds_load_b128 v[29:32], v15
	ds_load_b128 v[33:36], v15 offset:16
	ds_load_b128 v[37:40], v16 offset:16
	s_add_u32 s36, s36, 8
	v_add_nc_u32_e32 v16, 32, v16
	s_addc_u32 s37, s37, 0
	v_add_nc_u32_e32 v15, 32, v15
	s_cmp_lg_u64 s[34:35], s[36:37]
	s_waitcnt lgkmcnt(2)
	v_fma_f32 v4, v29, v25, v4
	s_delay_alu instid0(VALU_DEP_1) | instskip(NEXT) | instid1(VALU_DEP_1)
	v_fmac_f32_e32 v4, v30, v26
	v_fmac_f32_e32 v4, v31, v27
	s_delay_alu instid0(VALU_DEP_1) | instskip(SKIP_1) | instid1(VALU_DEP_1)
	v_fmac_f32_e32 v4, v32, v28
	s_waitcnt lgkmcnt(0)
	v_fmac_f32_e32 v4, v33, v37
	s_delay_alu instid0(VALU_DEP_1) | instskip(NEXT) | instid1(VALU_DEP_1)
	v_fmac_f32_e32 v4, v34, v38
	v_fmac_f32_e32 v4, v35, v39
	s_delay_alu instid0(VALU_DEP_1)
	v_fmac_f32_e32 v4, v36, v40
	s_cbranch_scc1 .LBB82_24
; %bb.25:                               ;   in Loop: Header=BB82_13 Depth=1
	s_mov_b64 s[36:37], s[34:35]
	s_and_not1_b32 vcc_lo, exec_lo, s41
	s_cbranch_vccz .LBB82_27
	s_branch .LBB82_29
.LBB82_26:                              ;   in Loop: Header=BB82_13 Depth=1
	s_mov_b64 s[36:37], 0
	s_and_not1_b32 vcc_lo, exec_lo, s41
	s_cbranch_vccnz .LBB82_29
.LBB82_27:                              ;   in Loop: Header=BB82_13 Depth=1
	s_lshl_b32 s36, s36, 2
	s_delay_alu instid0(SALU_CYCLE_1)
	v_add_nc_u32_e32 v15, s36, v22
	v_add_nc_u32_e32 v16, s36, v23
	s_mov_b64 s[36:37], s[18:19]
.LBB82_28:                              ;   Parent Loop BB82_13 Depth=1
                                        ; =>  This Inner Loop Header: Depth=2
	ds_load_b32 v17, v16
	ds_load_b32 v18, v15
	v_add_nc_u32_e32 v15, 4, v15
	v_add_nc_u32_e32 v16, 4, v16
	s_add_u32 s36, s36, -1
	s_addc_u32 s37, s37, -1
	s_delay_alu instid0(SALU_CYCLE_1)
	s_cmp_lg_u64 s[36:37], 0
	s_waitcnt lgkmcnt(0)
	v_fma_f32 v4, v17, v18, v4
	s_cbranch_scc1 .LBB82_28
.LBB82_29:                              ;   in Loop: Header=BB82_13 Depth=1
	s_or_b32 exec_lo, exec_lo, s43
	s_and_saveexec_b32 s43, s39
	s_cbranch_execz .LBB82_11
; %bb.30:                               ;   in Loop: Header=BB82_13 Depth=1
	s_and_not1_b32 vcc_lo, exec_lo, s40
	s_cbranch_vccnz .LBB82_34
; %bb.31:                               ;   in Loop: Header=BB82_13 Depth=1
	v_dual_mov_b32 v15, v23 :: v_dual_mov_b32 v16, v24
	s_mov_b64 s[36:37], 0
	.p2align	6
.LBB82_32:                              ;   Parent Loop BB82_13 Depth=1
                                        ; =>  This Inner Loop Header: Depth=2
	ds_load_b128 v[25:28], v16
	ds_load_b128 v[29:32], v15
	ds_load_b128 v[33:36], v15 offset:16
	ds_load_b128 v[37:40], v16 offset:16
	s_add_u32 s36, s36, 8
	v_add_nc_u32_e32 v15, 32, v15
	s_addc_u32 s37, s37, 0
	v_add_nc_u32_e32 v16, 32, v16
	s_cmp_lg_u64 s[34:35], s[36:37]
	s_waitcnt lgkmcnt(2)
	v_fma_f32 v5, v29, v25, v5
	s_delay_alu instid0(VALU_DEP_1) | instskip(NEXT) | instid1(VALU_DEP_1)
	v_fmac_f32_e32 v5, v30, v26
	v_fmac_f32_e32 v5, v31, v27
	s_delay_alu instid0(VALU_DEP_1) | instskip(SKIP_1) | instid1(VALU_DEP_1)
	v_fmac_f32_e32 v5, v32, v28
	s_waitcnt lgkmcnt(0)
	v_fmac_f32_e32 v5, v33, v37
	s_delay_alu instid0(VALU_DEP_1) | instskip(NEXT) | instid1(VALU_DEP_1)
	v_fmac_f32_e32 v5, v34, v38
	v_fmac_f32_e32 v5, v35, v39
	s_delay_alu instid0(VALU_DEP_1)
	v_fmac_f32_e32 v5, v36, v40
	s_cbranch_scc1 .LBB82_32
; %bb.33:                               ;   in Loop: Header=BB82_13 Depth=1
	s_mov_b64 s[36:37], s[34:35]
	s_and_not1_b32 vcc_lo, exec_lo, s41
	s_cbranch_vccz .LBB82_35
	s_branch .LBB82_11
.LBB82_34:                              ;   in Loop: Header=BB82_13 Depth=1
	s_mov_b64 s[36:37], 0
	s_and_not1_b32 vcc_lo, exec_lo, s41
	s_cbranch_vccnz .LBB82_11
.LBB82_35:                              ;   in Loop: Header=BB82_13 Depth=1
	s_lshl_b32 s36, s36, 2
	s_delay_alu instid0(SALU_CYCLE_1)
	v_add_nc_u32_e32 v15, s36, v24
	v_add_nc_u32_e32 v16, s36, v23
	s_mov_b64 s[36:37], s[18:19]
.LBB82_36:                              ;   Parent Loop BB82_13 Depth=1
                                        ; =>  This Inner Loop Header: Depth=2
	ds_load_b32 v17, v16
	ds_load_b32 v18, v15
	v_add_nc_u32_e32 v15, 4, v15
	v_add_nc_u32_e32 v16, 4, v16
	s_add_u32 s36, s36, -1
	s_addc_u32 s37, s37, -1
	s_delay_alu instid0(SALU_CYCLE_1)
	s_cmp_lg_u64 s[36:37], 0
	s_waitcnt lgkmcnt(0)
	v_fma_f32 v5, v17, v18, v5
	s_cbranch_scc1 .LBB82_36
	s_branch .LBB82_11
.LBB82_37:
	s_delay_alu instid0(VALU_DEP_1) | instskip(NEXT) | instid1(SALU_CYCLE_1)
	s_and_b32 s2, s13, s2
	s_and_saveexec_b32 s3, s2
	s_cbranch_execz .LBB82_57
; %bb.38:
	v_mad_u64_u32 v[8:9], null, s14, s30, v[6:7]
	s_load_b64 s[2:3], s[0:1], 0x78
	v_cmp_neq_f32_e64 s4, s24, 0
	s_cmp_lg_u32 s8, 1
	s_cselect_b32 s1, -1, 0
	s_delay_alu instid0(VALU_DEP_2) | instskip(NEXT) | instid1(VALU_DEP_1)
	v_mov_b32_e32 v6, v9
	v_mad_u64_u32 v[9:10], null, s14, s31, v[6:7]
	s_waitcnt lgkmcnt(0)
	v_mul_lo_u32 v10, v8, s3
	v_mad_u64_u32 v[6:7], null, v8, s2, 0
	s_delay_alu instid0(VALU_DEP_3) | instskip(NEXT) | instid1(VALU_DEP_1)
	v_mul_lo_u32 v11, v9, s2
	v_add3_u32 v7, v7, v10, v11
	v_lshlrev_b64 v[10:11], 2, v[8:9]
	s_delay_alu instid0(VALU_DEP_2) | instskip(NEXT) | instid1(VALU_DEP_1)
	v_lshlrev_b64 v[6:7], 2, v[6:7]
	v_add_co_u32 v8, s0, s10, v6
	s_delay_alu instid0(VALU_DEP_1) | instskip(NEXT) | instid1(VALU_DEP_4)
	v_add_co_ci_u32_e64 v9, s0, s11, v7, s0
	v_add_co_u32 v6, s0, s10, v10
	s_delay_alu instid0(VALU_DEP_1)
	v_add_co_ci_u32_e64 v7, s0, s11, v11, s0
	s_mov_b32 s0, exec_lo
	v_cmpx_gt_i64_e64 s[6:7], v[2:3]
	s_cbranch_execz .LBB82_50
; %bb.39:
	s_and_b32 vcc_lo, exec_lo, s4
	s_cbranch_vccz .LBB82_45
; %bb.40:
	s_and_b32 vcc_lo, exec_lo, s1
	s_mov_b32 s5, -1
	s_cbranch_vccz .LBB82_42
; %bb.41:
	v_lshlrev_b64 v[10:11], 2, v[2:3]
	v_mul_f32_e32 v13, s12, v4
	s_mov_b32 s5, 0
	s_delay_alu instid0(VALU_DEP_2) | instskip(NEXT) | instid1(VALU_DEP_3)
	v_add_co_u32 v10, vcc_lo, v8, v10
	v_add_co_ci_u32_e32 v11, vcc_lo, v9, v11, vcc_lo
	global_load_b32 v12, v[10:11], off
	s_waitcnt vmcnt(0)
	v_fmac_f32_e32 v13, s24, v12
	global_store_b32 v[10:11], v13, off
.LBB82_42:
	s_and_not1_b32 vcc_lo, exec_lo, s5
	s_cbranch_vccnz .LBB82_44
; %bb.43:
	v_mad_u64_u32 v[10:11], null, v2, s2, 0
	s_delay_alu instid0(VALU_DEP_1) | instskip(SKIP_1) | instid1(VALU_DEP_2)
	v_mad_u64_u32 v[12:13], null, v2, s3, v[11:12]
	v_mul_f32_e32 v13, s12, v4
	v_mov_b32_e32 v11, v12
	s_delay_alu instid0(VALU_DEP_1) | instskip(NEXT) | instid1(VALU_DEP_1)
	v_lshlrev_b64 v[10:11], 2, v[10:11]
	v_add_co_u32 v10, vcc_lo, v6, v10
	s_delay_alu instid0(VALU_DEP_2)
	v_add_co_ci_u32_e32 v11, vcc_lo, v7, v11, vcc_lo
	global_load_b32 v12, v[10:11], off
	s_waitcnt vmcnt(0)
	v_fmac_f32_e32 v13, s24, v12
	global_store_b32 v[10:11], v13, off
.LBB82_44:
	s_cbranch_execz .LBB82_46
	s_branch .LBB82_50
.LBB82_45:
.LBB82_46:
	v_mul_f32_e32 v4, s12, v4
	s_and_b32 vcc_lo, exec_lo, s1
	s_mov_b32 s5, -1
	s_cbranch_vccz .LBB82_48
; %bb.47:
	v_lshlrev_b64 v[10:11], 2, v[2:3]
	s_mov_b32 s5, 0
	s_delay_alu instid0(VALU_DEP_1) | instskip(NEXT) | instid1(VALU_DEP_2)
	v_add_co_u32 v10, vcc_lo, v8, v10
	v_add_co_ci_u32_e32 v11, vcc_lo, v9, v11, vcc_lo
	global_store_b32 v[10:11], v4, off
.LBB82_48:
	s_and_not1_b32 vcc_lo, exec_lo, s5
	s_cbranch_vccnz .LBB82_50
; %bb.49:
	v_mad_u64_u32 v[10:11], null, v2, s2, 0
	s_delay_alu instid0(VALU_DEP_1) | instskip(NEXT) | instid1(VALU_DEP_1)
	v_mov_b32_e32 v3, v11
	v_mad_u64_u32 v[11:12], null, v2, s3, v[3:4]
	s_delay_alu instid0(VALU_DEP_1) | instskip(NEXT) | instid1(VALU_DEP_1)
	v_lshlrev_b64 v[2:3], 2, v[10:11]
	v_add_co_u32 v2, vcc_lo, v6, v2
	s_delay_alu instid0(VALU_DEP_2)
	v_add_co_ci_u32_e32 v3, vcc_lo, v7, v3, vcc_lo
	global_store_b32 v[2:3], v4, off
.LBB82_50:
	s_or_b32 exec_lo, exec_lo, s0
	v_cmp_gt_i64_e32 vcc_lo, s[6:7], v[0:1]
	s_and_b32 exec_lo, exec_lo, vcc_lo
	s_cbranch_execz .LBB82_57
; %bb.51:
	v_cndmask_b32_e64 v2, 0, 1, s1
	s_and_not1_b32 vcc_lo, exec_lo, s4
	s_delay_alu instid0(VALU_DEP_1)
	v_cmp_ne_u32_e64 s0, 1, v2
	s_cbranch_vccnz .LBB82_58
; %bb.52:
	s_delay_alu instid0(VALU_DEP_1)
	s_and_b32 vcc_lo, exec_lo, s0
	s_mov_b32 s0, -1
	s_cbranch_vccnz .LBB82_54
; %bb.53:
	v_lshlrev_b64 v[2:3], 2, v[0:1]
	v_mul_f32_e32 v10, s12, v5
	s_mov_b32 s0, 0
	s_delay_alu instid0(VALU_DEP_2) | instskip(NEXT) | instid1(VALU_DEP_3)
	v_add_co_u32 v2, vcc_lo, v8, v2
	v_add_co_ci_u32_e32 v3, vcc_lo, v9, v3, vcc_lo
	global_load_b32 v4, v[2:3], off
	s_waitcnt vmcnt(0)
	v_fmac_f32_e32 v10, s24, v4
	global_store_b32 v[2:3], v10, off
.LBB82_54:
	s_and_not1_b32 vcc_lo, exec_lo, s0
	s_cbranch_vccnz .LBB82_56
; %bb.55:
	v_mad_u64_u32 v[2:3], null, v0, s2, 0
	s_delay_alu instid0(VALU_DEP_1) | instskip(NEXT) | instid1(VALU_DEP_1)
	v_mad_u64_u32 v[10:11], null, v0, s3, v[3:4]
	v_dual_mov_b32 v3, v10 :: v_dual_mul_f32 v10, s12, v5
	s_delay_alu instid0(VALU_DEP_1) | instskip(NEXT) | instid1(VALU_DEP_1)
	v_lshlrev_b64 v[2:3], 2, v[2:3]
	v_add_co_u32 v2, vcc_lo, v6, v2
	s_delay_alu instid0(VALU_DEP_2)
	v_add_co_ci_u32_e32 v3, vcc_lo, v7, v3, vcc_lo
	global_load_b32 v4, v[2:3], off
	s_waitcnt vmcnt(0)
	v_fmac_f32_e32 v10, s24, v4
	global_store_b32 v[2:3], v10, off
.LBB82_56:
	s_cbranch_execz .LBB82_59
.LBB82_57:
	s_nop 0
	s_sendmsg sendmsg(MSG_DEALLOC_VGPRS)
	s_endpgm
.LBB82_58:
.LBB82_59:
	v_mul_f32_e32 v2, s12, v5
	s_and_not1_b32 vcc_lo, exec_lo, s1
	s_mov_b32 s0, -1
	s_cbranch_vccnz .LBB82_61
; %bb.60:
	v_lshlrev_b64 v[3:4], 2, v[0:1]
	s_mov_b32 s0, 0
	s_delay_alu instid0(VALU_DEP_1) | instskip(NEXT) | instid1(VALU_DEP_2)
	v_add_co_u32 v3, vcc_lo, v8, v3
	v_add_co_ci_u32_e32 v4, vcc_lo, v9, v4, vcc_lo
	global_store_b32 v[3:4], v2, off
.LBB82_61:
	s_and_not1_b32 vcc_lo, exec_lo, s0
	s_cbranch_vccnz .LBB82_57
; %bb.62:
	v_mad_u64_u32 v[3:4], null, v0, s2, 0
	s_delay_alu instid0(VALU_DEP_1) | instskip(NEXT) | instid1(VALU_DEP_1)
	v_mov_b32_e32 v1, v4
	v_mad_u64_u32 v[4:5], null, v0, s3, v[1:2]
	s_delay_alu instid0(VALU_DEP_1) | instskip(NEXT) | instid1(VALU_DEP_1)
	v_lshlrev_b64 v[0:1], 2, v[3:4]
	v_add_co_u32 v0, vcc_lo, v6, v0
	s_delay_alu instid0(VALU_DEP_2)
	v_add_co_ci_u32_e32 v1, vcc_lo, v7, v1, vcc_lo
	global_store_b32 v[0:1], v2, off
	s_nop 0
	s_sendmsg sendmsg(MSG_DEALLOC_VGPRS)
	s_endpgm
	.section	.rodata,"a",@progbits
	.p2align	6, 0x0
	.amdhsa_kernel _ZN9rocsparseL31bsrmm_large_blockdim_kernel_extILj16ELj16ELj2EllaaffEEvb20rocsparse_direction_T3_S2_llNS_24const_host_device_scalarIT7_EEPKT2_PKS2_PKT4_S2_PKT5_llS5_PT6_ll16rocsparse_order_21rocsparse_index_base_b
		.amdhsa_group_segment_fixed_size 3072
		.amdhsa_private_segment_fixed_size 0
		.amdhsa_kernarg_size 148
		.amdhsa_user_sgpr_count 14
		.amdhsa_user_sgpr_dispatch_ptr 0
		.amdhsa_user_sgpr_queue_ptr 0
		.amdhsa_user_sgpr_kernarg_segment_ptr 1
		.amdhsa_user_sgpr_dispatch_id 0
		.amdhsa_user_sgpr_private_segment_size 0
		.amdhsa_wavefront_size32 1
		.amdhsa_uses_dynamic_stack 0
		.amdhsa_enable_private_segment 0
		.amdhsa_system_sgpr_workgroup_id_x 1
		.amdhsa_system_sgpr_workgroup_id_y 1
		.amdhsa_system_sgpr_workgroup_id_z 0
		.amdhsa_system_sgpr_workgroup_info 0
		.amdhsa_system_vgpr_workitem_id 1
		.amdhsa_next_free_vgpr 41
		.amdhsa_next_free_sgpr 44
		.amdhsa_reserve_vcc 1
		.amdhsa_float_round_mode_32 0
		.amdhsa_float_round_mode_16_64 0
		.amdhsa_float_denorm_mode_32 3
		.amdhsa_float_denorm_mode_16_64 3
		.amdhsa_dx10_clamp 1
		.amdhsa_ieee_mode 1
		.amdhsa_fp16_overflow 0
		.amdhsa_workgroup_processor_mode 1
		.amdhsa_memory_ordered 1
		.amdhsa_forward_progress 0
		.amdhsa_shared_vgpr_count 0
		.amdhsa_exception_fp_ieee_invalid_op 0
		.amdhsa_exception_fp_denorm_src 0
		.amdhsa_exception_fp_ieee_div_zero 0
		.amdhsa_exception_fp_ieee_overflow 0
		.amdhsa_exception_fp_ieee_underflow 0
		.amdhsa_exception_fp_ieee_inexact 0
		.amdhsa_exception_int_div_zero 0
	.end_amdhsa_kernel
	.section	.text._ZN9rocsparseL31bsrmm_large_blockdim_kernel_extILj16ELj16ELj2EllaaffEEvb20rocsparse_direction_T3_S2_llNS_24const_host_device_scalarIT7_EEPKT2_PKS2_PKT4_S2_PKT5_llS5_PT6_ll16rocsparse_order_21rocsparse_index_base_b,"axG",@progbits,_ZN9rocsparseL31bsrmm_large_blockdim_kernel_extILj16ELj16ELj2EllaaffEEvb20rocsparse_direction_T3_S2_llNS_24const_host_device_scalarIT7_EEPKT2_PKS2_PKT4_S2_PKT5_llS5_PT6_ll16rocsparse_order_21rocsparse_index_base_b,comdat
.Lfunc_end82:
	.size	_ZN9rocsparseL31bsrmm_large_blockdim_kernel_extILj16ELj16ELj2EllaaffEEvb20rocsparse_direction_T3_S2_llNS_24const_host_device_scalarIT7_EEPKT2_PKS2_PKT4_S2_PKT5_llS5_PT6_ll16rocsparse_order_21rocsparse_index_base_b, .Lfunc_end82-_ZN9rocsparseL31bsrmm_large_blockdim_kernel_extILj16ELj16ELj2EllaaffEEvb20rocsparse_direction_T3_S2_llNS_24const_host_device_scalarIT7_EEPKT2_PKS2_PKT4_S2_PKT5_llS5_PT6_ll16rocsparse_order_21rocsparse_index_base_b
                                        ; -- End function
	.section	.AMDGPU.csdata,"",@progbits
; Kernel info:
; codeLenInByte = 2512
; NumSgprs: 46
; NumVgprs: 41
; ScratchSize: 0
; MemoryBound: 0
; FloatMode: 240
; IeeeMode: 1
; LDSByteSize: 3072 bytes/workgroup (compile time only)
; SGPRBlocks: 5
; VGPRBlocks: 5
; NumSGPRsForWavesPerEU: 46
; NumVGPRsForWavesPerEU: 41
; Occupancy: 16
; WaveLimiterHint : 1
; COMPUTE_PGM_RSRC2:SCRATCH_EN: 0
; COMPUTE_PGM_RSRC2:USER_SGPR: 14
; COMPUTE_PGM_RSRC2:TRAP_HANDLER: 0
; COMPUTE_PGM_RSRC2:TGID_X_EN: 1
; COMPUTE_PGM_RSRC2:TGID_Y_EN: 1
; COMPUTE_PGM_RSRC2:TGID_Z_EN: 0
; COMPUTE_PGM_RSRC2:TIDIG_COMP_CNT: 1
	.section	.text._ZN9rocsparseL31bsrmm_large_blockdim_kernel_extILj32ELj32ELj2EllaaffEEvb20rocsparse_direction_T3_S2_llNS_24const_host_device_scalarIT7_EEPKT2_PKS2_PKT4_S2_PKT5_llS5_PT6_ll16rocsparse_order_21rocsparse_index_base_b,"axG",@progbits,_ZN9rocsparseL31bsrmm_large_blockdim_kernel_extILj32ELj32ELj2EllaaffEEvb20rocsparse_direction_T3_S2_llNS_24const_host_device_scalarIT7_EEPKT2_PKS2_PKT4_S2_PKT5_llS5_PT6_ll16rocsparse_order_21rocsparse_index_base_b,comdat
	.globl	_ZN9rocsparseL31bsrmm_large_blockdim_kernel_extILj32ELj32ELj2EllaaffEEvb20rocsparse_direction_T3_S2_llNS_24const_host_device_scalarIT7_EEPKT2_PKS2_PKT4_S2_PKT5_llS5_PT6_ll16rocsparse_order_21rocsparse_index_base_b ; -- Begin function _ZN9rocsparseL31bsrmm_large_blockdim_kernel_extILj32ELj32ELj2EllaaffEEvb20rocsparse_direction_T3_S2_llNS_24const_host_device_scalarIT7_EEPKT2_PKS2_PKT4_S2_PKT5_llS5_PT6_ll16rocsparse_order_21rocsparse_index_base_b
	.p2align	8
	.type	_ZN9rocsparseL31bsrmm_large_blockdim_kernel_extILj32ELj32ELj2EllaaffEEvb20rocsparse_direction_T3_S2_llNS_24const_host_device_scalarIT7_EEPKT2_PKS2_PKT4_S2_PKT5_llS5_PT6_ll16rocsparse_order_21rocsparse_index_base_b,@function
_ZN9rocsparseL31bsrmm_large_blockdim_kernel_extILj32ELj32ELj2EllaaffEEvb20rocsparse_direction_T3_S2_llNS_24const_host_device_scalarIT7_EEPKT2_PKS2_PKT4_S2_PKT5_llS5_PT6_ll16rocsparse_order_21rocsparse_index_base_b: ; @_ZN9rocsparseL31bsrmm_large_blockdim_kernel_extILj32ELj32ELj2EllaaffEEvb20rocsparse_direction_T3_S2_llNS_24const_host_device_scalarIT7_EEPKT2_PKS2_PKT4_S2_PKT5_llS5_PT6_ll16rocsparse_order_21rocsparse_index_base_b
; %bb.0:
	s_clause 0x2
	s_load_b128 s[8:11], s[0:1], 0x88
	s_load_b64 s[12:13], s[0:1], 0x28
	s_load_b64 s[24:25], s[0:1], 0x68
	s_mov_b32 s2, s15
	s_waitcnt lgkmcnt(0)
	s_bitcmp1_b32 s10, 0
	s_cselect_b32 s3, -1, 0
	s_delay_alu instid0(SALU_CYCLE_1)
	s_and_b32 vcc_lo, exec_lo, s3
	s_xor_b32 s3, s3, -1
	s_cbranch_vccnz .LBB83_2
; %bb.1:
	s_load_b32 s12, s[12:13], 0x0
.LBB83_2:
	s_and_not1_b32 vcc_lo, exec_lo, s3
	s_cbranch_vccnz .LBB83_4
; %bb.3:
	s_load_b32 s24, s[24:25], 0x0
.LBB83_4:
	s_waitcnt lgkmcnt(0)
	v_cmp_eq_f32_e64 s3, s12, 0
	v_cmp_eq_f32_e64 s4, s24, 1.0
	s_delay_alu instid0(VALU_DEP_1) | instskip(NEXT) | instid1(SALU_CYCLE_1)
	s_and_b32 s3, s3, s4
	s_and_b32 vcc_lo, exec_lo, s3
	s_cbranch_vccnz .LBB83_57
; %bb.5:
	s_clause 0x1
	s_load_b128 s[4:7], s[0:1], 0x8
	s_load_b64 s[10:11], s[0:1], 0x30
	s_ashr_i32 s15, s14, 31
	s_mov_b64 s[26:27], 0
	s_mov_b64 s[28:29], 0
	s_waitcnt lgkmcnt(0)
	v_cmp_ge_i64_e64 s3, s[14:15], s[4:5]
	v_cmp_lt_i64_e64 s13, s[14:15], s[4:5]
	s_delay_alu instid0(VALU_DEP_2)
	s_and_b32 vcc_lo, exec_lo, s3
	s_cbranch_vccnz .LBB83_7
; %bb.6:
	s_lshl_b64 s[4:5], s[14:15], 3
	s_delay_alu instid0(SALU_CYCLE_1)
	s_add_u32 s4, s10, s4
	s_addc_u32 s5, s11, s5
	s_load_b64 s[4:5], s[4:5], 0x0
	s_waitcnt lgkmcnt(0)
	s_sub_u32 s28, s4, s9
	s_subb_u32 s29, s5, 0
.LBB83_7:
	s_delay_alu instid0(VALU_DEP_1)
	s_and_not1_b32 vcc_lo, exec_lo, s13
	s_cbranch_vccnz .LBB83_9
; %bb.8:
	s_lshl_b64 s[4:5], s[14:15], 3
	s_delay_alu instid0(SALU_CYCLE_1)
	s_add_u32 s4, s10, s4
	s_addc_u32 s5, s11, s5
	s_load_b64 s[4:5], s[4:5], 0x8
	s_waitcnt lgkmcnt(0)
	s_sub_u32 s26, s4, s9
	s_subb_u32 s27, s5, 0
.LBB83_9:
	s_clause 0x1
	s_load_b64 s[30:31], s[0:1], 0x48
	s_load_b64 s[10:11], s[0:1], 0x70
	v_bfe_u32 v15, v0, 10, 10
	v_dual_mov_b32 v3, 0 :: v_dual_and_b32 v6, 0x3ff, v0
	s_mov_b32 s36, 0
	s_delay_alu instid0(VALU_DEP_2) | instskip(SKIP_1) | instid1(VALU_DEP_3)
	v_lshl_add_u32 v2, s2, 6, v15
	v_cmp_ge_i64_e64 s2, s[28:29], s[26:27]
	v_mov_b32_e32 v1, v3
	s_mov_b32 s37, s36
	v_dual_mov_b32 v7, v3 :: v_dual_mov_b32 v4, s36
	v_add_nc_u32_e32 v0, 32, v2
	s_delay_alu instid0(VALU_DEP_4) | instskip(SKIP_2) | instid1(VALU_DEP_3)
	s_and_b32 vcc_lo, exec_lo, s2
	v_cmp_gt_i64_e64 s3, s[6:7], v[2:3]
	v_mov_b32_e32 v5, s37
	v_cmp_gt_i64_e64 s4, s[6:7], v[0:1]
	s_waitcnt lgkmcnt(0)
	v_cmp_gt_i64_e64 s2, s[30:31], v[6:7]
	s_cbranch_vccnz .LBB83_37
; %bb.10:
	s_clause 0x2
	s_load_b64 s[34:35], s[0:1], 0x0
	s_load_b128 s[16:19], s[0:1], 0x38
	s_load_b128 s[20:23], s[0:1], 0x50
	v_dual_mov_b32 v16, v3 :: v_dual_lshlrev_b32 v23, 5, v15
	v_lshl_add_u32 v4, v6, 5, v15
	s_mul_i32 s5, s30, s31
	s_mul_hi_u32 s25, s30, s30
	s_delay_alu instid0(VALU_DEP_2)
	v_cmp_gt_i64_e32 vcc_lo, s[30:31], v[15:16]
	s_add_i32 s25, s25, s5
	v_lshl_add_u32 v19, v4, 2, 0x2000
	s_add_i32 s25, s25, s5
	s_mul_i32 s15, s30, s30
	s_and_b32 s33, s2, vcc_lo
	s_waitcnt lgkmcnt(0)
	s_bitcmp1_b32 s34, 0
	v_mad_u64_u32 v[16:17], null, v6, s30, s[18:19]
	v_mad_u64_u32 v[4:5], null, v15, s30, s[18:19]
	;; [unrolled: 1-line block ×4, first 2 shown]
	s_delay_alu instid0(VALU_DEP_4) | instskip(SKIP_3) | instid1(VALU_DEP_4)
	v_mov_b32_e32 v14, v17
	v_add_co_u32 v10, s5, s20, v6
	v_mad_u64_u32 v[17:18], null, v15, s31, v[5:6]
	v_mov_b32_e32 v5, v13
	v_mad_u64_u32 v[20:21], null, v6, s31, v[14:15]
	s_delay_alu instid0(VALU_DEP_4) | instskip(NEXT) | instid1(VALU_DEP_3)
	v_mad_u64_u32 v[13:14], null, v2, s23, v[9:10]
	v_mad_u64_u32 v[21:22], null, v0, s23, v[5:6]
	v_dual_mov_b32 v5, v17 :: v_dual_lshlrev_b32 v22, 7, v15
	s_delay_alu instid0(VALU_DEP_4) | instskip(SKIP_1) | instid1(VALU_DEP_3)
	v_mov_b32_e32 v9, v20
	v_add_co_u32 v4, vcc_lo, v4, v6
	v_add_nc_u32_e32 v24, 0x1000, v22
	v_cmp_gt_i64_e64 s18, s[30:31], 0
	v_add_co_ci_u32_e32 v5, vcc_lo, 0, v5, vcc_lo
	v_add_co_u32 v16, vcc_lo, v16, v15
	v_add_co_ci_u32_e64 v11, null, s21, 0, s5
	s_cselect_b32 s5, -1, 0
	s_cmp_eq_u32 s35, 0
	v_add_co_ci_u32_e32 v14, vcc_lo, 0, v9, vcc_lo
	s_cselect_b32 vcc_lo, -1, 0
	s_and_b32 s38, s3, s18
	s_and_b32 s39, s4, s18
	s_add_u32 s40, s30, -1
	s_addc_u32 s41, s31, -1
	v_dual_mov_b32 v20, v13 :: v_dual_cndmask_b32 v13, v4, v16
	v_cndmask_b32_e32 v14, v5, v14, vcc_lo
	s_and_b32 s18, s30, 7
	s_mov_b32 s19, s36
	v_dual_mov_b32 v4, s36 :: v_dual_mov_b32 v5, s37
	v_cmp_gt_u64_e64 s40, s[40:41], 6
	v_add_lshl_u32 v9, v23, v6, 2
	s_and_b32 s35, s31, 0x7fffffff
	s_and_b32 s34, s30, -8
	v_lshl_add_u32 v23, v6, 7, 0x2000
	s_cmp_lg_u64 s[18:19], 0
	s_cselect_b32 s41, -1, 0
	s_branch .LBB83_13
.LBB83_11:                              ;   in Loop: Header=BB83_13 Depth=1
	s_or_b32 exec_lo, exec_lo, s43
.LBB83_12:                              ;   in Loop: Header=BB83_13 Depth=1
	s_delay_alu instid0(SALU_CYCLE_1) | instskip(SKIP_2) | instid1(SALU_CYCLE_1)
	s_or_b32 exec_lo, exec_lo, s42
	s_add_u32 s28, s28, 1
	s_addc_u32 s29, s29, 0
	v_cmp_ge_i64_e64 s36, s[28:29], s[26:27]
	s_barrier
	buffer_gl0_inv
	s_and_b32 vcc_lo, exec_lo, s36
	s_cbranch_vccnz .LBB83_37
.LBB83_13:                              ; =>This Loop Header: Depth=1
                                        ;     Child Loop BB83_24 Depth 2
                                        ;     Child Loop BB83_28 Depth 2
	;; [unrolled: 1-line block ×4, first 2 shown]
	s_and_saveexec_b32 s36, s2
	s_cbranch_execz .LBB83_18
; %bb.14:                               ;   in Loop: Header=BB83_13 Depth=1
	s_lshl_b64 s[42:43], s[28:29], 3
	s_delay_alu instid0(SALU_CYCLE_1)
	s_add_u32 s42, s16, s42
	s_addc_u32 s43, s17, s43
	s_load_b64 s[42:43], s[42:43], 0x0
	s_waitcnt lgkmcnt(0)
	s_sub_u32 s37, s42, s9
	s_subb_u32 s42, s43, 0
	v_mad_u64_u32 v[17:18], null, s37, s30, v[6:7]
	s_mul_i32 s43, s37, s31
	s_mul_i32 s42, s42, s30
	s_delay_alu instid0(SALU_CYCLE_1)
	s_add_i32 s43, s43, s42
	s_delay_alu instid0(VALU_DEP_1) | instid1(SALU_CYCLE_1)
	v_add_nc_u32_e32 v18, s43, v18
	s_delay_alu instid0(VALU_DEP_2) | instskip(SKIP_1) | instid1(VALU_DEP_3)
	v_mul_lo_u32 v25, v17, s23
	v_mad_u64_u32 v[15:16], null, v17, s22, s[20:21]
	v_mul_lo_u32 v26, v18, s22
	v_mad_u64_u32 v[17:18], null, s37, s30, v[10:11]
	s_delay_alu instid0(VALU_DEP_2) | instskip(NEXT) | instid1(VALU_DEP_2)
	v_add3_u32 v16, v26, v16, v25
	v_add_nc_u32_e32 v18, s43, v18
	s_and_saveexec_b32 s37, s3
	s_cbranch_execz .LBB83_16
; %bb.15:                               ;   in Loop: Header=BB83_13 Depth=1
	s_delay_alu instid0(VALU_DEP_3) | instskip(NEXT) | instid1(VALU_DEP_2)
	v_add_co_u32 v25, vcc_lo, v17, v8
	v_add_co_ci_u32_e32 v26, vcc_lo, v18, v20, vcc_lo
	v_add_co_u32 v27, vcc_lo, v15, v2
	v_add_co_ci_u32_e32 v28, vcc_lo, 0, v16, vcc_lo
	s_delay_alu instid0(VALU_DEP_2) | instskip(NEXT) | instid1(VALU_DEP_2)
	v_cndmask_b32_e64 v25, v27, v25, s5
	v_cndmask_b32_e64 v26, v28, v26, s5
	global_load_i8 v25, v[25:26], off
	s_waitcnt vmcnt(0)
	v_cvt_f32_i32_e32 v25, v25
	ds_store_b32 v9, v25
.LBB83_16:                              ;   in Loop: Header=BB83_13 Depth=1
	s_or_b32 exec_lo, exec_lo, s37
	s_delay_alu instid0(SALU_CYCLE_1)
	s_and_b32 exec_lo, exec_lo, s4
	s_cbranch_execz .LBB83_18
; %bb.17:                               ;   in Loop: Header=BB83_13 Depth=1
	v_add_co_u32 v17, vcc_lo, v17, v12
	v_add_co_ci_u32_e32 v18, vcc_lo, v18, v21, vcc_lo
	v_add_co_u32 v15, vcc_lo, v15, v0
	v_add_co_ci_u32_e32 v16, vcc_lo, 0, v16, vcc_lo
	s_delay_alu instid0(VALU_DEP_2) | instskip(NEXT) | instid1(VALU_DEP_2)
	v_cndmask_b32_e64 v15, v15, v17, s5
	v_cndmask_b32_e64 v16, v16, v18, s5
	global_load_i8 v15, v[15:16], off
	s_waitcnt vmcnt(0)
	v_cvt_f32_i32_e32 v15, v15
	ds_store_b32 v9, v15 offset:4096
.LBB83_18:                              ;   in Loop: Header=BB83_13 Depth=1
	s_or_b32 exec_lo, exec_lo, s36
	s_and_saveexec_b32 s36, s33
	s_cbranch_execz .LBB83_20
; %bb.19:                               ;   in Loop: Header=BB83_13 Depth=1
	v_mad_u64_u32 v[15:16], null, s15, s28, v[13:14]
	s_mul_i32 s37, s25, s28
	s_mul_i32 s42, s15, s29
	s_delay_alu instid0(VALU_DEP_1) | instid1(SALU_CYCLE_1)
	v_add3_u32 v16, s42, s37, v16
	global_load_i8 v15, v[15:16], off
	s_waitcnt vmcnt(0)
	v_cvt_f32_i32_e32 v15, v15
	ds_store_b32 v19, v15
.LBB83_20:                              ;   in Loop: Header=BB83_13 Depth=1
	s_or_b32 exec_lo, exec_lo, s36
	s_waitcnt lgkmcnt(0)
	s_barrier
	buffer_gl0_inv
	s_and_saveexec_b32 s42, s2
	s_cbranch_execz .LBB83_12
; %bb.21:                               ;   in Loop: Header=BB83_13 Depth=1
	s_and_saveexec_b32 s43, s38
	s_cbranch_execz .LBB83_29
; %bb.22:                               ;   in Loop: Header=BB83_13 Depth=1
	s_and_not1_b32 vcc_lo, exec_lo, s40
	s_cbranch_vccnz .LBB83_26
; %bb.23:                               ;   in Loop: Header=BB83_13 Depth=1
	v_dual_mov_b32 v15, v23 :: v_dual_mov_b32 v16, v22
	s_mov_b64 s[36:37], 0
	.p2align	6
.LBB83_24:                              ;   Parent Loop BB83_13 Depth=1
                                        ; =>  This Inner Loop Header: Depth=2
	ds_load_b128 v[25:28], v16
	ds_load_b128 v[29:32], v15
	ds_load_b128 v[33:36], v15 offset:16
	ds_load_b128 v[37:40], v16 offset:16
	s_add_u32 s36, s36, 8
	v_add_nc_u32_e32 v16, 32, v16
	s_addc_u32 s37, s37, 0
	v_add_nc_u32_e32 v15, 32, v15
	s_cmp_lg_u64 s[34:35], s[36:37]
	s_waitcnt lgkmcnt(2)
	v_fma_f32 v4, v29, v25, v4
	s_delay_alu instid0(VALU_DEP_1) | instskip(NEXT) | instid1(VALU_DEP_1)
	v_fmac_f32_e32 v4, v30, v26
	v_fmac_f32_e32 v4, v31, v27
	s_delay_alu instid0(VALU_DEP_1) | instskip(SKIP_1) | instid1(VALU_DEP_1)
	v_fmac_f32_e32 v4, v32, v28
	s_waitcnt lgkmcnt(0)
	v_fmac_f32_e32 v4, v33, v37
	s_delay_alu instid0(VALU_DEP_1) | instskip(NEXT) | instid1(VALU_DEP_1)
	v_fmac_f32_e32 v4, v34, v38
	v_fmac_f32_e32 v4, v35, v39
	s_delay_alu instid0(VALU_DEP_1)
	v_fmac_f32_e32 v4, v36, v40
	s_cbranch_scc1 .LBB83_24
; %bb.25:                               ;   in Loop: Header=BB83_13 Depth=1
	s_mov_b64 s[36:37], s[34:35]
	s_and_not1_b32 vcc_lo, exec_lo, s41
	s_cbranch_vccz .LBB83_27
	s_branch .LBB83_29
.LBB83_26:                              ;   in Loop: Header=BB83_13 Depth=1
	s_mov_b64 s[36:37], 0
	s_and_not1_b32 vcc_lo, exec_lo, s41
	s_cbranch_vccnz .LBB83_29
.LBB83_27:                              ;   in Loop: Header=BB83_13 Depth=1
	s_lshl_b32 s36, s36, 2
	s_delay_alu instid0(SALU_CYCLE_1)
	v_add_nc_u32_e32 v15, s36, v22
	v_add_nc_u32_e32 v16, s36, v23
	s_mov_b64 s[36:37], s[18:19]
.LBB83_28:                              ;   Parent Loop BB83_13 Depth=1
                                        ; =>  This Inner Loop Header: Depth=2
	ds_load_b32 v17, v16
	ds_load_b32 v18, v15
	v_add_nc_u32_e32 v15, 4, v15
	v_add_nc_u32_e32 v16, 4, v16
	s_add_u32 s36, s36, -1
	s_addc_u32 s37, s37, -1
	s_delay_alu instid0(SALU_CYCLE_1)
	s_cmp_lg_u64 s[36:37], 0
	s_waitcnt lgkmcnt(0)
	v_fma_f32 v4, v17, v18, v4
	s_cbranch_scc1 .LBB83_28
.LBB83_29:                              ;   in Loop: Header=BB83_13 Depth=1
	s_or_b32 exec_lo, exec_lo, s43
	s_and_saveexec_b32 s43, s39
	s_cbranch_execz .LBB83_11
; %bb.30:                               ;   in Loop: Header=BB83_13 Depth=1
	s_and_not1_b32 vcc_lo, exec_lo, s40
	s_cbranch_vccnz .LBB83_34
; %bb.31:                               ;   in Loop: Header=BB83_13 Depth=1
	v_dual_mov_b32 v15, v23 :: v_dual_mov_b32 v16, v24
	s_mov_b64 s[36:37], 0
	.p2align	6
.LBB83_32:                              ;   Parent Loop BB83_13 Depth=1
                                        ; =>  This Inner Loop Header: Depth=2
	ds_load_b128 v[25:28], v16
	ds_load_b128 v[29:32], v15
	ds_load_b128 v[33:36], v15 offset:16
	ds_load_b128 v[37:40], v16 offset:16
	s_add_u32 s36, s36, 8
	v_add_nc_u32_e32 v15, 32, v15
	s_addc_u32 s37, s37, 0
	v_add_nc_u32_e32 v16, 32, v16
	s_cmp_lg_u64 s[34:35], s[36:37]
	s_waitcnt lgkmcnt(2)
	v_fma_f32 v5, v29, v25, v5
	s_delay_alu instid0(VALU_DEP_1) | instskip(NEXT) | instid1(VALU_DEP_1)
	v_fmac_f32_e32 v5, v30, v26
	v_fmac_f32_e32 v5, v31, v27
	s_delay_alu instid0(VALU_DEP_1) | instskip(SKIP_1) | instid1(VALU_DEP_1)
	v_fmac_f32_e32 v5, v32, v28
	s_waitcnt lgkmcnt(0)
	v_fmac_f32_e32 v5, v33, v37
	s_delay_alu instid0(VALU_DEP_1) | instskip(NEXT) | instid1(VALU_DEP_1)
	v_fmac_f32_e32 v5, v34, v38
	v_fmac_f32_e32 v5, v35, v39
	s_delay_alu instid0(VALU_DEP_1)
	v_fmac_f32_e32 v5, v36, v40
	s_cbranch_scc1 .LBB83_32
; %bb.33:                               ;   in Loop: Header=BB83_13 Depth=1
	s_mov_b64 s[36:37], s[34:35]
	s_and_not1_b32 vcc_lo, exec_lo, s41
	s_cbranch_vccz .LBB83_35
	s_branch .LBB83_11
.LBB83_34:                              ;   in Loop: Header=BB83_13 Depth=1
	s_mov_b64 s[36:37], 0
	s_and_not1_b32 vcc_lo, exec_lo, s41
	s_cbranch_vccnz .LBB83_11
.LBB83_35:                              ;   in Loop: Header=BB83_13 Depth=1
	s_lshl_b32 s36, s36, 2
	s_delay_alu instid0(SALU_CYCLE_1)
	v_add_nc_u32_e32 v15, s36, v24
	v_add_nc_u32_e32 v16, s36, v23
	s_mov_b64 s[36:37], s[18:19]
.LBB83_36:                              ;   Parent Loop BB83_13 Depth=1
                                        ; =>  This Inner Loop Header: Depth=2
	ds_load_b32 v17, v16
	ds_load_b32 v18, v15
	v_add_nc_u32_e32 v15, 4, v15
	v_add_nc_u32_e32 v16, 4, v16
	s_add_u32 s36, s36, -1
	s_addc_u32 s37, s37, -1
	s_delay_alu instid0(SALU_CYCLE_1)
	s_cmp_lg_u64 s[36:37], 0
	s_waitcnt lgkmcnt(0)
	v_fma_f32 v5, v17, v18, v5
	s_cbranch_scc1 .LBB83_36
	s_branch .LBB83_11
.LBB83_37:
	s_delay_alu instid0(VALU_DEP_1) | instskip(NEXT) | instid1(SALU_CYCLE_1)
	s_and_b32 s2, s13, s2
	s_and_saveexec_b32 s3, s2
	s_cbranch_execz .LBB83_57
; %bb.38:
	v_mad_u64_u32 v[8:9], null, s14, s30, v[6:7]
	s_load_b64 s[2:3], s[0:1], 0x78
	v_cmp_neq_f32_e64 s4, s24, 0
	s_cmp_lg_u32 s8, 1
	s_cselect_b32 s1, -1, 0
	s_delay_alu instid0(VALU_DEP_2) | instskip(NEXT) | instid1(VALU_DEP_1)
	v_mov_b32_e32 v6, v9
	v_mad_u64_u32 v[9:10], null, s14, s31, v[6:7]
	s_waitcnt lgkmcnt(0)
	v_mul_lo_u32 v10, v8, s3
	v_mad_u64_u32 v[6:7], null, v8, s2, 0
	s_delay_alu instid0(VALU_DEP_3) | instskip(NEXT) | instid1(VALU_DEP_1)
	v_mul_lo_u32 v11, v9, s2
	v_add3_u32 v7, v7, v10, v11
	v_lshlrev_b64 v[10:11], 2, v[8:9]
	s_delay_alu instid0(VALU_DEP_2) | instskip(NEXT) | instid1(VALU_DEP_1)
	v_lshlrev_b64 v[6:7], 2, v[6:7]
	v_add_co_u32 v8, s0, s10, v6
	s_delay_alu instid0(VALU_DEP_1) | instskip(NEXT) | instid1(VALU_DEP_4)
	v_add_co_ci_u32_e64 v9, s0, s11, v7, s0
	v_add_co_u32 v6, s0, s10, v10
	s_delay_alu instid0(VALU_DEP_1)
	v_add_co_ci_u32_e64 v7, s0, s11, v11, s0
	s_mov_b32 s0, exec_lo
	v_cmpx_gt_i64_e64 s[6:7], v[2:3]
	s_cbranch_execz .LBB83_50
; %bb.39:
	s_and_b32 vcc_lo, exec_lo, s4
	s_cbranch_vccz .LBB83_45
; %bb.40:
	s_and_b32 vcc_lo, exec_lo, s1
	s_mov_b32 s5, -1
	s_cbranch_vccz .LBB83_42
; %bb.41:
	v_lshlrev_b64 v[10:11], 2, v[2:3]
	v_mul_f32_e32 v13, s12, v4
	s_mov_b32 s5, 0
	s_delay_alu instid0(VALU_DEP_2) | instskip(NEXT) | instid1(VALU_DEP_3)
	v_add_co_u32 v10, vcc_lo, v8, v10
	v_add_co_ci_u32_e32 v11, vcc_lo, v9, v11, vcc_lo
	global_load_b32 v12, v[10:11], off
	s_waitcnt vmcnt(0)
	v_fmac_f32_e32 v13, s24, v12
	global_store_b32 v[10:11], v13, off
.LBB83_42:
	s_and_not1_b32 vcc_lo, exec_lo, s5
	s_cbranch_vccnz .LBB83_44
; %bb.43:
	v_mad_u64_u32 v[10:11], null, v2, s2, 0
	s_delay_alu instid0(VALU_DEP_1) | instskip(SKIP_1) | instid1(VALU_DEP_2)
	v_mad_u64_u32 v[12:13], null, v2, s3, v[11:12]
	v_mul_f32_e32 v13, s12, v4
	v_mov_b32_e32 v11, v12
	s_delay_alu instid0(VALU_DEP_1) | instskip(NEXT) | instid1(VALU_DEP_1)
	v_lshlrev_b64 v[10:11], 2, v[10:11]
	v_add_co_u32 v10, vcc_lo, v6, v10
	s_delay_alu instid0(VALU_DEP_2)
	v_add_co_ci_u32_e32 v11, vcc_lo, v7, v11, vcc_lo
	global_load_b32 v12, v[10:11], off
	s_waitcnt vmcnt(0)
	v_fmac_f32_e32 v13, s24, v12
	global_store_b32 v[10:11], v13, off
.LBB83_44:
	s_cbranch_execz .LBB83_46
	s_branch .LBB83_50
.LBB83_45:
.LBB83_46:
	v_mul_f32_e32 v4, s12, v4
	s_and_b32 vcc_lo, exec_lo, s1
	s_mov_b32 s5, -1
	s_cbranch_vccz .LBB83_48
; %bb.47:
	v_lshlrev_b64 v[10:11], 2, v[2:3]
	s_mov_b32 s5, 0
	s_delay_alu instid0(VALU_DEP_1) | instskip(NEXT) | instid1(VALU_DEP_2)
	v_add_co_u32 v10, vcc_lo, v8, v10
	v_add_co_ci_u32_e32 v11, vcc_lo, v9, v11, vcc_lo
	global_store_b32 v[10:11], v4, off
.LBB83_48:
	s_and_not1_b32 vcc_lo, exec_lo, s5
	s_cbranch_vccnz .LBB83_50
; %bb.49:
	v_mad_u64_u32 v[10:11], null, v2, s2, 0
	s_delay_alu instid0(VALU_DEP_1) | instskip(NEXT) | instid1(VALU_DEP_1)
	v_mov_b32_e32 v3, v11
	v_mad_u64_u32 v[11:12], null, v2, s3, v[3:4]
	s_delay_alu instid0(VALU_DEP_1) | instskip(NEXT) | instid1(VALU_DEP_1)
	v_lshlrev_b64 v[2:3], 2, v[10:11]
	v_add_co_u32 v2, vcc_lo, v6, v2
	s_delay_alu instid0(VALU_DEP_2)
	v_add_co_ci_u32_e32 v3, vcc_lo, v7, v3, vcc_lo
	global_store_b32 v[2:3], v4, off
.LBB83_50:
	s_or_b32 exec_lo, exec_lo, s0
	v_cmp_gt_i64_e32 vcc_lo, s[6:7], v[0:1]
	s_and_b32 exec_lo, exec_lo, vcc_lo
	s_cbranch_execz .LBB83_57
; %bb.51:
	v_cndmask_b32_e64 v2, 0, 1, s1
	s_and_not1_b32 vcc_lo, exec_lo, s4
	s_delay_alu instid0(VALU_DEP_1)
	v_cmp_ne_u32_e64 s0, 1, v2
	s_cbranch_vccnz .LBB83_58
; %bb.52:
	s_delay_alu instid0(VALU_DEP_1)
	s_and_b32 vcc_lo, exec_lo, s0
	s_mov_b32 s0, -1
	s_cbranch_vccnz .LBB83_54
; %bb.53:
	v_lshlrev_b64 v[2:3], 2, v[0:1]
	v_mul_f32_e32 v10, s12, v5
	s_mov_b32 s0, 0
	s_delay_alu instid0(VALU_DEP_2) | instskip(NEXT) | instid1(VALU_DEP_3)
	v_add_co_u32 v2, vcc_lo, v8, v2
	v_add_co_ci_u32_e32 v3, vcc_lo, v9, v3, vcc_lo
	global_load_b32 v4, v[2:3], off
	s_waitcnt vmcnt(0)
	v_fmac_f32_e32 v10, s24, v4
	global_store_b32 v[2:3], v10, off
.LBB83_54:
	s_and_not1_b32 vcc_lo, exec_lo, s0
	s_cbranch_vccnz .LBB83_56
; %bb.55:
	v_mad_u64_u32 v[2:3], null, v0, s2, 0
	s_delay_alu instid0(VALU_DEP_1) | instskip(NEXT) | instid1(VALU_DEP_1)
	v_mad_u64_u32 v[10:11], null, v0, s3, v[3:4]
	v_dual_mov_b32 v3, v10 :: v_dual_mul_f32 v10, s12, v5
	s_delay_alu instid0(VALU_DEP_1) | instskip(NEXT) | instid1(VALU_DEP_1)
	v_lshlrev_b64 v[2:3], 2, v[2:3]
	v_add_co_u32 v2, vcc_lo, v6, v2
	s_delay_alu instid0(VALU_DEP_2)
	v_add_co_ci_u32_e32 v3, vcc_lo, v7, v3, vcc_lo
	global_load_b32 v4, v[2:3], off
	s_waitcnt vmcnt(0)
	v_fmac_f32_e32 v10, s24, v4
	global_store_b32 v[2:3], v10, off
.LBB83_56:
	s_cbranch_execz .LBB83_59
.LBB83_57:
	s_nop 0
	s_sendmsg sendmsg(MSG_DEALLOC_VGPRS)
	s_endpgm
.LBB83_58:
.LBB83_59:
	v_mul_f32_e32 v2, s12, v5
	s_and_not1_b32 vcc_lo, exec_lo, s1
	s_mov_b32 s0, -1
	s_cbranch_vccnz .LBB83_61
; %bb.60:
	v_lshlrev_b64 v[3:4], 2, v[0:1]
	s_mov_b32 s0, 0
	s_delay_alu instid0(VALU_DEP_1) | instskip(NEXT) | instid1(VALU_DEP_2)
	v_add_co_u32 v3, vcc_lo, v8, v3
	v_add_co_ci_u32_e32 v4, vcc_lo, v9, v4, vcc_lo
	global_store_b32 v[3:4], v2, off
.LBB83_61:
	s_and_not1_b32 vcc_lo, exec_lo, s0
	s_cbranch_vccnz .LBB83_57
; %bb.62:
	v_mad_u64_u32 v[3:4], null, v0, s2, 0
	s_delay_alu instid0(VALU_DEP_1) | instskip(NEXT) | instid1(VALU_DEP_1)
	v_mov_b32_e32 v1, v4
	v_mad_u64_u32 v[4:5], null, v0, s3, v[1:2]
	s_delay_alu instid0(VALU_DEP_1) | instskip(NEXT) | instid1(VALU_DEP_1)
	v_lshlrev_b64 v[0:1], 2, v[3:4]
	v_add_co_u32 v0, vcc_lo, v6, v0
	s_delay_alu instid0(VALU_DEP_2)
	v_add_co_ci_u32_e32 v1, vcc_lo, v7, v1, vcc_lo
	global_store_b32 v[0:1], v2, off
	s_nop 0
	s_sendmsg sendmsg(MSG_DEALLOC_VGPRS)
	s_endpgm
	.section	.rodata,"a",@progbits
	.p2align	6, 0x0
	.amdhsa_kernel _ZN9rocsparseL31bsrmm_large_blockdim_kernel_extILj32ELj32ELj2EllaaffEEvb20rocsparse_direction_T3_S2_llNS_24const_host_device_scalarIT7_EEPKT2_PKS2_PKT4_S2_PKT5_llS5_PT6_ll16rocsparse_order_21rocsparse_index_base_b
		.amdhsa_group_segment_fixed_size 12288
		.amdhsa_private_segment_fixed_size 0
		.amdhsa_kernarg_size 148
		.amdhsa_user_sgpr_count 14
		.amdhsa_user_sgpr_dispatch_ptr 0
		.amdhsa_user_sgpr_queue_ptr 0
		.amdhsa_user_sgpr_kernarg_segment_ptr 1
		.amdhsa_user_sgpr_dispatch_id 0
		.amdhsa_user_sgpr_private_segment_size 0
		.amdhsa_wavefront_size32 1
		.amdhsa_uses_dynamic_stack 0
		.amdhsa_enable_private_segment 0
		.amdhsa_system_sgpr_workgroup_id_x 1
		.amdhsa_system_sgpr_workgroup_id_y 1
		.amdhsa_system_sgpr_workgroup_id_z 0
		.amdhsa_system_sgpr_workgroup_info 0
		.amdhsa_system_vgpr_workitem_id 1
		.amdhsa_next_free_vgpr 41
		.amdhsa_next_free_sgpr 44
		.amdhsa_reserve_vcc 1
		.amdhsa_float_round_mode_32 0
		.amdhsa_float_round_mode_16_64 0
		.amdhsa_float_denorm_mode_32 3
		.amdhsa_float_denorm_mode_16_64 3
		.amdhsa_dx10_clamp 1
		.amdhsa_ieee_mode 1
		.amdhsa_fp16_overflow 0
		.amdhsa_workgroup_processor_mode 1
		.amdhsa_memory_ordered 1
		.amdhsa_forward_progress 0
		.amdhsa_shared_vgpr_count 0
		.amdhsa_exception_fp_ieee_invalid_op 0
		.amdhsa_exception_fp_denorm_src 0
		.amdhsa_exception_fp_ieee_div_zero 0
		.amdhsa_exception_fp_ieee_overflow 0
		.amdhsa_exception_fp_ieee_underflow 0
		.amdhsa_exception_fp_ieee_inexact 0
		.amdhsa_exception_int_div_zero 0
	.end_amdhsa_kernel
	.section	.text._ZN9rocsparseL31bsrmm_large_blockdim_kernel_extILj32ELj32ELj2EllaaffEEvb20rocsparse_direction_T3_S2_llNS_24const_host_device_scalarIT7_EEPKT2_PKS2_PKT4_S2_PKT5_llS5_PT6_ll16rocsparse_order_21rocsparse_index_base_b,"axG",@progbits,_ZN9rocsparseL31bsrmm_large_blockdim_kernel_extILj32ELj32ELj2EllaaffEEvb20rocsparse_direction_T3_S2_llNS_24const_host_device_scalarIT7_EEPKT2_PKS2_PKT4_S2_PKT5_llS5_PT6_ll16rocsparse_order_21rocsparse_index_base_b,comdat
.Lfunc_end83:
	.size	_ZN9rocsparseL31bsrmm_large_blockdim_kernel_extILj32ELj32ELj2EllaaffEEvb20rocsparse_direction_T3_S2_llNS_24const_host_device_scalarIT7_EEPKT2_PKS2_PKT4_S2_PKT5_llS5_PT6_ll16rocsparse_order_21rocsparse_index_base_b, .Lfunc_end83-_ZN9rocsparseL31bsrmm_large_blockdim_kernel_extILj32ELj32ELj2EllaaffEEvb20rocsparse_direction_T3_S2_llNS_24const_host_device_scalarIT7_EEPKT2_PKS2_PKT4_S2_PKT5_llS5_PT6_ll16rocsparse_order_21rocsparse_index_base_b
                                        ; -- End function
	.section	.AMDGPU.csdata,"",@progbits
; Kernel info:
; codeLenInByte = 2512
; NumSgprs: 46
; NumVgprs: 41
; ScratchSize: 0
; MemoryBound: 0
; FloatMode: 240
; IeeeMode: 1
; LDSByteSize: 12288 bytes/workgroup (compile time only)
; SGPRBlocks: 5
; VGPRBlocks: 5
; NumSGPRsForWavesPerEU: 46
; NumVGPRsForWavesPerEU: 41
; Occupancy: 16
; WaveLimiterHint : 1
; COMPUTE_PGM_RSRC2:SCRATCH_EN: 0
; COMPUTE_PGM_RSRC2:USER_SGPR: 14
; COMPUTE_PGM_RSRC2:TRAP_HANDLER: 0
; COMPUTE_PGM_RSRC2:TGID_X_EN: 1
; COMPUTE_PGM_RSRC2:TGID_Y_EN: 1
; COMPUTE_PGM_RSRC2:TGID_Z_EN: 0
; COMPUTE_PGM_RSRC2:TIDIG_COMP_CNT: 1
	.text
	.p2alignl 7, 3214868480
	.fill 96, 4, 3214868480
	.type	__hip_cuid_7a59d373b4422e4d,@object ; @__hip_cuid_7a59d373b4422e4d
	.section	.bss,"aw",@nobits
	.globl	__hip_cuid_7a59d373b4422e4d
__hip_cuid_7a59d373b4422e4d:
	.byte	0                               ; 0x0
	.size	__hip_cuid_7a59d373b4422e4d, 1

	.ident	"AMD clang version 19.0.0git (https://github.com/RadeonOpenCompute/llvm-project roc-6.4.0 25133 c7fe45cf4b819c5991fe208aaa96edf142730f1d)"
	.section	".note.GNU-stack","",@progbits
	.addrsig
	.addrsig_sym __hip_cuid_7a59d373b4422e4d
	.amdgpu_metadata
---
amdhsa.kernels:
  - .args:
      - .offset:         0
        .size:           1
        .value_kind:     by_value
      - .offset:         4
        .size:           4
        .value_kind:     by_value
      - .offset:         8
        .size:           4
        .value_kind:     by_value
      - .offset:         12
        .size:           4
        .value_kind:     by_value
      - .offset:         16
        .size:           8
        .value_kind:     by_value
      - .offset:         24
        .size:           8
        .value_kind:     by_value
      - .offset:         32
        .size:           8
        .value_kind:     by_value
      - .actual_access:  read_only
        .address_space:  global
        .offset:         40
        .size:           8
        .value_kind:     global_buffer
      - .actual_access:  read_only
        .address_space:  global
        .offset:         48
        .size:           8
        .value_kind:     global_buffer
      - .actual_access:  read_only
        .address_space:  global
        .offset:         56
        .size:           8
        .value_kind:     global_buffer
      - .offset:         64
        .size:           4
        .value_kind:     by_value
      - .actual_access:  read_only
        .address_space:  global
        .offset:         72
        .size:           8
        .value_kind:     global_buffer
      - .offset:         80
        .size:           8
        .value_kind:     by_value
      - .offset:         88
        .size:           8
        .value_kind:     by_value
      - .offset:         96
        .size:           8
        .value_kind:     by_value
      - .address_space:  global
        .offset:         104
        .size:           8
        .value_kind:     global_buffer
      - .offset:         112
        .size:           8
        .value_kind:     by_value
      - .offset:         120
        .size:           8
        .value_kind:     by_value
      - .offset:         128
        .size:           4
        .value_kind:     by_value
      - .offset:         132
        .size:           4
        .value_kind:     by_value
      - .offset:         136
        .size:           1
        .value_kind:     by_value
    .group_segment_fixed_size: 768
    .kernarg_segment_align: 8
    .kernarg_segment_size: 140
    .language:       OpenCL C
    .language_version:
      - 2
      - 0
    .max_flat_workgroup_size: 64
    .name:           _ZN9rocsparseL31bsrmm_large_blockdim_kernel_extILj8ELj8ELj2EiiffffEEvb20rocsparse_direction_T3_S2_llNS_24const_host_device_scalarIT7_EEPKT2_PKS2_PKT4_S2_PKT5_llS5_PT6_ll16rocsparse_order_21rocsparse_index_base_b
    .private_segment_fixed_size: 0
    .sgpr_count:     40
    .sgpr_spill_count: 0
    .symbol:         _ZN9rocsparseL31bsrmm_large_blockdim_kernel_extILj8ELj8ELj2EiiffffEEvb20rocsparse_direction_T3_S2_llNS_24const_host_device_scalarIT7_EEPKT2_PKS2_PKT4_S2_PKT5_llS5_PT6_ll16rocsparse_order_21rocsparse_index_base_b.kd
    .uniform_work_group_size: 1
    .uses_dynamic_stack: false
    .vgpr_count:     37
    .vgpr_spill_count: 0
    .wavefront_size: 32
    .workgroup_processor_mode: 1
  - .args:
      - .offset:         0
        .size:           1
        .value_kind:     by_value
      - .offset:         4
        .size:           4
        .value_kind:     by_value
      - .offset:         8
        .size:           4
        .value_kind:     by_value
      - .offset:         12
        .size:           4
        .value_kind:     by_value
      - .offset:         16
        .size:           8
        .value_kind:     by_value
      - .offset:         24
        .size:           8
        .value_kind:     by_value
      - .offset:         32
        .size:           8
        .value_kind:     by_value
      - .actual_access:  read_only
        .address_space:  global
        .offset:         40
        .size:           8
        .value_kind:     global_buffer
      - .actual_access:  read_only
        .address_space:  global
        .offset:         48
        .size:           8
        .value_kind:     global_buffer
      - .actual_access:  read_only
        .address_space:  global
        .offset:         56
        .size:           8
        .value_kind:     global_buffer
      - .offset:         64
        .size:           4
        .value_kind:     by_value
      - .actual_access:  read_only
        .address_space:  global
        .offset:         72
        .size:           8
        .value_kind:     global_buffer
      - .offset:         80
        .size:           8
        .value_kind:     by_value
      - .offset:         88
        .size:           8
        .value_kind:     by_value
      - .offset:         96
        .size:           8
        .value_kind:     by_value
      - .address_space:  global
        .offset:         104
        .size:           8
        .value_kind:     global_buffer
      - .offset:         112
        .size:           8
        .value_kind:     by_value
      - .offset:         120
        .size:           8
        .value_kind:     by_value
      - .offset:         128
        .size:           4
        .value_kind:     by_value
      - .offset:         132
        .size:           4
        .value_kind:     by_value
      - .offset:         136
        .size:           1
        .value_kind:     by_value
    .group_segment_fixed_size: 576
    .kernarg_segment_align: 8
    .kernarg_segment_size: 140
    .language:       OpenCL C
    .language_version:
      - 2
      - 0
    .max_flat_workgroup_size: 64
    .name:           _ZN9rocsparseL31bsrmm_large_blockdim_kernel_extILj4ELj16ELj2EiiffffEEvb20rocsparse_direction_T3_S2_llNS_24const_host_device_scalarIT7_EEPKT2_PKS2_PKT4_S2_PKT5_llS5_PT6_ll16rocsparse_order_21rocsparse_index_base_b
    .private_segment_fixed_size: 0
    .sgpr_count:     40
    .sgpr_spill_count: 0
    .symbol:         _ZN9rocsparseL31bsrmm_large_blockdim_kernel_extILj4ELj16ELj2EiiffffEEvb20rocsparse_direction_T3_S2_llNS_24const_host_device_scalarIT7_EEPKT2_PKS2_PKT4_S2_PKT5_llS5_PT6_ll16rocsparse_order_21rocsparse_index_base_b.kd
    .uniform_work_group_size: 1
    .uses_dynamic_stack: false
    .vgpr_count:     37
    .vgpr_spill_count: 0
    .wavefront_size: 32
    .workgroup_processor_mode: 1
  - .args:
      - .offset:         0
        .size:           1
        .value_kind:     by_value
      - .offset:         4
        .size:           4
        .value_kind:     by_value
      - .offset:         8
        .size:           4
        .value_kind:     by_value
      - .offset:         12
        .size:           4
        .value_kind:     by_value
      - .offset:         16
        .size:           8
        .value_kind:     by_value
      - .offset:         24
        .size:           8
        .value_kind:     by_value
      - .offset:         32
        .size:           8
        .value_kind:     by_value
      - .actual_access:  read_only
        .address_space:  global
        .offset:         40
        .size:           8
        .value_kind:     global_buffer
      - .actual_access:  read_only
        .address_space:  global
        .offset:         48
        .size:           8
        .value_kind:     global_buffer
      - .actual_access:  read_only
        .address_space:  global
        .offset:         56
        .size:           8
        .value_kind:     global_buffer
      - .offset:         64
        .size:           4
        .value_kind:     by_value
      - .actual_access:  read_only
        .address_space:  global
        .offset:         72
        .size:           8
        .value_kind:     global_buffer
      - .offset:         80
        .size:           8
        .value_kind:     by_value
      - .offset:         88
        .size:           8
        .value_kind:     by_value
      - .offset:         96
        .size:           8
        .value_kind:     by_value
      - .address_space:  global
        .offset:         104
        .size:           8
        .value_kind:     global_buffer
      - .offset:         112
        .size:           8
        .value_kind:     by_value
      - .offset:         120
        .size:           8
        .value_kind:     by_value
      - .offset:         128
        .size:           4
        .value_kind:     by_value
      - .offset:         132
        .size:           4
        .value_kind:     by_value
      - .offset:         136
        .size:           1
        .value_kind:     by_value
    .group_segment_fixed_size: 3072
    .kernarg_segment_align: 8
    .kernarg_segment_size: 140
    .language:       OpenCL C
    .language_version:
      - 2
      - 0
    .max_flat_workgroup_size: 256
    .name:           _ZN9rocsparseL31bsrmm_large_blockdim_kernel_extILj16ELj16ELj2EiiffffEEvb20rocsparse_direction_T3_S2_llNS_24const_host_device_scalarIT7_EEPKT2_PKS2_PKT4_S2_PKT5_llS5_PT6_ll16rocsparse_order_21rocsparse_index_base_b
    .private_segment_fixed_size: 0
    .sgpr_count:     40
    .sgpr_spill_count: 0
    .symbol:         _ZN9rocsparseL31bsrmm_large_blockdim_kernel_extILj16ELj16ELj2EiiffffEEvb20rocsparse_direction_T3_S2_llNS_24const_host_device_scalarIT7_EEPKT2_PKS2_PKT4_S2_PKT5_llS5_PT6_ll16rocsparse_order_21rocsparse_index_base_b.kd
    .uniform_work_group_size: 1
    .uses_dynamic_stack: false
    .vgpr_count:     37
    .vgpr_spill_count: 0
    .wavefront_size: 32
    .workgroup_processor_mode: 1
  - .args:
      - .offset:         0
        .size:           1
        .value_kind:     by_value
      - .offset:         4
        .size:           4
        .value_kind:     by_value
      - .offset:         8
        .size:           4
        .value_kind:     by_value
      - .offset:         12
        .size:           4
        .value_kind:     by_value
      - .offset:         16
        .size:           8
        .value_kind:     by_value
      - .offset:         24
        .size:           8
        .value_kind:     by_value
      - .offset:         32
        .size:           8
        .value_kind:     by_value
      - .actual_access:  read_only
        .address_space:  global
        .offset:         40
        .size:           8
        .value_kind:     global_buffer
      - .actual_access:  read_only
        .address_space:  global
        .offset:         48
        .size:           8
        .value_kind:     global_buffer
      - .actual_access:  read_only
        .address_space:  global
        .offset:         56
        .size:           8
        .value_kind:     global_buffer
      - .offset:         64
        .size:           4
        .value_kind:     by_value
      - .actual_access:  read_only
        .address_space:  global
        .offset:         72
        .size:           8
        .value_kind:     global_buffer
      - .offset:         80
        .size:           8
        .value_kind:     by_value
      - .offset:         88
        .size:           8
        .value_kind:     by_value
      - .offset:         96
        .size:           8
        .value_kind:     by_value
      - .address_space:  global
        .offset:         104
        .size:           8
        .value_kind:     global_buffer
      - .offset:         112
        .size:           8
        .value_kind:     by_value
      - .offset:         120
        .size:           8
        .value_kind:     by_value
      - .offset:         128
        .size:           4
        .value_kind:     by_value
      - .offset:         132
        .size:           4
        .value_kind:     by_value
      - .offset:         136
        .size:           1
        .value_kind:     by_value
    .group_segment_fixed_size: 12288
    .kernarg_segment_align: 8
    .kernarg_segment_size: 140
    .language:       OpenCL C
    .language_version:
      - 2
      - 0
    .max_flat_workgroup_size: 1024
    .name:           _ZN9rocsparseL31bsrmm_large_blockdim_kernel_extILj32ELj32ELj2EiiffffEEvb20rocsparse_direction_T3_S2_llNS_24const_host_device_scalarIT7_EEPKT2_PKS2_PKT4_S2_PKT5_llS5_PT6_ll16rocsparse_order_21rocsparse_index_base_b
    .private_segment_fixed_size: 0
    .sgpr_count:     40
    .sgpr_spill_count: 0
    .symbol:         _ZN9rocsparseL31bsrmm_large_blockdim_kernel_extILj32ELj32ELj2EiiffffEEvb20rocsparse_direction_T3_S2_llNS_24const_host_device_scalarIT7_EEPKT2_PKS2_PKT4_S2_PKT5_llS5_PT6_ll16rocsparse_order_21rocsparse_index_base_b.kd
    .uniform_work_group_size: 1
    .uses_dynamic_stack: false
    .vgpr_count:     37
    .vgpr_spill_count: 0
    .wavefront_size: 32
    .workgroup_processor_mode: 1
  - .args:
      - .offset:         0
        .size:           1
        .value_kind:     by_value
      - .offset:         4
        .size:           4
        .value_kind:     by_value
      - .offset:         8
        .size:           4
        .value_kind:     by_value
      - .offset:         12
        .size:           4
        .value_kind:     by_value
      - .offset:         16
        .size:           8
        .value_kind:     by_value
      - .offset:         24
        .size:           8
        .value_kind:     by_value
      - .offset:         32
        .size:           8
        .value_kind:     by_value
      - .actual_access:  read_only
        .address_space:  global
        .offset:         40
        .size:           8
        .value_kind:     global_buffer
      - .actual_access:  read_only
        .address_space:  global
        .offset:         48
        .size:           8
        .value_kind:     global_buffer
      - .actual_access:  read_only
        .address_space:  global
        .offset:         56
        .size:           8
        .value_kind:     global_buffer
      - .offset:         64
        .size:           4
        .value_kind:     by_value
      - .actual_access:  read_only
        .address_space:  global
        .offset:         72
        .size:           8
        .value_kind:     global_buffer
      - .offset:         80
        .size:           8
        .value_kind:     by_value
      - .offset:         88
        .size:           8
        .value_kind:     by_value
      - .offset:         96
        .size:           8
        .value_kind:     by_value
      - .address_space:  global
        .offset:         104
        .size:           8
        .value_kind:     global_buffer
      - .offset:         112
        .size:           8
        .value_kind:     by_value
      - .offset:         120
        .size:           8
        .value_kind:     by_value
      - .offset:         128
        .size:           4
        .value_kind:     by_value
      - .offset:         132
        .size:           4
        .value_kind:     by_value
      - .offset:         136
        .size:           1
        .value_kind:     by_value
    .group_segment_fixed_size: 768
    .kernarg_segment_align: 8
    .kernarg_segment_size: 140
    .language:       OpenCL C
    .language_version:
      - 2
      - 0
    .max_flat_workgroup_size: 64
    .name:           _ZN9rocsparseL31bsrmm_large_blockdim_kernel_extILj8ELj8ELj2EliffffEEvb20rocsparse_direction_T3_S2_llNS_24const_host_device_scalarIT7_EEPKT2_PKS2_PKT4_S2_PKT5_llS5_PT6_ll16rocsparse_order_21rocsparse_index_base_b
    .private_segment_fixed_size: 0
    .sgpr_count:     39
    .sgpr_spill_count: 0
    .symbol:         _ZN9rocsparseL31bsrmm_large_blockdim_kernel_extILj8ELj8ELj2EliffffEEvb20rocsparse_direction_T3_S2_llNS_24const_host_device_scalarIT7_EEPKT2_PKS2_PKT4_S2_PKT5_llS5_PT6_ll16rocsparse_order_21rocsparse_index_base_b.kd
    .uniform_work_group_size: 1
    .uses_dynamic_stack: false
    .vgpr_count:     38
    .vgpr_spill_count: 0
    .wavefront_size: 32
    .workgroup_processor_mode: 1
  - .args:
      - .offset:         0
        .size:           1
        .value_kind:     by_value
      - .offset:         4
        .size:           4
        .value_kind:     by_value
      - .offset:         8
        .size:           4
        .value_kind:     by_value
      - .offset:         12
        .size:           4
        .value_kind:     by_value
      - .offset:         16
        .size:           8
        .value_kind:     by_value
      - .offset:         24
        .size:           8
        .value_kind:     by_value
      - .offset:         32
        .size:           8
        .value_kind:     by_value
      - .actual_access:  read_only
        .address_space:  global
        .offset:         40
        .size:           8
        .value_kind:     global_buffer
      - .actual_access:  read_only
        .address_space:  global
        .offset:         48
        .size:           8
        .value_kind:     global_buffer
      - .actual_access:  read_only
        .address_space:  global
        .offset:         56
        .size:           8
        .value_kind:     global_buffer
      - .offset:         64
        .size:           4
        .value_kind:     by_value
      - .actual_access:  read_only
        .address_space:  global
        .offset:         72
        .size:           8
        .value_kind:     global_buffer
      - .offset:         80
        .size:           8
        .value_kind:     by_value
      - .offset:         88
        .size:           8
        .value_kind:     by_value
      - .offset:         96
        .size:           8
        .value_kind:     by_value
      - .address_space:  global
        .offset:         104
        .size:           8
        .value_kind:     global_buffer
      - .offset:         112
        .size:           8
        .value_kind:     by_value
      - .offset:         120
        .size:           8
        .value_kind:     by_value
      - .offset:         128
        .size:           4
        .value_kind:     by_value
      - .offset:         132
        .size:           4
        .value_kind:     by_value
      - .offset:         136
        .size:           1
        .value_kind:     by_value
    .group_segment_fixed_size: 576
    .kernarg_segment_align: 8
    .kernarg_segment_size: 140
    .language:       OpenCL C
    .language_version:
      - 2
      - 0
    .max_flat_workgroup_size: 64
    .name:           _ZN9rocsparseL31bsrmm_large_blockdim_kernel_extILj4ELj16ELj2EliffffEEvb20rocsparse_direction_T3_S2_llNS_24const_host_device_scalarIT7_EEPKT2_PKS2_PKT4_S2_PKT5_llS5_PT6_ll16rocsparse_order_21rocsparse_index_base_b
    .private_segment_fixed_size: 0
    .sgpr_count:     39
    .sgpr_spill_count: 0
    .symbol:         _ZN9rocsparseL31bsrmm_large_blockdim_kernel_extILj4ELj16ELj2EliffffEEvb20rocsparse_direction_T3_S2_llNS_24const_host_device_scalarIT7_EEPKT2_PKS2_PKT4_S2_PKT5_llS5_PT6_ll16rocsparse_order_21rocsparse_index_base_b.kd
    .uniform_work_group_size: 1
    .uses_dynamic_stack: false
    .vgpr_count:     38
    .vgpr_spill_count: 0
    .wavefront_size: 32
    .workgroup_processor_mode: 1
  - .args:
      - .offset:         0
        .size:           1
        .value_kind:     by_value
      - .offset:         4
        .size:           4
        .value_kind:     by_value
      - .offset:         8
        .size:           4
        .value_kind:     by_value
      - .offset:         12
        .size:           4
        .value_kind:     by_value
      - .offset:         16
        .size:           8
        .value_kind:     by_value
      - .offset:         24
        .size:           8
        .value_kind:     by_value
      - .offset:         32
        .size:           8
        .value_kind:     by_value
      - .actual_access:  read_only
        .address_space:  global
        .offset:         40
        .size:           8
        .value_kind:     global_buffer
      - .actual_access:  read_only
        .address_space:  global
        .offset:         48
        .size:           8
        .value_kind:     global_buffer
      - .actual_access:  read_only
        .address_space:  global
        .offset:         56
        .size:           8
        .value_kind:     global_buffer
      - .offset:         64
        .size:           4
        .value_kind:     by_value
      - .actual_access:  read_only
        .address_space:  global
        .offset:         72
        .size:           8
        .value_kind:     global_buffer
      - .offset:         80
        .size:           8
        .value_kind:     by_value
      - .offset:         88
        .size:           8
        .value_kind:     by_value
      - .offset:         96
        .size:           8
        .value_kind:     by_value
      - .address_space:  global
        .offset:         104
        .size:           8
        .value_kind:     global_buffer
      - .offset:         112
        .size:           8
        .value_kind:     by_value
      - .offset:         120
        .size:           8
        .value_kind:     by_value
      - .offset:         128
        .size:           4
        .value_kind:     by_value
      - .offset:         132
        .size:           4
        .value_kind:     by_value
      - .offset:         136
        .size:           1
        .value_kind:     by_value
    .group_segment_fixed_size: 3072
    .kernarg_segment_align: 8
    .kernarg_segment_size: 140
    .language:       OpenCL C
    .language_version:
      - 2
      - 0
    .max_flat_workgroup_size: 256
    .name:           _ZN9rocsparseL31bsrmm_large_blockdim_kernel_extILj16ELj16ELj2EliffffEEvb20rocsparse_direction_T3_S2_llNS_24const_host_device_scalarIT7_EEPKT2_PKS2_PKT4_S2_PKT5_llS5_PT6_ll16rocsparse_order_21rocsparse_index_base_b
    .private_segment_fixed_size: 0
    .sgpr_count:     39
    .sgpr_spill_count: 0
    .symbol:         _ZN9rocsparseL31bsrmm_large_blockdim_kernel_extILj16ELj16ELj2EliffffEEvb20rocsparse_direction_T3_S2_llNS_24const_host_device_scalarIT7_EEPKT2_PKS2_PKT4_S2_PKT5_llS5_PT6_ll16rocsparse_order_21rocsparse_index_base_b.kd
    .uniform_work_group_size: 1
    .uses_dynamic_stack: false
    .vgpr_count:     38
    .vgpr_spill_count: 0
    .wavefront_size: 32
    .workgroup_processor_mode: 1
  - .args:
      - .offset:         0
        .size:           1
        .value_kind:     by_value
      - .offset:         4
        .size:           4
        .value_kind:     by_value
      - .offset:         8
        .size:           4
        .value_kind:     by_value
      - .offset:         12
        .size:           4
        .value_kind:     by_value
      - .offset:         16
        .size:           8
        .value_kind:     by_value
      - .offset:         24
        .size:           8
        .value_kind:     by_value
      - .offset:         32
        .size:           8
        .value_kind:     by_value
      - .actual_access:  read_only
        .address_space:  global
        .offset:         40
        .size:           8
        .value_kind:     global_buffer
      - .actual_access:  read_only
        .address_space:  global
        .offset:         48
        .size:           8
        .value_kind:     global_buffer
      - .actual_access:  read_only
        .address_space:  global
        .offset:         56
        .size:           8
        .value_kind:     global_buffer
      - .offset:         64
        .size:           4
        .value_kind:     by_value
      - .actual_access:  read_only
        .address_space:  global
        .offset:         72
        .size:           8
        .value_kind:     global_buffer
      - .offset:         80
        .size:           8
        .value_kind:     by_value
      - .offset:         88
        .size:           8
        .value_kind:     by_value
      - .offset:         96
        .size:           8
        .value_kind:     by_value
      - .address_space:  global
        .offset:         104
        .size:           8
        .value_kind:     global_buffer
      - .offset:         112
        .size:           8
        .value_kind:     by_value
      - .offset:         120
        .size:           8
        .value_kind:     by_value
      - .offset:         128
        .size:           4
        .value_kind:     by_value
      - .offset:         132
        .size:           4
        .value_kind:     by_value
      - .offset:         136
        .size:           1
        .value_kind:     by_value
    .group_segment_fixed_size: 12288
    .kernarg_segment_align: 8
    .kernarg_segment_size: 140
    .language:       OpenCL C
    .language_version:
      - 2
      - 0
    .max_flat_workgroup_size: 1024
    .name:           _ZN9rocsparseL31bsrmm_large_blockdim_kernel_extILj32ELj32ELj2EliffffEEvb20rocsparse_direction_T3_S2_llNS_24const_host_device_scalarIT7_EEPKT2_PKS2_PKT4_S2_PKT5_llS5_PT6_ll16rocsparse_order_21rocsparse_index_base_b
    .private_segment_fixed_size: 0
    .sgpr_count:     39
    .sgpr_spill_count: 0
    .symbol:         _ZN9rocsparseL31bsrmm_large_blockdim_kernel_extILj32ELj32ELj2EliffffEEvb20rocsparse_direction_T3_S2_llNS_24const_host_device_scalarIT7_EEPKT2_PKS2_PKT4_S2_PKT5_llS5_PT6_ll16rocsparse_order_21rocsparse_index_base_b.kd
    .uniform_work_group_size: 1
    .uses_dynamic_stack: false
    .vgpr_count:     38
    .vgpr_spill_count: 0
    .wavefront_size: 32
    .workgroup_processor_mode: 1
  - .args:
      - .offset:         0
        .size:           1
        .value_kind:     by_value
      - .offset:         4
        .size:           4
        .value_kind:     by_value
      - .offset:         8
        .size:           8
        .value_kind:     by_value
      - .offset:         16
        .size:           8
        .value_kind:     by_value
      - .offset:         24
        .size:           8
        .value_kind:     by_value
      - .offset:         32
        .size:           8
        .value_kind:     by_value
      - .offset:         40
        .size:           8
        .value_kind:     by_value
      - .actual_access:  read_only
        .address_space:  global
        .offset:         48
        .size:           8
        .value_kind:     global_buffer
      - .actual_access:  read_only
        .address_space:  global
        .offset:         56
        .size:           8
        .value_kind:     global_buffer
      - .actual_access:  read_only
        .address_space:  global
        .offset:         64
        .size:           8
        .value_kind:     global_buffer
      - .offset:         72
        .size:           8
        .value_kind:     by_value
      - .actual_access:  read_only
        .address_space:  global
        .offset:         80
        .size:           8
        .value_kind:     global_buffer
      - .offset:         88
        .size:           8
        .value_kind:     by_value
      - .offset:         96
        .size:           8
        .value_kind:     by_value
      - .offset:         104
        .size:           8
        .value_kind:     by_value
      - .address_space:  global
        .offset:         112
        .size:           8
        .value_kind:     global_buffer
      - .offset:         120
        .size:           8
        .value_kind:     by_value
      - .offset:         128
        .size:           8
        .value_kind:     by_value
      - .offset:         136
        .size:           4
        .value_kind:     by_value
      - .offset:         140
        .size:           4
        .value_kind:     by_value
      - .offset:         144
        .size:           1
        .value_kind:     by_value
    .group_segment_fixed_size: 768
    .kernarg_segment_align: 8
    .kernarg_segment_size: 148
    .language:       OpenCL C
    .language_version:
      - 2
      - 0
    .max_flat_workgroup_size: 64
    .name:           _ZN9rocsparseL31bsrmm_large_blockdim_kernel_extILj8ELj8ELj2EllffffEEvb20rocsparse_direction_T3_S2_llNS_24const_host_device_scalarIT7_EEPKT2_PKS2_PKT4_S2_PKT5_llS5_PT6_ll16rocsparse_order_21rocsparse_index_base_b
    .private_segment_fixed_size: 0
    .sgpr_count:     48
    .sgpr_spill_count: 0
    .symbol:         _ZN9rocsparseL31bsrmm_large_blockdim_kernel_extILj8ELj8ELj2EllffffEEvb20rocsparse_direction_T3_S2_llNS_24const_host_device_scalarIT7_EEPKT2_PKS2_PKT4_S2_PKT5_llS5_PT6_ll16rocsparse_order_21rocsparse_index_base_b.kd
    .uniform_work_group_size: 1
    .uses_dynamic_stack: false
    .vgpr_count:     43
    .vgpr_spill_count: 0
    .wavefront_size: 32
    .workgroup_processor_mode: 1
  - .args:
      - .offset:         0
        .size:           1
        .value_kind:     by_value
      - .offset:         4
        .size:           4
        .value_kind:     by_value
      - .offset:         8
        .size:           8
        .value_kind:     by_value
      - .offset:         16
        .size:           8
        .value_kind:     by_value
      - .offset:         24
        .size:           8
        .value_kind:     by_value
      - .offset:         32
        .size:           8
        .value_kind:     by_value
      - .offset:         40
        .size:           8
        .value_kind:     by_value
      - .actual_access:  read_only
        .address_space:  global
        .offset:         48
        .size:           8
        .value_kind:     global_buffer
      - .actual_access:  read_only
        .address_space:  global
        .offset:         56
        .size:           8
        .value_kind:     global_buffer
      - .actual_access:  read_only
        .address_space:  global
        .offset:         64
        .size:           8
        .value_kind:     global_buffer
      - .offset:         72
        .size:           8
        .value_kind:     by_value
      - .actual_access:  read_only
        .address_space:  global
        .offset:         80
        .size:           8
        .value_kind:     global_buffer
      - .offset:         88
        .size:           8
        .value_kind:     by_value
      - .offset:         96
        .size:           8
        .value_kind:     by_value
      - .offset:         104
        .size:           8
        .value_kind:     by_value
      - .address_space:  global
        .offset:         112
        .size:           8
        .value_kind:     global_buffer
      - .offset:         120
        .size:           8
        .value_kind:     by_value
      - .offset:         128
        .size:           8
        .value_kind:     by_value
      - .offset:         136
        .size:           4
        .value_kind:     by_value
      - .offset:         140
        .size:           4
        .value_kind:     by_value
      - .offset:         144
        .size:           1
        .value_kind:     by_value
    .group_segment_fixed_size: 576
    .kernarg_segment_align: 8
    .kernarg_segment_size: 148
    .language:       OpenCL C
    .language_version:
      - 2
      - 0
    .max_flat_workgroup_size: 64
    .name:           _ZN9rocsparseL31bsrmm_large_blockdim_kernel_extILj4ELj16ELj2EllffffEEvb20rocsparse_direction_T3_S2_llNS_24const_host_device_scalarIT7_EEPKT2_PKS2_PKT4_S2_PKT5_llS5_PT6_ll16rocsparse_order_21rocsparse_index_base_b
    .private_segment_fixed_size: 0
    .sgpr_count:     48
    .sgpr_spill_count: 0
    .symbol:         _ZN9rocsparseL31bsrmm_large_blockdim_kernel_extILj4ELj16ELj2EllffffEEvb20rocsparse_direction_T3_S2_llNS_24const_host_device_scalarIT7_EEPKT2_PKS2_PKT4_S2_PKT5_llS5_PT6_ll16rocsparse_order_21rocsparse_index_base_b.kd
    .uniform_work_group_size: 1
    .uses_dynamic_stack: false
    .vgpr_count:     43
    .vgpr_spill_count: 0
    .wavefront_size: 32
    .workgroup_processor_mode: 1
  - .args:
      - .offset:         0
        .size:           1
        .value_kind:     by_value
      - .offset:         4
        .size:           4
        .value_kind:     by_value
      - .offset:         8
        .size:           8
        .value_kind:     by_value
      - .offset:         16
        .size:           8
        .value_kind:     by_value
      - .offset:         24
        .size:           8
        .value_kind:     by_value
      - .offset:         32
        .size:           8
        .value_kind:     by_value
      - .offset:         40
        .size:           8
        .value_kind:     by_value
      - .actual_access:  read_only
        .address_space:  global
        .offset:         48
        .size:           8
        .value_kind:     global_buffer
      - .actual_access:  read_only
        .address_space:  global
        .offset:         56
        .size:           8
        .value_kind:     global_buffer
      - .actual_access:  read_only
        .address_space:  global
        .offset:         64
        .size:           8
        .value_kind:     global_buffer
      - .offset:         72
        .size:           8
        .value_kind:     by_value
      - .actual_access:  read_only
        .address_space:  global
        .offset:         80
        .size:           8
        .value_kind:     global_buffer
      - .offset:         88
        .size:           8
        .value_kind:     by_value
      - .offset:         96
        .size:           8
        .value_kind:     by_value
      - .offset:         104
        .size:           8
        .value_kind:     by_value
      - .address_space:  global
        .offset:         112
        .size:           8
        .value_kind:     global_buffer
      - .offset:         120
        .size:           8
        .value_kind:     by_value
      - .offset:         128
        .size:           8
        .value_kind:     by_value
      - .offset:         136
        .size:           4
        .value_kind:     by_value
      - .offset:         140
        .size:           4
        .value_kind:     by_value
      - .offset:         144
        .size:           1
        .value_kind:     by_value
    .group_segment_fixed_size: 3072
    .kernarg_segment_align: 8
    .kernarg_segment_size: 148
    .language:       OpenCL C
    .language_version:
      - 2
      - 0
    .max_flat_workgroup_size: 256
    .name:           _ZN9rocsparseL31bsrmm_large_blockdim_kernel_extILj16ELj16ELj2EllffffEEvb20rocsparse_direction_T3_S2_llNS_24const_host_device_scalarIT7_EEPKT2_PKS2_PKT4_S2_PKT5_llS5_PT6_ll16rocsparse_order_21rocsparse_index_base_b
    .private_segment_fixed_size: 0
    .sgpr_count:     48
    .sgpr_spill_count: 0
    .symbol:         _ZN9rocsparseL31bsrmm_large_blockdim_kernel_extILj16ELj16ELj2EllffffEEvb20rocsparse_direction_T3_S2_llNS_24const_host_device_scalarIT7_EEPKT2_PKS2_PKT4_S2_PKT5_llS5_PT6_ll16rocsparse_order_21rocsparse_index_base_b.kd
    .uniform_work_group_size: 1
    .uses_dynamic_stack: false
    .vgpr_count:     43
    .vgpr_spill_count: 0
    .wavefront_size: 32
    .workgroup_processor_mode: 1
  - .args:
      - .offset:         0
        .size:           1
        .value_kind:     by_value
      - .offset:         4
        .size:           4
        .value_kind:     by_value
      - .offset:         8
        .size:           8
        .value_kind:     by_value
      - .offset:         16
        .size:           8
        .value_kind:     by_value
      - .offset:         24
        .size:           8
        .value_kind:     by_value
      - .offset:         32
        .size:           8
        .value_kind:     by_value
      - .offset:         40
        .size:           8
        .value_kind:     by_value
      - .actual_access:  read_only
        .address_space:  global
        .offset:         48
        .size:           8
        .value_kind:     global_buffer
      - .actual_access:  read_only
        .address_space:  global
        .offset:         56
        .size:           8
        .value_kind:     global_buffer
      - .actual_access:  read_only
        .address_space:  global
        .offset:         64
        .size:           8
        .value_kind:     global_buffer
      - .offset:         72
        .size:           8
        .value_kind:     by_value
      - .actual_access:  read_only
        .address_space:  global
        .offset:         80
        .size:           8
        .value_kind:     global_buffer
      - .offset:         88
        .size:           8
        .value_kind:     by_value
      - .offset:         96
        .size:           8
        .value_kind:     by_value
      - .offset:         104
        .size:           8
        .value_kind:     by_value
      - .address_space:  global
        .offset:         112
        .size:           8
        .value_kind:     global_buffer
      - .offset:         120
        .size:           8
        .value_kind:     by_value
      - .offset:         128
        .size:           8
        .value_kind:     by_value
      - .offset:         136
        .size:           4
        .value_kind:     by_value
      - .offset:         140
        .size:           4
        .value_kind:     by_value
      - .offset:         144
        .size:           1
        .value_kind:     by_value
    .group_segment_fixed_size: 12288
    .kernarg_segment_align: 8
    .kernarg_segment_size: 148
    .language:       OpenCL C
    .language_version:
      - 2
      - 0
    .max_flat_workgroup_size: 1024
    .name:           _ZN9rocsparseL31bsrmm_large_blockdim_kernel_extILj32ELj32ELj2EllffffEEvb20rocsparse_direction_T3_S2_llNS_24const_host_device_scalarIT7_EEPKT2_PKS2_PKT4_S2_PKT5_llS5_PT6_ll16rocsparse_order_21rocsparse_index_base_b
    .private_segment_fixed_size: 0
    .sgpr_count:     48
    .sgpr_spill_count: 0
    .symbol:         _ZN9rocsparseL31bsrmm_large_blockdim_kernel_extILj32ELj32ELj2EllffffEEvb20rocsparse_direction_T3_S2_llNS_24const_host_device_scalarIT7_EEPKT2_PKS2_PKT4_S2_PKT5_llS5_PT6_ll16rocsparse_order_21rocsparse_index_base_b.kd
    .uniform_work_group_size: 1
    .uses_dynamic_stack: false
    .vgpr_count:     43
    .vgpr_spill_count: 0
    .wavefront_size: 32
    .workgroup_processor_mode: 1
  - .args:
      - .offset:         0
        .size:           1
        .value_kind:     by_value
      - .offset:         4
        .size:           4
        .value_kind:     by_value
      - .offset:         8
        .size:           4
        .value_kind:     by_value
      - .offset:         12
        .size:           4
        .value_kind:     by_value
      - .offset:         16
        .size:           8
        .value_kind:     by_value
      - .offset:         24
        .size:           8
        .value_kind:     by_value
      - .offset:         32
        .size:           8
        .value_kind:     by_value
      - .actual_access:  read_only
        .address_space:  global
        .offset:         40
        .size:           8
        .value_kind:     global_buffer
      - .actual_access:  read_only
        .address_space:  global
        .offset:         48
        .size:           8
        .value_kind:     global_buffer
      - .actual_access:  read_only
        .address_space:  global
        .offset:         56
        .size:           8
        .value_kind:     global_buffer
      - .offset:         64
        .size:           4
        .value_kind:     by_value
      - .actual_access:  read_only
        .address_space:  global
        .offset:         72
        .size:           8
        .value_kind:     global_buffer
      - .offset:         80
        .size:           8
        .value_kind:     by_value
      - .offset:         88
        .size:           8
        .value_kind:     by_value
      - .offset:         96
        .size:           8
        .value_kind:     by_value
      - .address_space:  global
        .offset:         104
        .size:           8
        .value_kind:     global_buffer
      - .offset:         112
        .size:           8
        .value_kind:     by_value
      - .offset:         120
        .size:           8
        .value_kind:     by_value
      - .offset:         128
        .size:           4
        .value_kind:     by_value
      - .offset:         132
        .size:           4
        .value_kind:     by_value
      - .offset:         136
        .size:           1
        .value_kind:     by_value
    .group_segment_fixed_size: 1536
    .kernarg_segment_align: 8
    .kernarg_segment_size: 140
    .language:       OpenCL C
    .language_version:
      - 2
      - 0
    .max_flat_workgroup_size: 64
    .name:           _ZN9rocsparseL31bsrmm_large_blockdim_kernel_extILj8ELj8ELj2EiiddddEEvb20rocsparse_direction_T3_S2_llNS_24const_host_device_scalarIT7_EEPKT2_PKS2_PKT4_S2_PKT5_llS5_PT6_ll16rocsparse_order_21rocsparse_index_base_b
    .private_segment_fixed_size: 0
    .sgpr_count:     38
    .sgpr_spill_count: 0
    .symbol:         _ZN9rocsparseL31bsrmm_large_blockdim_kernel_extILj8ELj8ELj2EiiddddEEvb20rocsparse_direction_T3_S2_llNS_24const_host_device_scalarIT7_EEPKT2_PKS2_PKT4_S2_PKT5_llS5_PT6_ll16rocsparse_order_21rocsparse_index_base_b.kd
    .uniform_work_group_size: 1
    .uses_dynamic_stack: false
    .vgpr_count:     43
    .vgpr_spill_count: 0
    .wavefront_size: 32
    .workgroup_processor_mode: 1
  - .args:
      - .offset:         0
        .size:           1
        .value_kind:     by_value
      - .offset:         4
        .size:           4
        .value_kind:     by_value
      - .offset:         8
        .size:           4
        .value_kind:     by_value
      - .offset:         12
        .size:           4
        .value_kind:     by_value
      - .offset:         16
        .size:           8
        .value_kind:     by_value
      - .offset:         24
        .size:           8
        .value_kind:     by_value
      - .offset:         32
        .size:           8
        .value_kind:     by_value
      - .actual_access:  read_only
        .address_space:  global
        .offset:         40
        .size:           8
        .value_kind:     global_buffer
      - .actual_access:  read_only
        .address_space:  global
        .offset:         48
        .size:           8
        .value_kind:     global_buffer
      - .actual_access:  read_only
        .address_space:  global
        .offset:         56
        .size:           8
        .value_kind:     global_buffer
      - .offset:         64
        .size:           4
        .value_kind:     by_value
      - .actual_access:  read_only
        .address_space:  global
        .offset:         72
        .size:           8
        .value_kind:     global_buffer
      - .offset:         80
        .size:           8
        .value_kind:     by_value
      - .offset:         88
        .size:           8
        .value_kind:     by_value
      - .offset:         96
        .size:           8
        .value_kind:     by_value
      - .address_space:  global
        .offset:         104
        .size:           8
        .value_kind:     global_buffer
      - .offset:         112
        .size:           8
        .value_kind:     by_value
      - .offset:         120
        .size:           8
        .value_kind:     by_value
      - .offset:         128
        .size:           4
        .value_kind:     by_value
      - .offset:         132
        .size:           4
        .value_kind:     by_value
      - .offset:         136
        .size:           1
        .value_kind:     by_value
    .group_segment_fixed_size: 1152
    .kernarg_segment_align: 8
    .kernarg_segment_size: 140
    .language:       OpenCL C
    .language_version:
      - 2
      - 0
    .max_flat_workgroup_size: 64
    .name:           _ZN9rocsparseL31bsrmm_large_blockdim_kernel_extILj4ELj16ELj2EiiddddEEvb20rocsparse_direction_T3_S2_llNS_24const_host_device_scalarIT7_EEPKT2_PKS2_PKT4_S2_PKT5_llS5_PT6_ll16rocsparse_order_21rocsparse_index_base_b
    .private_segment_fixed_size: 0
    .sgpr_count:     38
    .sgpr_spill_count: 0
    .symbol:         _ZN9rocsparseL31bsrmm_large_blockdim_kernel_extILj4ELj16ELj2EiiddddEEvb20rocsparse_direction_T3_S2_llNS_24const_host_device_scalarIT7_EEPKT2_PKS2_PKT4_S2_PKT5_llS5_PT6_ll16rocsparse_order_21rocsparse_index_base_b.kd
    .uniform_work_group_size: 1
    .uses_dynamic_stack: false
    .vgpr_count:     43
    .vgpr_spill_count: 0
    .wavefront_size: 32
    .workgroup_processor_mode: 1
  - .args:
      - .offset:         0
        .size:           1
        .value_kind:     by_value
      - .offset:         4
        .size:           4
        .value_kind:     by_value
      - .offset:         8
        .size:           4
        .value_kind:     by_value
      - .offset:         12
        .size:           4
        .value_kind:     by_value
      - .offset:         16
        .size:           8
        .value_kind:     by_value
      - .offset:         24
        .size:           8
        .value_kind:     by_value
      - .offset:         32
        .size:           8
        .value_kind:     by_value
      - .actual_access:  read_only
        .address_space:  global
        .offset:         40
        .size:           8
        .value_kind:     global_buffer
      - .actual_access:  read_only
        .address_space:  global
        .offset:         48
        .size:           8
        .value_kind:     global_buffer
      - .actual_access:  read_only
        .address_space:  global
        .offset:         56
        .size:           8
        .value_kind:     global_buffer
      - .offset:         64
        .size:           4
        .value_kind:     by_value
      - .actual_access:  read_only
        .address_space:  global
        .offset:         72
        .size:           8
        .value_kind:     global_buffer
      - .offset:         80
        .size:           8
        .value_kind:     by_value
      - .offset:         88
        .size:           8
        .value_kind:     by_value
      - .offset:         96
        .size:           8
        .value_kind:     by_value
      - .address_space:  global
        .offset:         104
        .size:           8
        .value_kind:     global_buffer
      - .offset:         112
        .size:           8
        .value_kind:     by_value
      - .offset:         120
        .size:           8
        .value_kind:     by_value
      - .offset:         128
        .size:           4
        .value_kind:     by_value
      - .offset:         132
        .size:           4
        .value_kind:     by_value
      - .offset:         136
        .size:           1
        .value_kind:     by_value
    .group_segment_fixed_size: 6144
    .kernarg_segment_align: 8
    .kernarg_segment_size: 140
    .language:       OpenCL C
    .language_version:
      - 2
      - 0
    .max_flat_workgroup_size: 256
    .name:           _ZN9rocsparseL31bsrmm_large_blockdim_kernel_extILj16ELj16ELj2EiiddddEEvb20rocsparse_direction_T3_S2_llNS_24const_host_device_scalarIT7_EEPKT2_PKS2_PKT4_S2_PKT5_llS5_PT6_ll16rocsparse_order_21rocsparse_index_base_b
    .private_segment_fixed_size: 0
    .sgpr_count:     38
    .sgpr_spill_count: 0
    .symbol:         _ZN9rocsparseL31bsrmm_large_blockdim_kernel_extILj16ELj16ELj2EiiddddEEvb20rocsparse_direction_T3_S2_llNS_24const_host_device_scalarIT7_EEPKT2_PKS2_PKT4_S2_PKT5_llS5_PT6_ll16rocsparse_order_21rocsparse_index_base_b.kd
    .uniform_work_group_size: 1
    .uses_dynamic_stack: false
    .vgpr_count:     43
    .vgpr_spill_count: 0
    .wavefront_size: 32
    .workgroup_processor_mode: 1
  - .args:
      - .offset:         0
        .size:           1
        .value_kind:     by_value
      - .offset:         4
        .size:           4
        .value_kind:     by_value
      - .offset:         8
        .size:           4
        .value_kind:     by_value
      - .offset:         12
        .size:           4
        .value_kind:     by_value
      - .offset:         16
        .size:           8
        .value_kind:     by_value
      - .offset:         24
        .size:           8
        .value_kind:     by_value
      - .offset:         32
        .size:           8
        .value_kind:     by_value
      - .actual_access:  read_only
        .address_space:  global
        .offset:         40
        .size:           8
        .value_kind:     global_buffer
      - .actual_access:  read_only
        .address_space:  global
        .offset:         48
        .size:           8
        .value_kind:     global_buffer
      - .actual_access:  read_only
        .address_space:  global
        .offset:         56
        .size:           8
        .value_kind:     global_buffer
      - .offset:         64
        .size:           4
        .value_kind:     by_value
      - .actual_access:  read_only
        .address_space:  global
        .offset:         72
        .size:           8
        .value_kind:     global_buffer
      - .offset:         80
        .size:           8
        .value_kind:     by_value
      - .offset:         88
        .size:           8
        .value_kind:     by_value
      - .offset:         96
        .size:           8
        .value_kind:     by_value
      - .address_space:  global
        .offset:         104
        .size:           8
        .value_kind:     global_buffer
      - .offset:         112
        .size:           8
        .value_kind:     by_value
      - .offset:         120
        .size:           8
        .value_kind:     by_value
      - .offset:         128
        .size:           4
        .value_kind:     by_value
      - .offset:         132
        .size:           4
        .value_kind:     by_value
      - .offset:         136
        .size:           1
        .value_kind:     by_value
    .group_segment_fixed_size: 24576
    .kernarg_segment_align: 8
    .kernarg_segment_size: 140
    .language:       OpenCL C
    .language_version:
      - 2
      - 0
    .max_flat_workgroup_size: 1024
    .name:           _ZN9rocsparseL31bsrmm_large_blockdim_kernel_extILj32ELj32ELj2EiiddddEEvb20rocsparse_direction_T3_S2_llNS_24const_host_device_scalarIT7_EEPKT2_PKS2_PKT4_S2_PKT5_llS5_PT6_ll16rocsparse_order_21rocsparse_index_base_b
    .private_segment_fixed_size: 0
    .sgpr_count:     38
    .sgpr_spill_count: 0
    .symbol:         _ZN9rocsparseL31bsrmm_large_blockdim_kernel_extILj32ELj32ELj2EiiddddEEvb20rocsparse_direction_T3_S2_llNS_24const_host_device_scalarIT7_EEPKT2_PKS2_PKT4_S2_PKT5_llS5_PT6_ll16rocsparse_order_21rocsparse_index_base_b.kd
    .uniform_work_group_size: 1
    .uses_dynamic_stack: false
    .vgpr_count:     43
    .vgpr_spill_count: 0
    .wavefront_size: 32
    .workgroup_processor_mode: 1
  - .args:
      - .offset:         0
        .size:           1
        .value_kind:     by_value
      - .offset:         4
        .size:           4
        .value_kind:     by_value
      - .offset:         8
        .size:           4
        .value_kind:     by_value
      - .offset:         12
        .size:           4
        .value_kind:     by_value
      - .offset:         16
        .size:           8
        .value_kind:     by_value
      - .offset:         24
        .size:           8
        .value_kind:     by_value
      - .offset:         32
        .size:           8
        .value_kind:     by_value
      - .actual_access:  read_only
        .address_space:  global
        .offset:         40
        .size:           8
        .value_kind:     global_buffer
      - .actual_access:  read_only
        .address_space:  global
        .offset:         48
        .size:           8
        .value_kind:     global_buffer
      - .actual_access:  read_only
        .address_space:  global
        .offset:         56
        .size:           8
        .value_kind:     global_buffer
      - .offset:         64
        .size:           4
        .value_kind:     by_value
      - .actual_access:  read_only
        .address_space:  global
        .offset:         72
        .size:           8
        .value_kind:     global_buffer
      - .offset:         80
        .size:           8
        .value_kind:     by_value
      - .offset:         88
        .size:           8
        .value_kind:     by_value
      - .offset:         96
        .size:           8
        .value_kind:     by_value
      - .address_space:  global
        .offset:         104
        .size:           8
        .value_kind:     global_buffer
      - .offset:         112
        .size:           8
        .value_kind:     by_value
      - .offset:         120
        .size:           8
        .value_kind:     by_value
      - .offset:         128
        .size:           4
        .value_kind:     by_value
      - .offset:         132
        .size:           4
        .value_kind:     by_value
      - .offset:         136
        .size:           1
        .value_kind:     by_value
    .group_segment_fixed_size: 1536
    .kernarg_segment_align: 8
    .kernarg_segment_size: 140
    .language:       OpenCL C
    .language_version:
      - 2
      - 0
    .max_flat_workgroup_size: 64
    .name:           _ZN9rocsparseL31bsrmm_large_blockdim_kernel_extILj8ELj8ELj2EliddddEEvb20rocsparse_direction_T3_S2_llNS_24const_host_device_scalarIT7_EEPKT2_PKS2_PKT4_S2_PKT5_llS5_PT6_ll16rocsparse_order_21rocsparse_index_base_b
    .private_segment_fixed_size: 0
    .sgpr_count:     37
    .sgpr_spill_count: 0
    .symbol:         _ZN9rocsparseL31bsrmm_large_blockdim_kernel_extILj8ELj8ELj2EliddddEEvb20rocsparse_direction_T3_S2_llNS_24const_host_device_scalarIT7_EEPKT2_PKS2_PKT4_S2_PKT5_llS5_PT6_ll16rocsparse_order_21rocsparse_index_base_b.kd
    .uniform_work_group_size: 1
    .uses_dynamic_stack: false
    .vgpr_count:     44
    .vgpr_spill_count: 0
    .wavefront_size: 32
    .workgroup_processor_mode: 1
  - .args:
      - .offset:         0
        .size:           1
        .value_kind:     by_value
      - .offset:         4
        .size:           4
        .value_kind:     by_value
      - .offset:         8
        .size:           4
        .value_kind:     by_value
      - .offset:         12
        .size:           4
        .value_kind:     by_value
      - .offset:         16
        .size:           8
        .value_kind:     by_value
      - .offset:         24
        .size:           8
        .value_kind:     by_value
      - .offset:         32
        .size:           8
        .value_kind:     by_value
      - .actual_access:  read_only
        .address_space:  global
        .offset:         40
        .size:           8
        .value_kind:     global_buffer
      - .actual_access:  read_only
        .address_space:  global
        .offset:         48
        .size:           8
        .value_kind:     global_buffer
      - .actual_access:  read_only
        .address_space:  global
        .offset:         56
        .size:           8
        .value_kind:     global_buffer
      - .offset:         64
        .size:           4
        .value_kind:     by_value
      - .actual_access:  read_only
        .address_space:  global
        .offset:         72
        .size:           8
        .value_kind:     global_buffer
      - .offset:         80
        .size:           8
        .value_kind:     by_value
      - .offset:         88
        .size:           8
        .value_kind:     by_value
      - .offset:         96
        .size:           8
        .value_kind:     by_value
      - .address_space:  global
        .offset:         104
        .size:           8
        .value_kind:     global_buffer
      - .offset:         112
        .size:           8
        .value_kind:     by_value
      - .offset:         120
        .size:           8
        .value_kind:     by_value
      - .offset:         128
        .size:           4
        .value_kind:     by_value
      - .offset:         132
        .size:           4
        .value_kind:     by_value
      - .offset:         136
        .size:           1
        .value_kind:     by_value
    .group_segment_fixed_size: 1152
    .kernarg_segment_align: 8
    .kernarg_segment_size: 140
    .language:       OpenCL C
    .language_version:
      - 2
      - 0
    .max_flat_workgroup_size: 64
    .name:           _ZN9rocsparseL31bsrmm_large_blockdim_kernel_extILj4ELj16ELj2EliddddEEvb20rocsparse_direction_T3_S2_llNS_24const_host_device_scalarIT7_EEPKT2_PKS2_PKT4_S2_PKT5_llS5_PT6_ll16rocsparse_order_21rocsparse_index_base_b
    .private_segment_fixed_size: 0
    .sgpr_count:     37
    .sgpr_spill_count: 0
    .symbol:         _ZN9rocsparseL31bsrmm_large_blockdim_kernel_extILj4ELj16ELj2EliddddEEvb20rocsparse_direction_T3_S2_llNS_24const_host_device_scalarIT7_EEPKT2_PKS2_PKT4_S2_PKT5_llS5_PT6_ll16rocsparse_order_21rocsparse_index_base_b.kd
    .uniform_work_group_size: 1
    .uses_dynamic_stack: false
    .vgpr_count:     44
    .vgpr_spill_count: 0
    .wavefront_size: 32
    .workgroup_processor_mode: 1
  - .args:
      - .offset:         0
        .size:           1
        .value_kind:     by_value
      - .offset:         4
        .size:           4
        .value_kind:     by_value
      - .offset:         8
        .size:           4
        .value_kind:     by_value
      - .offset:         12
        .size:           4
        .value_kind:     by_value
      - .offset:         16
        .size:           8
        .value_kind:     by_value
      - .offset:         24
        .size:           8
        .value_kind:     by_value
      - .offset:         32
        .size:           8
        .value_kind:     by_value
      - .actual_access:  read_only
        .address_space:  global
        .offset:         40
        .size:           8
        .value_kind:     global_buffer
      - .actual_access:  read_only
        .address_space:  global
        .offset:         48
        .size:           8
        .value_kind:     global_buffer
      - .actual_access:  read_only
        .address_space:  global
        .offset:         56
        .size:           8
        .value_kind:     global_buffer
      - .offset:         64
        .size:           4
        .value_kind:     by_value
      - .actual_access:  read_only
        .address_space:  global
        .offset:         72
        .size:           8
        .value_kind:     global_buffer
      - .offset:         80
        .size:           8
        .value_kind:     by_value
      - .offset:         88
        .size:           8
        .value_kind:     by_value
      - .offset:         96
        .size:           8
        .value_kind:     by_value
      - .address_space:  global
        .offset:         104
        .size:           8
        .value_kind:     global_buffer
      - .offset:         112
        .size:           8
        .value_kind:     by_value
      - .offset:         120
        .size:           8
        .value_kind:     by_value
      - .offset:         128
        .size:           4
        .value_kind:     by_value
      - .offset:         132
        .size:           4
        .value_kind:     by_value
      - .offset:         136
        .size:           1
        .value_kind:     by_value
    .group_segment_fixed_size: 6144
    .kernarg_segment_align: 8
    .kernarg_segment_size: 140
    .language:       OpenCL C
    .language_version:
      - 2
      - 0
    .max_flat_workgroup_size: 256
    .name:           _ZN9rocsparseL31bsrmm_large_blockdim_kernel_extILj16ELj16ELj2EliddddEEvb20rocsparse_direction_T3_S2_llNS_24const_host_device_scalarIT7_EEPKT2_PKS2_PKT4_S2_PKT5_llS5_PT6_ll16rocsparse_order_21rocsparse_index_base_b
    .private_segment_fixed_size: 0
    .sgpr_count:     37
    .sgpr_spill_count: 0
    .symbol:         _ZN9rocsparseL31bsrmm_large_blockdim_kernel_extILj16ELj16ELj2EliddddEEvb20rocsparse_direction_T3_S2_llNS_24const_host_device_scalarIT7_EEPKT2_PKS2_PKT4_S2_PKT5_llS5_PT6_ll16rocsparse_order_21rocsparse_index_base_b.kd
    .uniform_work_group_size: 1
    .uses_dynamic_stack: false
    .vgpr_count:     44
    .vgpr_spill_count: 0
    .wavefront_size: 32
    .workgroup_processor_mode: 1
  - .args:
      - .offset:         0
        .size:           1
        .value_kind:     by_value
      - .offset:         4
        .size:           4
        .value_kind:     by_value
      - .offset:         8
        .size:           4
        .value_kind:     by_value
      - .offset:         12
        .size:           4
        .value_kind:     by_value
      - .offset:         16
        .size:           8
        .value_kind:     by_value
      - .offset:         24
        .size:           8
        .value_kind:     by_value
      - .offset:         32
        .size:           8
        .value_kind:     by_value
      - .actual_access:  read_only
        .address_space:  global
        .offset:         40
        .size:           8
        .value_kind:     global_buffer
      - .actual_access:  read_only
        .address_space:  global
        .offset:         48
        .size:           8
        .value_kind:     global_buffer
      - .actual_access:  read_only
        .address_space:  global
        .offset:         56
        .size:           8
        .value_kind:     global_buffer
      - .offset:         64
        .size:           4
        .value_kind:     by_value
      - .actual_access:  read_only
        .address_space:  global
        .offset:         72
        .size:           8
        .value_kind:     global_buffer
      - .offset:         80
        .size:           8
        .value_kind:     by_value
      - .offset:         88
        .size:           8
        .value_kind:     by_value
      - .offset:         96
        .size:           8
        .value_kind:     by_value
      - .address_space:  global
        .offset:         104
        .size:           8
        .value_kind:     global_buffer
      - .offset:         112
        .size:           8
        .value_kind:     by_value
      - .offset:         120
        .size:           8
        .value_kind:     by_value
      - .offset:         128
        .size:           4
        .value_kind:     by_value
      - .offset:         132
        .size:           4
        .value_kind:     by_value
      - .offset:         136
        .size:           1
        .value_kind:     by_value
    .group_segment_fixed_size: 24576
    .kernarg_segment_align: 8
    .kernarg_segment_size: 140
    .language:       OpenCL C
    .language_version:
      - 2
      - 0
    .max_flat_workgroup_size: 1024
    .name:           _ZN9rocsparseL31bsrmm_large_blockdim_kernel_extILj32ELj32ELj2EliddddEEvb20rocsparse_direction_T3_S2_llNS_24const_host_device_scalarIT7_EEPKT2_PKS2_PKT4_S2_PKT5_llS5_PT6_ll16rocsparse_order_21rocsparse_index_base_b
    .private_segment_fixed_size: 0
    .sgpr_count:     37
    .sgpr_spill_count: 0
    .symbol:         _ZN9rocsparseL31bsrmm_large_blockdim_kernel_extILj32ELj32ELj2EliddddEEvb20rocsparse_direction_T3_S2_llNS_24const_host_device_scalarIT7_EEPKT2_PKS2_PKT4_S2_PKT5_llS5_PT6_ll16rocsparse_order_21rocsparse_index_base_b.kd
    .uniform_work_group_size: 1
    .uses_dynamic_stack: false
    .vgpr_count:     44
    .vgpr_spill_count: 0
    .wavefront_size: 32
    .workgroup_processor_mode: 1
  - .args:
      - .offset:         0
        .size:           1
        .value_kind:     by_value
      - .offset:         4
        .size:           4
        .value_kind:     by_value
      - .offset:         8
        .size:           8
        .value_kind:     by_value
      - .offset:         16
        .size:           8
        .value_kind:     by_value
      - .offset:         24
        .size:           8
        .value_kind:     by_value
      - .offset:         32
        .size:           8
        .value_kind:     by_value
      - .offset:         40
        .size:           8
        .value_kind:     by_value
      - .actual_access:  read_only
        .address_space:  global
        .offset:         48
        .size:           8
        .value_kind:     global_buffer
      - .actual_access:  read_only
        .address_space:  global
        .offset:         56
        .size:           8
        .value_kind:     global_buffer
      - .actual_access:  read_only
        .address_space:  global
        .offset:         64
        .size:           8
        .value_kind:     global_buffer
      - .offset:         72
        .size:           8
        .value_kind:     by_value
      - .actual_access:  read_only
        .address_space:  global
        .offset:         80
        .size:           8
        .value_kind:     global_buffer
      - .offset:         88
        .size:           8
        .value_kind:     by_value
      - .offset:         96
        .size:           8
        .value_kind:     by_value
      - .offset:         104
        .size:           8
        .value_kind:     by_value
      - .address_space:  global
        .offset:         112
        .size:           8
        .value_kind:     global_buffer
      - .offset:         120
        .size:           8
        .value_kind:     by_value
      - .offset:         128
        .size:           8
        .value_kind:     by_value
      - .offset:         136
        .size:           4
        .value_kind:     by_value
      - .offset:         140
        .size:           4
        .value_kind:     by_value
      - .offset:         144
        .size:           1
        .value_kind:     by_value
    .group_segment_fixed_size: 1536
    .kernarg_segment_align: 8
    .kernarg_segment_size: 148
    .language:       OpenCL C
    .language_version:
      - 2
      - 0
    .max_flat_workgroup_size: 64
    .name:           _ZN9rocsparseL31bsrmm_large_blockdim_kernel_extILj8ELj8ELj2EllddddEEvb20rocsparse_direction_T3_S2_llNS_24const_host_device_scalarIT7_EEPKT2_PKS2_PKT4_S2_PKT5_llS5_PT6_ll16rocsparse_order_21rocsparse_index_base_b
    .private_segment_fixed_size: 0
    .sgpr_count:     46
    .sgpr_spill_count: 0
    .symbol:         _ZN9rocsparseL31bsrmm_large_blockdim_kernel_extILj8ELj8ELj2EllddddEEvb20rocsparse_direction_T3_S2_llNS_24const_host_device_scalarIT7_EEPKT2_PKS2_PKT4_S2_PKT5_llS5_PT6_ll16rocsparse_order_21rocsparse_index_base_b.kd
    .uniform_work_group_size: 1
    .uses_dynamic_stack: false
    .vgpr_count:     49
    .vgpr_spill_count: 0
    .wavefront_size: 32
    .workgroup_processor_mode: 1
  - .args:
      - .offset:         0
        .size:           1
        .value_kind:     by_value
      - .offset:         4
        .size:           4
        .value_kind:     by_value
      - .offset:         8
        .size:           8
        .value_kind:     by_value
      - .offset:         16
        .size:           8
        .value_kind:     by_value
      - .offset:         24
        .size:           8
        .value_kind:     by_value
      - .offset:         32
        .size:           8
        .value_kind:     by_value
      - .offset:         40
        .size:           8
        .value_kind:     by_value
      - .actual_access:  read_only
        .address_space:  global
        .offset:         48
        .size:           8
        .value_kind:     global_buffer
      - .actual_access:  read_only
        .address_space:  global
        .offset:         56
        .size:           8
        .value_kind:     global_buffer
      - .actual_access:  read_only
        .address_space:  global
        .offset:         64
        .size:           8
        .value_kind:     global_buffer
      - .offset:         72
        .size:           8
        .value_kind:     by_value
      - .actual_access:  read_only
        .address_space:  global
        .offset:         80
        .size:           8
        .value_kind:     global_buffer
      - .offset:         88
        .size:           8
        .value_kind:     by_value
      - .offset:         96
        .size:           8
        .value_kind:     by_value
      - .offset:         104
        .size:           8
        .value_kind:     by_value
      - .address_space:  global
        .offset:         112
        .size:           8
        .value_kind:     global_buffer
      - .offset:         120
        .size:           8
        .value_kind:     by_value
      - .offset:         128
        .size:           8
        .value_kind:     by_value
      - .offset:         136
        .size:           4
        .value_kind:     by_value
      - .offset:         140
        .size:           4
        .value_kind:     by_value
      - .offset:         144
        .size:           1
        .value_kind:     by_value
    .group_segment_fixed_size: 1152
    .kernarg_segment_align: 8
    .kernarg_segment_size: 148
    .language:       OpenCL C
    .language_version:
      - 2
      - 0
    .max_flat_workgroup_size: 64
    .name:           _ZN9rocsparseL31bsrmm_large_blockdim_kernel_extILj4ELj16ELj2EllddddEEvb20rocsparse_direction_T3_S2_llNS_24const_host_device_scalarIT7_EEPKT2_PKS2_PKT4_S2_PKT5_llS5_PT6_ll16rocsparse_order_21rocsparse_index_base_b
    .private_segment_fixed_size: 0
    .sgpr_count:     46
    .sgpr_spill_count: 0
    .symbol:         _ZN9rocsparseL31bsrmm_large_blockdim_kernel_extILj4ELj16ELj2EllddddEEvb20rocsparse_direction_T3_S2_llNS_24const_host_device_scalarIT7_EEPKT2_PKS2_PKT4_S2_PKT5_llS5_PT6_ll16rocsparse_order_21rocsparse_index_base_b.kd
    .uniform_work_group_size: 1
    .uses_dynamic_stack: false
    .vgpr_count:     49
    .vgpr_spill_count: 0
    .wavefront_size: 32
    .workgroup_processor_mode: 1
  - .args:
      - .offset:         0
        .size:           1
        .value_kind:     by_value
      - .offset:         4
        .size:           4
        .value_kind:     by_value
      - .offset:         8
        .size:           8
        .value_kind:     by_value
      - .offset:         16
        .size:           8
        .value_kind:     by_value
      - .offset:         24
        .size:           8
        .value_kind:     by_value
      - .offset:         32
        .size:           8
        .value_kind:     by_value
      - .offset:         40
        .size:           8
        .value_kind:     by_value
      - .actual_access:  read_only
        .address_space:  global
        .offset:         48
        .size:           8
        .value_kind:     global_buffer
      - .actual_access:  read_only
        .address_space:  global
        .offset:         56
        .size:           8
        .value_kind:     global_buffer
      - .actual_access:  read_only
        .address_space:  global
        .offset:         64
        .size:           8
        .value_kind:     global_buffer
      - .offset:         72
        .size:           8
        .value_kind:     by_value
      - .actual_access:  read_only
        .address_space:  global
        .offset:         80
        .size:           8
        .value_kind:     global_buffer
      - .offset:         88
        .size:           8
        .value_kind:     by_value
      - .offset:         96
        .size:           8
        .value_kind:     by_value
      - .offset:         104
        .size:           8
        .value_kind:     by_value
      - .address_space:  global
        .offset:         112
        .size:           8
        .value_kind:     global_buffer
      - .offset:         120
        .size:           8
        .value_kind:     by_value
      - .offset:         128
        .size:           8
        .value_kind:     by_value
      - .offset:         136
        .size:           4
        .value_kind:     by_value
      - .offset:         140
        .size:           4
        .value_kind:     by_value
      - .offset:         144
        .size:           1
        .value_kind:     by_value
    .group_segment_fixed_size: 6144
    .kernarg_segment_align: 8
    .kernarg_segment_size: 148
    .language:       OpenCL C
    .language_version:
      - 2
      - 0
    .max_flat_workgroup_size: 256
    .name:           _ZN9rocsparseL31bsrmm_large_blockdim_kernel_extILj16ELj16ELj2EllddddEEvb20rocsparse_direction_T3_S2_llNS_24const_host_device_scalarIT7_EEPKT2_PKS2_PKT4_S2_PKT5_llS5_PT6_ll16rocsparse_order_21rocsparse_index_base_b
    .private_segment_fixed_size: 0
    .sgpr_count:     46
    .sgpr_spill_count: 0
    .symbol:         _ZN9rocsparseL31bsrmm_large_blockdim_kernel_extILj16ELj16ELj2EllddddEEvb20rocsparse_direction_T3_S2_llNS_24const_host_device_scalarIT7_EEPKT2_PKS2_PKT4_S2_PKT5_llS5_PT6_ll16rocsparse_order_21rocsparse_index_base_b.kd
    .uniform_work_group_size: 1
    .uses_dynamic_stack: false
    .vgpr_count:     49
    .vgpr_spill_count: 0
    .wavefront_size: 32
    .workgroup_processor_mode: 1
  - .args:
      - .offset:         0
        .size:           1
        .value_kind:     by_value
      - .offset:         4
        .size:           4
        .value_kind:     by_value
      - .offset:         8
        .size:           8
        .value_kind:     by_value
      - .offset:         16
        .size:           8
        .value_kind:     by_value
      - .offset:         24
        .size:           8
        .value_kind:     by_value
      - .offset:         32
        .size:           8
        .value_kind:     by_value
      - .offset:         40
        .size:           8
        .value_kind:     by_value
      - .actual_access:  read_only
        .address_space:  global
        .offset:         48
        .size:           8
        .value_kind:     global_buffer
      - .actual_access:  read_only
        .address_space:  global
        .offset:         56
        .size:           8
        .value_kind:     global_buffer
      - .actual_access:  read_only
        .address_space:  global
        .offset:         64
        .size:           8
        .value_kind:     global_buffer
      - .offset:         72
        .size:           8
        .value_kind:     by_value
      - .actual_access:  read_only
        .address_space:  global
        .offset:         80
        .size:           8
        .value_kind:     global_buffer
      - .offset:         88
        .size:           8
        .value_kind:     by_value
      - .offset:         96
        .size:           8
        .value_kind:     by_value
      - .offset:         104
        .size:           8
        .value_kind:     by_value
      - .address_space:  global
        .offset:         112
        .size:           8
        .value_kind:     global_buffer
      - .offset:         120
        .size:           8
        .value_kind:     by_value
      - .offset:         128
        .size:           8
        .value_kind:     by_value
      - .offset:         136
        .size:           4
        .value_kind:     by_value
      - .offset:         140
        .size:           4
        .value_kind:     by_value
      - .offset:         144
        .size:           1
        .value_kind:     by_value
    .group_segment_fixed_size: 24576
    .kernarg_segment_align: 8
    .kernarg_segment_size: 148
    .language:       OpenCL C
    .language_version:
      - 2
      - 0
    .max_flat_workgroup_size: 1024
    .name:           _ZN9rocsparseL31bsrmm_large_blockdim_kernel_extILj32ELj32ELj2EllddddEEvb20rocsparse_direction_T3_S2_llNS_24const_host_device_scalarIT7_EEPKT2_PKS2_PKT4_S2_PKT5_llS5_PT6_ll16rocsparse_order_21rocsparse_index_base_b
    .private_segment_fixed_size: 0
    .sgpr_count:     46
    .sgpr_spill_count: 0
    .symbol:         _ZN9rocsparseL31bsrmm_large_blockdim_kernel_extILj32ELj32ELj2EllddddEEvb20rocsparse_direction_T3_S2_llNS_24const_host_device_scalarIT7_EEPKT2_PKS2_PKT4_S2_PKT5_llS5_PT6_ll16rocsparse_order_21rocsparse_index_base_b.kd
    .uniform_work_group_size: 1
    .uses_dynamic_stack: false
    .vgpr_count:     49
    .vgpr_spill_count: 0
    .wavefront_size: 32
    .workgroup_processor_mode: 1
  - .args:
      - .offset:         0
        .size:           1
        .value_kind:     by_value
      - .offset:         4
        .size:           4
        .value_kind:     by_value
      - .offset:         8
        .size:           4
        .value_kind:     by_value
      - .offset:         12
        .size:           4
        .value_kind:     by_value
      - .offset:         16
        .size:           8
        .value_kind:     by_value
      - .offset:         24
        .size:           8
        .value_kind:     by_value
      - .offset:         32
        .size:           8
        .value_kind:     by_value
      - .actual_access:  read_only
        .address_space:  global
        .offset:         40
        .size:           8
        .value_kind:     global_buffer
      - .actual_access:  read_only
        .address_space:  global
        .offset:         48
        .size:           8
        .value_kind:     global_buffer
      - .actual_access:  read_only
        .address_space:  global
        .offset:         56
        .size:           8
        .value_kind:     global_buffer
      - .offset:         64
        .size:           4
        .value_kind:     by_value
      - .actual_access:  read_only
        .address_space:  global
        .offset:         72
        .size:           8
        .value_kind:     global_buffer
      - .offset:         80
        .size:           8
        .value_kind:     by_value
      - .offset:         88
        .size:           8
        .value_kind:     by_value
      - .offset:         96
        .size:           8
        .value_kind:     by_value
      - .address_space:  global
        .offset:         104
        .size:           8
        .value_kind:     global_buffer
      - .offset:         112
        .size:           8
        .value_kind:     by_value
      - .offset:         120
        .size:           8
        .value_kind:     by_value
      - .offset:         128
        .size:           4
        .value_kind:     by_value
      - .offset:         132
        .size:           4
        .value_kind:     by_value
      - .offset:         136
        .size:           1
        .value_kind:     by_value
    .group_segment_fixed_size: 1536
    .kernarg_segment_align: 8
    .kernarg_segment_size: 140
    .language:       OpenCL C
    .language_version:
      - 2
      - 0
    .max_flat_workgroup_size: 64
    .name:           _ZN9rocsparseL31bsrmm_large_blockdim_kernel_extILj8ELj8ELj2Eii21rocsparse_complex_numIfES2_S2_S2_EEvb20rocsparse_direction_T3_S4_llNS_24const_host_device_scalarIT7_EEPKT2_PKS4_PKT4_S4_PKT5_llS7_PT6_ll16rocsparse_order_21rocsparse_index_base_b
    .private_segment_fixed_size: 0
    .sgpr_count:     38
    .sgpr_spill_count: 0
    .symbol:         _ZN9rocsparseL31bsrmm_large_blockdim_kernel_extILj8ELj8ELj2Eii21rocsparse_complex_numIfES2_S2_S2_EEvb20rocsparse_direction_T3_S4_llNS_24const_host_device_scalarIT7_EEPKT2_PKS4_PKT4_S4_PKT5_llS7_PT6_ll16rocsparse_order_21rocsparse_index_base_b.kd
    .uniform_work_group_size: 1
    .uses_dynamic_stack: false
    .vgpr_count:     43
    .vgpr_spill_count: 0
    .wavefront_size: 32
    .workgroup_processor_mode: 1
  - .args:
      - .offset:         0
        .size:           1
        .value_kind:     by_value
      - .offset:         4
        .size:           4
        .value_kind:     by_value
      - .offset:         8
        .size:           4
        .value_kind:     by_value
      - .offset:         12
        .size:           4
        .value_kind:     by_value
      - .offset:         16
        .size:           8
        .value_kind:     by_value
      - .offset:         24
        .size:           8
        .value_kind:     by_value
      - .offset:         32
        .size:           8
        .value_kind:     by_value
      - .actual_access:  read_only
        .address_space:  global
        .offset:         40
        .size:           8
        .value_kind:     global_buffer
      - .actual_access:  read_only
        .address_space:  global
        .offset:         48
        .size:           8
        .value_kind:     global_buffer
      - .actual_access:  read_only
        .address_space:  global
        .offset:         56
        .size:           8
        .value_kind:     global_buffer
      - .offset:         64
        .size:           4
        .value_kind:     by_value
      - .actual_access:  read_only
        .address_space:  global
        .offset:         72
        .size:           8
        .value_kind:     global_buffer
      - .offset:         80
        .size:           8
        .value_kind:     by_value
      - .offset:         88
        .size:           8
        .value_kind:     by_value
      - .offset:         96
        .size:           8
        .value_kind:     by_value
      - .address_space:  global
        .offset:         104
        .size:           8
        .value_kind:     global_buffer
      - .offset:         112
        .size:           8
        .value_kind:     by_value
      - .offset:         120
        .size:           8
        .value_kind:     by_value
      - .offset:         128
        .size:           4
        .value_kind:     by_value
      - .offset:         132
        .size:           4
        .value_kind:     by_value
      - .offset:         136
        .size:           1
        .value_kind:     by_value
    .group_segment_fixed_size: 1152
    .kernarg_segment_align: 8
    .kernarg_segment_size: 140
    .language:       OpenCL C
    .language_version:
      - 2
      - 0
    .max_flat_workgroup_size: 64
    .name:           _ZN9rocsparseL31bsrmm_large_blockdim_kernel_extILj4ELj16ELj2Eii21rocsparse_complex_numIfES2_S2_S2_EEvb20rocsparse_direction_T3_S4_llNS_24const_host_device_scalarIT7_EEPKT2_PKS4_PKT4_S4_PKT5_llS7_PT6_ll16rocsparse_order_21rocsparse_index_base_b
    .private_segment_fixed_size: 0
    .sgpr_count:     38
    .sgpr_spill_count: 0
    .symbol:         _ZN9rocsparseL31bsrmm_large_blockdim_kernel_extILj4ELj16ELj2Eii21rocsparse_complex_numIfES2_S2_S2_EEvb20rocsparse_direction_T3_S4_llNS_24const_host_device_scalarIT7_EEPKT2_PKS4_PKT4_S4_PKT5_llS7_PT6_ll16rocsparse_order_21rocsparse_index_base_b.kd
    .uniform_work_group_size: 1
    .uses_dynamic_stack: false
    .vgpr_count:     43
    .vgpr_spill_count: 0
    .wavefront_size: 32
    .workgroup_processor_mode: 1
  - .args:
      - .offset:         0
        .size:           1
        .value_kind:     by_value
      - .offset:         4
        .size:           4
        .value_kind:     by_value
      - .offset:         8
        .size:           4
        .value_kind:     by_value
      - .offset:         12
        .size:           4
        .value_kind:     by_value
      - .offset:         16
        .size:           8
        .value_kind:     by_value
      - .offset:         24
        .size:           8
        .value_kind:     by_value
      - .offset:         32
        .size:           8
        .value_kind:     by_value
      - .actual_access:  read_only
        .address_space:  global
        .offset:         40
        .size:           8
        .value_kind:     global_buffer
      - .actual_access:  read_only
        .address_space:  global
        .offset:         48
        .size:           8
        .value_kind:     global_buffer
      - .actual_access:  read_only
        .address_space:  global
        .offset:         56
        .size:           8
        .value_kind:     global_buffer
      - .offset:         64
        .size:           4
        .value_kind:     by_value
      - .actual_access:  read_only
        .address_space:  global
        .offset:         72
        .size:           8
        .value_kind:     global_buffer
      - .offset:         80
        .size:           8
        .value_kind:     by_value
      - .offset:         88
        .size:           8
        .value_kind:     by_value
      - .offset:         96
        .size:           8
        .value_kind:     by_value
      - .address_space:  global
        .offset:         104
        .size:           8
        .value_kind:     global_buffer
      - .offset:         112
        .size:           8
        .value_kind:     by_value
      - .offset:         120
        .size:           8
        .value_kind:     by_value
      - .offset:         128
        .size:           4
        .value_kind:     by_value
      - .offset:         132
        .size:           4
        .value_kind:     by_value
      - .offset:         136
        .size:           1
        .value_kind:     by_value
    .group_segment_fixed_size: 6144
    .kernarg_segment_align: 8
    .kernarg_segment_size: 140
    .language:       OpenCL C
    .language_version:
      - 2
      - 0
    .max_flat_workgroup_size: 256
    .name:           _ZN9rocsparseL31bsrmm_large_blockdim_kernel_extILj16ELj16ELj2Eii21rocsparse_complex_numIfES2_S2_S2_EEvb20rocsparse_direction_T3_S4_llNS_24const_host_device_scalarIT7_EEPKT2_PKS4_PKT4_S4_PKT5_llS7_PT6_ll16rocsparse_order_21rocsparse_index_base_b
    .private_segment_fixed_size: 0
    .sgpr_count:     38
    .sgpr_spill_count: 0
    .symbol:         _ZN9rocsparseL31bsrmm_large_blockdim_kernel_extILj16ELj16ELj2Eii21rocsparse_complex_numIfES2_S2_S2_EEvb20rocsparse_direction_T3_S4_llNS_24const_host_device_scalarIT7_EEPKT2_PKS4_PKT4_S4_PKT5_llS7_PT6_ll16rocsparse_order_21rocsparse_index_base_b.kd
    .uniform_work_group_size: 1
    .uses_dynamic_stack: false
    .vgpr_count:     43
    .vgpr_spill_count: 0
    .wavefront_size: 32
    .workgroup_processor_mode: 1
  - .args:
      - .offset:         0
        .size:           1
        .value_kind:     by_value
      - .offset:         4
        .size:           4
        .value_kind:     by_value
      - .offset:         8
        .size:           4
        .value_kind:     by_value
      - .offset:         12
        .size:           4
        .value_kind:     by_value
      - .offset:         16
        .size:           8
        .value_kind:     by_value
      - .offset:         24
        .size:           8
        .value_kind:     by_value
      - .offset:         32
        .size:           8
        .value_kind:     by_value
      - .actual_access:  read_only
        .address_space:  global
        .offset:         40
        .size:           8
        .value_kind:     global_buffer
      - .actual_access:  read_only
        .address_space:  global
        .offset:         48
        .size:           8
        .value_kind:     global_buffer
      - .actual_access:  read_only
        .address_space:  global
        .offset:         56
        .size:           8
        .value_kind:     global_buffer
      - .offset:         64
        .size:           4
        .value_kind:     by_value
      - .actual_access:  read_only
        .address_space:  global
        .offset:         72
        .size:           8
        .value_kind:     global_buffer
      - .offset:         80
        .size:           8
        .value_kind:     by_value
      - .offset:         88
        .size:           8
        .value_kind:     by_value
      - .offset:         96
        .size:           8
        .value_kind:     by_value
      - .address_space:  global
        .offset:         104
        .size:           8
        .value_kind:     global_buffer
      - .offset:         112
        .size:           8
        .value_kind:     by_value
      - .offset:         120
        .size:           8
        .value_kind:     by_value
      - .offset:         128
        .size:           4
        .value_kind:     by_value
      - .offset:         132
        .size:           4
        .value_kind:     by_value
      - .offset:         136
        .size:           1
        .value_kind:     by_value
    .group_segment_fixed_size: 24576
    .kernarg_segment_align: 8
    .kernarg_segment_size: 140
    .language:       OpenCL C
    .language_version:
      - 2
      - 0
    .max_flat_workgroup_size: 1024
    .name:           _ZN9rocsparseL31bsrmm_large_blockdim_kernel_extILj32ELj32ELj2Eii21rocsparse_complex_numIfES2_S2_S2_EEvb20rocsparse_direction_T3_S4_llNS_24const_host_device_scalarIT7_EEPKT2_PKS4_PKT4_S4_PKT5_llS7_PT6_ll16rocsparse_order_21rocsparse_index_base_b
    .private_segment_fixed_size: 0
    .sgpr_count:     38
    .sgpr_spill_count: 0
    .symbol:         _ZN9rocsparseL31bsrmm_large_blockdim_kernel_extILj32ELj32ELj2Eii21rocsparse_complex_numIfES2_S2_S2_EEvb20rocsparse_direction_T3_S4_llNS_24const_host_device_scalarIT7_EEPKT2_PKS4_PKT4_S4_PKT5_llS7_PT6_ll16rocsparse_order_21rocsparse_index_base_b.kd
    .uniform_work_group_size: 1
    .uses_dynamic_stack: false
    .vgpr_count:     43
    .vgpr_spill_count: 0
    .wavefront_size: 32
    .workgroup_processor_mode: 1
  - .args:
      - .offset:         0
        .size:           1
        .value_kind:     by_value
      - .offset:         4
        .size:           4
        .value_kind:     by_value
      - .offset:         8
        .size:           4
        .value_kind:     by_value
      - .offset:         12
        .size:           4
        .value_kind:     by_value
      - .offset:         16
        .size:           8
        .value_kind:     by_value
      - .offset:         24
        .size:           8
        .value_kind:     by_value
      - .offset:         32
        .size:           8
        .value_kind:     by_value
      - .actual_access:  read_only
        .address_space:  global
        .offset:         40
        .size:           8
        .value_kind:     global_buffer
      - .actual_access:  read_only
        .address_space:  global
        .offset:         48
        .size:           8
        .value_kind:     global_buffer
      - .actual_access:  read_only
        .address_space:  global
        .offset:         56
        .size:           8
        .value_kind:     global_buffer
      - .offset:         64
        .size:           4
        .value_kind:     by_value
      - .actual_access:  read_only
        .address_space:  global
        .offset:         72
        .size:           8
        .value_kind:     global_buffer
      - .offset:         80
        .size:           8
        .value_kind:     by_value
      - .offset:         88
        .size:           8
        .value_kind:     by_value
      - .offset:         96
        .size:           8
        .value_kind:     by_value
      - .address_space:  global
        .offset:         104
        .size:           8
        .value_kind:     global_buffer
      - .offset:         112
        .size:           8
        .value_kind:     by_value
      - .offset:         120
        .size:           8
        .value_kind:     by_value
      - .offset:         128
        .size:           4
        .value_kind:     by_value
      - .offset:         132
        .size:           4
        .value_kind:     by_value
      - .offset:         136
        .size:           1
        .value_kind:     by_value
    .group_segment_fixed_size: 1536
    .kernarg_segment_align: 8
    .kernarg_segment_size: 140
    .language:       OpenCL C
    .language_version:
      - 2
      - 0
    .max_flat_workgroup_size: 64
    .name:           _ZN9rocsparseL31bsrmm_large_blockdim_kernel_extILj8ELj8ELj2Eli21rocsparse_complex_numIfES2_S2_S2_EEvb20rocsparse_direction_T3_S4_llNS_24const_host_device_scalarIT7_EEPKT2_PKS4_PKT4_S4_PKT5_llS7_PT6_ll16rocsparse_order_21rocsparse_index_base_b
    .private_segment_fixed_size: 0
    .sgpr_count:     38
    .sgpr_spill_count: 0
    .symbol:         _ZN9rocsparseL31bsrmm_large_blockdim_kernel_extILj8ELj8ELj2Eli21rocsparse_complex_numIfES2_S2_S2_EEvb20rocsparse_direction_T3_S4_llNS_24const_host_device_scalarIT7_EEPKT2_PKS4_PKT4_S4_PKT5_llS7_PT6_ll16rocsparse_order_21rocsparse_index_base_b.kd
    .uniform_work_group_size: 1
    .uses_dynamic_stack: false
    .vgpr_count:     44
    .vgpr_spill_count: 0
    .wavefront_size: 32
    .workgroup_processor_mode: 1
  - .args:
      - .offset:         0
        .size:           1
        .value_kind:     by_value
      - .offset:         4
        .size:           4
        .value_kind:     by_value
      - .offset:         8
        .size:           4
        .value_kind:     by_value
      - .offset:         12
        .size:           4
        .value_kind:     by_value
      - .offset:         16
        .size:           8
        .value_kind:     by_value
      - .offset:         24
        .size:           8
        .value_kind:     by_value
      - .offset:         32
        .size:           8
        .value_kind:     by_value
      - .actual_access:  read_only
        .address_space:  global
        .offset:         40
        .size:           8
        .value_kind:     global_buffer
      - .actual_access:  read_only
        .address_space:  global
        .offset:         48
        .size:           8
        .value_kind:     global_buffer
      - .actual_access:  read_only
        .address_space:  global
        .offset:         56
        .size:           8
        .value_kind:     global_buffer
      - .offset:         64
        .size:           4
        .value_kind:     by_value
      - .actual_access:  read_only
        .address_space:  global
        .offset:         72
        .size:           8
        .value_kind:     global_buffer
      - .offset:         80
        .size:           8
        .value_kind:     by_value
      - .offset:         88
        .size:           8
        .value_kind:     by_value
      - .offset:         96
        .size:           8
        .value_kind:     by_value
      - .address_space:  global
        .offset:         104
        .size:           8
        .value_kind:     global_buffer
      - .offset:         112
        .size:           8
        .value_kind:     by_value
      - .offset:         120
        .size:           8
        .value_kind:     by_value
      - .offset:         128
        .size:           4
        .value_kind:     by_value
      - .offset:         132
        .size:           4
        .value_kind:     by_value
      - .offset:         136
        .size:           1
        .value_kind:     by_value
    .group_segment_fixed_size: 1152
    .kernarg_segment_align: 8
    .kernarg_segment_size: 140
    .language:       OpenCL C
    .language_version:
      - 2
      - 0
    .max_flat_workgroup_size: 64
    .name:           _ZN9rocsparseL31bsrmm_large_blockdim_kernel_extILj4ELj16ELj2Eli21rocsparse_complex_numIfES2_S2_S2_EEvb20rocsparse_direction_T3_S4_llNS_24const_host_device_scalarIT7_EEPKT2_PKS4_PKT4_S4_PKT5_llS7_PT6_ll16rocsparse_order_21rocsparse_index_base_b
    .private_segment_fixed_size: 0
    .sgpr_count:     38
    .sgpr_spill_count: 0
    .symbol:         _ZN9rocsparseL31bsrmm_large_blockdim_kernel_extILj4ELj16ELj2Eli21rocsparse_complex_numIfES2_S2_S2_EEvb20rocsparse_direction_T3_S4_llNS_24const_host_device_scalarIT7_EEPKT2_PKS4_PKT4_S4_PKT5_llS7_PT6_ll16rocsparse_order_21rocsparse_index_base_b.kd
    .uniform_work_group_size: 1
    .uses_dynamic_stack: false
    .vgpr_count:     44
    .vgpr_spill_count: 0
    .wavefront_size: 32
    .workgroup_processor_mode: 1
  - .args:
      - .offset:         0
        .size:           1
        .value_kind:     by_value
      - .offset:         4
        .size:           4
        .value_kind:     by_value
      - .offset:         8
        .size:           4
        .value_kind:     by_value
      - .offset:         12
        .size:           4
        .value_kind:     by_value
      - .offset:         16
        .size:           8
        .value_kind:     by_value
      - .offset:         24
        .size:           8
        .value_kind:     by_value
      - .offset:         32
        .size:           8
        .value_kind:     by_value
      - .actual_access:  read_only
        .address_space:  global
        .offset:         40
        .size:           8
        .value_kind:     global_buffer
      - .actual_access:  read_only
        .address_space:  global
        .offset:         48
        .size:           8
        .value_kind:     global_buffer
      - .actual_access:  read_only
        .address_space:  global
        .offset:         56
        .size:           8
        .value_kind:     global_buffer
      - .offset:         64
        .size:           4
        .value_kind:     by_value
      - .actual_access:  read_only
        .address_space:  global
        .offset:         72
        .size:           8
        .value_kind:     global_buffer
      - .offset:         80
        .size:           8
        .value_kind:     by_value
      - .offset:         88
        .size:           8
        .value_kind:     by_value
      - .offset:         96
        .size:           8
        .value_kind:     by_value
      - .address_space:  global
        .offset:         104
        .size:           8
        .value_kind:     global_buffer
      - .offset:         112
        .size:           8
        .value_kind:     by_value
      - .offset:         120
        .size:           8
        .value_kind:     by_value
      - .offset:         128
        .size:           4
        .value_kind:     by_value
      - .offset:         132
        .size:           4
        .value_kind:     by_value
      - .offset:         136
        .size:           1
        .value_kind:     by_value
    .group_segment_fixed_size: 6144
    .kernarg_segment_align: 8
    .kernarg_segment_size: 140
    .language:       OpenCL C
    .language_version:
      - 2
      - 0
    .max_flat_workgroup_size: 256
    .name:           _ZN9rocsparseL31bsrmm_large_blockdim_kernel_extILj16ELj16ELj2Eli21rocsparse_complex_numIfES2_S2_S2_EEvb20rocsparse_direction_T3_S4_llNS_24const_host_device_scalarIT7_EEPKT2_PKS4_PKT4_S4_PKT5_llS7_PT6_ll16rocsparse_order_21rocsparse_index_base_b
    .private_segment_fixed_size: 0
    .sgpr_count:     38
    .sgpr_spill_count: 0
    .symbol:         _ZN9rocsparseL31bsrmm_large_blockdim_kernel_extILj16ELj16ELj2Eli21rocsparse_complex_numIfES2_S2_S2_EEvb20rocsparse_direction_T3_S4_llNS_24const_host_device_scalarIT7_EEPKT2_PKS4_PKT4_S4_PKT5_llS7_PT6_ll16rocsparse_order_21rocsparse_index_base_b.kd
    .uniform_work_group_size: 1
    .uses_dynamic_stack: false
    .vgpr_count:     44
    .vgpr_spill_count: 0
    .wavefront_size: 32
    .workgroup_processor_mode: 1
  - .args:
      - .offset:         0
        .size:           1
        .value_kind:     by_value
      - .offset:         4
        .size:           4
        .value_kind:     by_value
      - .offset:         8
        .size:           4
        .value_kind:     by_value
      - .offset:         12
        .size:           4
        .value_kind:     by_value
      - .offset:         16
        .size:           8
        .value_kind:     by_value
      - .offset:         24
        .size:           8
        .value_kind:     by_value
      - .offset:         32
        .size:           8
        .value_kind:     by_value
      - .actual_access:  read_only
        .address_space:  global
        .offset:         40
        .size:           8
        .value_kind:     global_buffer
      - .actual_access:  read_only
        .address_space:  global
        .offset:         48
        .size:           8
        .value_kind:     global_buffer
      - .actual_access:  read_only
        .address_space:  global
        .offset:         56
        .size:           8
        .value_kind:     global_buffer
      - .offset:         64
        .size:           4
        .value_kind:     by_value
      - .actual_access:  read_only
        .address_space:  global
        .offset:         72
        .size:           8
        .value_kind:     global_buffer
      - .offset:         80
        .size:           8
        .value_kind:     by_value
      - .offset:         88
        .size:           8
        .value_kind:     by_value
      - .offset:         96
        .size:           8
        .value_kind:     by_value
      - .address_space:  global
        .offset:         104
        .size:           8
        .value_kind:     global_buffer
      - .offset:         112
        .size:           8
        .value_kind:     by_value
      - .offset:         120
        .size:           8
        .value_kind:     by_value
      - .offset:         128
        .size:           4
        .value_kind:     by_value
      - .offset:         132
        .size:           4
        .value_kind:     by_value
      - .offset:         136
        .size:           1
        .value_kind:     by_value
    .group_segment_fixed_size: 24576
    .kernarg_segment_align: 8
    .kernarg_segment_size: 140
    .language:       OpenCL C
    .language_version:
      - 2
      - 0
    .max_flat_workgroup_size: 1024
    .name:           _ZN9rocsparseL31bsrmm_large_blockdim_kernel_extILj32ELj32ELj2Eli21rocsparse_complex_numIfES2_S2_S2_EEvb20rocsparse_direction_T3_S4_llNS_24const_host_device_scalarIT7_EEPKT2_PKS4_PKT4_S4_PKT5_llS7_PT6_ll16rocsparse_order_21rocsparse_index_base_b
    .private_segment_fixed_size: 0
    .sgpr_count:     38
    .sgpr_spill_count: 0
    .symbol:         _ZN9rocsparseL31bsrmm_large_blockdim_kernel_extILj32ELj32ELj2Eli21rocsparse_complex_numIfES2_S2_S2_EEvb20rocsparse_direction_T3_S4_llNS_24const_host_device_scalarIT7_EEPKT2_PKS4_PKT4_S4_PKT5_llS7_PT6_ll16rocsparse_order_21rocsparse_index_base_b.kd
    .uniform_work_group_size: 1
    .uses_dynamic_stack: false
    .vgpr_count:     44
    .vgpr_spill_count: 0
    .wavefront_size: 32
    .workgroup_processor_mode: 1
  - .args:
      - .offset:         0
        .size:           1
        .value_kind:     by_value
      - .offset:         4
        .size:           4
        .value_kind:     by_value
      - .offset:         8
        .size:           8
        .value_kind:     by_value
      - .offset:         16
        .size:           8
        .value_kind:     by_value
      - .offset:         24
        .size:           8
        .value_kind:     by_value
      - .offset:         32
        .size:           8
        .value_kind:     by_value
      - .offset:         40
        .size:           8
        .value_kind:     by_value
      - .actual_access:  read_only
        .address_space:  global
        .offset:         48
        .size:           8
        .value_kind:     global_buffer
      - .actual_access:  read_only
        .address_space:  global
        .offset:         56
        .size:           8
        .value_kind:     global_buffer
      - .actual_access:  read_only
        .address_space:  global
        .offset:         64
        .size:           8
        .value_kind:     global_buffer
      - .offset:         72
        .size:           8
        .value_kind:     by_value
      - .actual_access:  read_only
        .address_space:  global
        .offset:         80
        .size:           8
        .value_kind:     global_buffer
      - .offset:         88
        .size:           8
        .value_kind:     by_value
      - .offset:         96
        .size:           8
        .value_kind:     by_value
      - .offset:         104
        .size:           8
        .value_kind:     by_value
      - .address_space:  global
        .offset:         112
        .size:           8
        .value_kind:     global_buffer
      - .offset:         120
        .size:           8
        .value_kind:     by_value
      - .offset:         128
        .size:           8
        .value_kind:     by_value
      - .offset:         136
        .size:           4
        .value_kind:     by_value
      - .offset:         140
        .size:           4
        .value_kind:     by_value
      - .offset:         144
        .size:           1
        .value_kind:     by_value
    .group_segment_fixed_size: 1536
    .kernarg_segment_align: 8
    .kernarg_segment_size: 148
    .language:       OpenCL C
    .language_version:
      - 2
      - 0
    .max_flat_workgroup_size: 64
    .name:           _ZN9rocsparseL31bsrmm_large_blockdim_kernel_extILj8ELj8ELj2Ell21rocsparse_complex_numIfES2_S2_S2_EEvb20rocsparse_direction_T3_S4_llNS_24const_host_device_scalarIT7_EEPKT2_PKS4_PKT4_S4_PKT5_llS7_PT6_ll16rocsparse_order_21rocsparse_index_base_b
    .private_segment_fixed_size: 0
    .sgpr_count:     46
    .sgpr_spill_count: 0
    .symbol:         _ZN9rocsparseL31bsrmm_large_blockdim_kernel_extILj8ELj8ELj2Ell21rocsparse_complex_numIfES2_S2_S2_EEvb20rocsparse_direction_T3_S4_llNS_24const_host_device_scalarIT7_EEPKT2_PKS4_PKT4_S4_PKT5_llS7_PT6_ll16rocsparse_order_21rocsparse_index_base_b.kd
    .uniform_work_group_size: 1
    .uses_dynamic_stack: false
    .vgpr_count:     49
    .vgpr_spill_count: 0
    .wavefront_size: 32
    .workgroup_processor_mode: 1
  - .args:
      - .offset:         0
        .size:           1
        .value_kind:     by_value
      - .offset:         4
        .size:           4
        .value_kind:     by_value
      - .offset:         8
        .size:           8
        .value_kind:     by_value
      - .offset:         16
        .size:           8
        .value_kind:     by_value
      - .offset:         24
        .size:           8
        .value_kind:     by_value
      - .offset:         32
        .size:           8
        .value_kind:     by_value
      - .offset:         40
        .size:           8
        .value_kind:     by_value
      - .actual_access:  read_only
        .address_space:  global
        .offset:         48
        .size:           8
        .value_kind:     global_buffer
      - .actual_access:  read_only
        .address_space:  global
        .offset:         56
        .size:           8
        .value_kind:     global_buffer
      - .actual_access:  read_only
        .address_space:  global
        .offset:         64
        .size:           8
        .value_kind:     global_buffer
      - .offset:         72
        .size:           8
        .value_kind:     by_value
      - .actual_access:  read_only
        .address_space:  global
        .offset:         80
        .size:           8
        .value_kind:     global_buffer
      - .offset:         88
        .size:           8
        .value_kind:     by_value
      - .offset:         96
        .size:           8
        .value_kind:     by_value
      - .offset:         104
        .size:           8
        .value_kind:     by_value
      - .address_space:  global
        .offset:         112
        .size:           8
        .value_kind:     global_buffer
      - .offset:         120
        .size:           8
        .value_kind:     by_value
      - .offset:         128
        .size:           8
        .value_kind:     by_value
      - .offset:         136
        .size:           4
        .value_kind:     by_value
      - .offset:         140
        .size:           4
        .value_kind:     by_value
      - .offset:         144
        .size:           1
        .value_kind:     by_value
    .group_segment_fixed_size: 1152
    .kernarg_segment_align: 8
    .kernarg_segment_size: 148
    .language:       OpenCL C
    .language_version:
      - 2
      - 0
    .max_flat_workgroup_size: 64
    .name:           _ZN9rocsparseL31bsrmm_large_blockdim_kernel_extILj4ELj16ELj2Ell21rocsparse_complex_numIfES2_S2_S2_EEvb20rocsparse_direction_T3_S4_llNS_24const_host_device_scalarIT7_EEPKT2_PKS4_PKT4_S4_PKT5_llS7_PT6_ll16rocsparse_order_21rocsparse_index_base_b
    .private_segment_fixed_size: 0
    .sgpr_count:     46
    .sgpr_spill_count: 0
    .symbol:         _ZN9rocsparseL31bsrmm_large_blockdim_kernel_extILj4ELj16ELj2Ell21rocsparse_complex_numIfES2_S2_S2_EEvb20rocsparse_direction_T3_S4_llNS_24const_host_device_scalarIT7_EEPKT2_PKS4_PKT4_S4_PKT5_llS7_PT6_ll16rocsparse_order_21rocsparse_index_base_b.kd
    .uniform_work_group_size: 1
    .uses_dynamic_stack: false
    .vgpr_count:     49
    .vgpr_spill_count: 0
    .wavefront_size: 32
    .workgroup_processor_mode: 1
  - .args:
      - .offset:         0
        .size:           1
        .value_kind:     by_value
      - .offset:         4
        .size:           4
        .value_kind:     by_value
      - .offset:         8
        .size:           8
        .value_kind:     by_value
      - .offset:         16
        .size:           8
        .value_kind:     by_value
      - .offset:         24
        .size:           8
        .value_kind:     by_value
      - .offset:         32
        .size:           8
        .value_kind:     by_value
      - .offset:         40
        .size:           8
        .value_kind:     by_value
      - .actual_access:  read_only
        .address_space:  global
        .offset:         48
        .size:           8
        .value_kind:     global_buffer
      - .actual_access:  read_only
        .address_space:  global
        .offset:         56
        .size:           8
        .value_kind:     global_buffer
      - .actual_access:  read_only
        .address_space:  global
        .offset:         64
        .size:           8
        .value_kind:     global_buffer
      - .offset:         72
        .size:           8
        .value_kind:     by_value
      - .actual_access:  read_only
        .address_space:  global
        .offset:         80
        .size:           8
        .value_kind:     global_buffer
      - .offset:         88
        .size:           8
        .value_kind:     by_value
      - .offset:         96
        .size:           8
        .value_kind:     by_value
      - .offset:         104
        .size:           8
        .value_kind:     by_value
      - .address_space:  global
        .offset:         112
        .size:           8
        .value_kind:     global_buffer
      - .offset:         120
        .size:           8
        .value_kind:     by_value
      - .offset:         128
        .size:           8
        .value_kind:     by_value
      - .offset:         136
        .size:           4
        .value_kind:     by_value
      - .offset:         140
        .size:           4
        .value_kind:     by_value
      - .offset:         144
        .size:           1
        .value_kind:     by_value
    .group_segment_fixed_size: 6144
    .kernarg_segment_align: 8
    .kernarg_segment_size: 148
    .language:       OpenCL C
    .language_version:
      - 2
      - 0
    .max_flat_workgroup_size: 256
    .name:           _ZN9rocsparseL31bsrmm_large_blockdim_kernel_extILj16ELj16ELj2Ell21rocsparse_complex_numIfES2_S2_S2_EEvb20rocsparse_direction_T3_S4_llNS_24const_host_device_scalarIT7_EEPKT2_PKS4_PKT4_S4_PKT5_llS7_PT6_ll16rocsparse_order_21rocsparse_index_base_b
    .private_segment_fixed_size: 0
    .sgpr_count:     46
    .sgpr_spill_count: 0
    .symbol:         _ZN9rocsparseL31bsrmm_large_blockdim_kernel_extILj16ELj16ELj2Ell21rocsparse_complex_numIfES2_S2_S2_EEvb20rocsparse_direction_T3_S4_llNS_24const_host_device_scalarIT7_EEPKT2_PKS4_PKT4_S4_PKT5_llS7_PT6_ll16rocsparse_order_21rocsparse_index_base_b.kd
    .uniform_work_group_size: 1
    .uses_dynamic_stack: false
    .vgpr_count:     49
    .vgpr_spill_count: 0
    .wavefront_size: 32
    .workgroup_processor_mode: 1
  - .args:
      - .offset:         0
        .size:           1
        .value_kind:     by_value
      - .offset:         4
        .size:           4
        .value_kind:     by_value
      - .offset:         8
        .size:           8
        .value_kind:     by_value
      - .offset:         16
        .size:           8
        .value_kind:     by_value
      - .offset:         24
        .size:           8
        .value_kind:     by_value
      - .offset:         32
        .size:           8
        .value_kind:     by_value
      - .offset:         40
        .size:           8
        .value_kind:     by_value
      - .actual_access:  read_only
        .address_space:  global
        .offset:         48
        .size:           8
        .value_kind:     global_buffer
      - .actual_access:  read_only
        .address_space:  global
        .offset:         56
        .size:           8
        .value_kind:     global_buffer
      - .actual_access:  read_only
        .address_space:  global
        .offset:         64
        .size:           8
        .value_kind:     global_buffer
      - .offset:         72
        .size:           8
        .value_kind:     by_value
      - .actual_access:  read_only
        .address_space:  global
        .offset:         80
        .size:           8
        .value_kind:     global_buffer
      - .offset:         88
        .size:           8
        .value_kind:     by_value
      - .offset:         96
        .size:           8
        .value_kind:     by_value
      - .offset:         104
        .size:           8
        .value_kind:     by_value
      - .address_space:  global
        .offset:         112
        .size:           8
        .value_kind:     global_buffer
      - .offset:         120
        .size:           8
        .value_kind:     by_value
      - .offset:         128
        .size:           8
        .value_kind:     by_value
      - .offset:         136
        .size:           4
        .value_kind:     by_value
      - .offset:         140
        .size:           4
        .value_kind:     by_value
      - .offset:         144
        .size:           1
        .value_kind:     by_value
    .group_segment_fixed_size: 24576
    .kernarg_segment_align: 8
    .kernarg_segment_size: 148
    .language:       OpenCL C
    .language_version:
      - 2
      - 0
    .max_flat_workgroup_size: 1024
    .name:           _ZN9rocsparseL31bsrmm_large_blockdim_kernel_extILj32ELj32ELj2Ell21rocsparse_complex_numIfES2_S2_S2_EEvb20rocsparse_direction_T3_S4_llNS_24const_host_device_scalarIT7_EEPKT2_PKS4_PKT4_S4_PKT5_llS7_PT6_ll16rocsparse_order_21rocsparse_index_base_b
    .private_segment_fixed_size: 0
    .sgpr_count:     46
    .sgpr_spill_count: 0
    .symbol:         _ZN9rocsparseL31bsrmm_large_blockdim_kernel_extILj32ELj32ELj2Ell21rocsparse_complex_numIfES2_S2_S2_EEvb20rocsparse_direction_T3_S4_llNS_24const_host_device_scalarIT7_EEPKT2_PKS4_PKT4_S4_PKT5_llS7_PT6_ll16rocsparse_order_21rocsparse_index_base_b.kd
    .uniform_work_group_size: 1
    .uses_dynamic_stack: false
    .vgpr_count:     49
    .vgpr_spill_count: 0
    .wavefront_size: 32
    .workgroup_processor_mode: 1
  - .args:
      - .offset:         0
        .size:           1
        .value_kind:     by_value
      - .offset:         4
        .size:           4
        .value_kind:     by_value
      - .offset:         8
        .size:           4
        .value_kind:     by_value
      - .offset:         12
        .size:           4
        .value_kind:     by_value
      - .offset:         16
        .size:           8
        .value_kind:     by_value
      - .offset:         24
        .size:           8
        .value_kind:     by_value
      - .offset:         32
        .size:           16
        .value_kind:     by_value
      - .actual_access:  read_only
        .address_space:  global
        .offset:         48
        .size:           8
        .value_kind:     global_buffer
      - .actual_access:  read_only
        .address_space:  global
        .offset:         56
        .size:           8
        .value_kind:     global_buffer
      - .actual_access:  read_only
        .address_space:  global
        .offset:         64
        .size:           8
        .value_kind:     global_buffer
      - .offset:         72
        .size:           4
        .value_kind:     by_value
      - .actual_access:  read_only
        .address_space:  global
        .offset:         80
        .size:           8
        .value_kind:     global_buffer
      - .offset:         88
        .size:           8
        .value_kind:     by_value
      - .offset:         96
        .size:           8
        .value_kind:     by_value
      - .offset:         104
        .size:           16
        .value_kind:     by_value
      - .address_space:  global
        .offset:         120
        .size:           8
        .value_kind:     global_buffer
      - .offset:         128
        .size:           8
        .value_kind:     by_value
      - .offset:         136
        .size:           8
        .value_kind:     by_value
      - .offset:         144
        .size:           4
        .value_kind:     by_value
      - .offset:         148
        .size:           4
        .value_kind:     by_value
      - .offset:         152
        .size:           1
        .value_kind:     by_value
    .group_segment_fixed_size: 4096
    .kernarg_segment_align: 8
    .kernarg_segment_size: 156
    .language:       OpenCL C
    .language_version:
      - 2
      - 0
    .max_flat_workgroup_size: 64
    .name:           _ZN9rocsparseL31bsrmm_large_blockdim_kernel_extILj8ELj8ELj2Eii21rocsparse_complex_numIdES2_S2_S2_EEvb20rocsparse_direction_T3_S4_llNS_24const_host_device_scalarIT7_EEPKT2_PKS4_PKT4_S4_PKT5_llS7_PT6_ll16rocsparse_order_21rocsparse_index_base_b
    .private_segment_fixed_size: 0
    .sgpr_count:     38
    .sgpr_spill_count: 0
    .symbol:         _ZN9rocsparseL31bsrmm_large_blockdim_kernel_extILj8ELj8ELj2Eii21rocsparse_complex_numIdES2_S2_S2_EEvb20rocsparse_direction_T3_S4_llNS_24const_host_device_scalarIT7_EEPKT2_PKS4_PKT4_S4_PKT5_llS7_PT6_ll16rocsparse_order_21rocsparse_index_base_b.kd
    .uniform_work_group_size: 1
    .uses_dynamic_stack: false
    .vgpr_count:     52
    .vgpr_spill_count: 0
    .wavefront_size: 32
    .workgroup_processor_mode: 1
  - .args:
      - .offset:         0
        .size:           1
        .value_kind:     by_value
      - .offset:         4
        .size:           4
        .value_kind:     by_value
      - .offset:         8
        .size:           4
        .value_kind:     by_value
      - .offset:         12
        .size:           4
        .value_kind:     by_value
      - .offset:         16
        .size:           8
        .value_kind:     by_value
      - .offset:         24
        .size:           8
        .value_kind:     by_value
      - .offset:         32
        .size:           16
        .value_kind:     by_value
      - .actual_access:  read_only
        .address_space:  global
        .offset:         48
        .size:           8
        .value_kind:     global_buffer
      - .actual_access:  read_only
        .address_space:  global
        .offset:         56
        .size:           8
        .value_kind:     global_buffer
      - .actual_access:  read_only
        .address_space:  global
        .offset:         64
        .size:           8
        .value_kind:     global_buffer
      - .offset:         72
        .size:           4
        .value_kind:     by_value
      - .actual_access:  read_only
        .address_space:  global
        .offset:         80
        .size:           8
        .value_kind:     global_buffer
      - .offset:         88
        .size:           8
        .value_kind:     by_value
      - .offset:         96
        .size:           8
        .value_kind:     by_value
      - .offset:         104
        .size:           16
        .value_kind:     by_value
      - .address_space:  global
        .offset:         120
        .size:           8
        .value_kind:     global_buffer
      - .offset:         128
        .size:           8
        .value_kind:     by_value
      - .offset:         136
        .size:           8
        .value_kind:     by_value
      - .offset:         144
        .size:           4
        .value_kind:     by_value
      - .offset:         148
        .size:           4
        .value_kind:     by_value
      - .offset:         152
        .size:           1
        .value_kind:     by_value
    .group_segment_fixed_size: 3328
    .kernarg_segment_align: 8
    .kernarg_segment_size: 156
    .language:       OpenCL C
    .language_version:
      - 2
      - 0
    .max_flat_workgroup_size: 64
    .name:           _ZN9rocsparseL31bsrmm_large_blockdim_kernel_extILj4ELj16ELj2Eii21rocsparse_complex_numIdES2_S2_S2_EEvb20rocsparse_direction_T3_S4_llNS_24const_host_device_scalarIT7_EEPKT2_PKS4_PKT4_S4_PKT5_llS7_PT6_ll16rocsparse_order_21rocsparse_index_base_b
    .private_segment_fixed_size: 0
    .sgpr_count:     38
    .sgpr_spill_count: 0
    .symbol:         _ZN9rocsparseL31bsrmm_large_blockdim_kernel_extILj4ELj16ELj2Eii21rocsparse_complex_numIdES2_S2_S2_EEvb20rocsparse_direction_T3_S4_llNS_24const_host_device_scalarIT7_EEPKT2_PKS4_PKT4_S4_PKT5_llS7_PT6_ll16rocsparse_order_21rocsparse_index_base_b.kd
    .uniform_work_group_size: 1
    .uses_dynamic_stack: false
    .vgpr_count:     52
    .vgpr_spill_count: 0
    .wavefront_size: 32
    .workgroup_processor_mode: 1
  - .args:
      - .offset:         0
        .size:           1
        .value_kind:     by_value
      - .offset:         4
        .size:           4
        .value_kind:     by_value
      - .offset:         8
        .size:           4
        .value_kind:     by_value
      - .offset:         12
        .size:           4
        .value_kind:     by_value
      - .offset:         16
        .size:           8
        .value_kind:     by_value
      - .offset:         24
        .size:           8
        .value_kind:     by_value
      - .offset:         32
        .size:           16
        .value_kind:     by_value
      - .actual_access:  read_only
        .address_space:  global
        .offset:         48
        .size:           8
        .value_kind:     global_buffer
      - .actual_access:  read_only
        .address_space:  global
        .offset:         56
        .size:           8
        .value_kind:     global_buffer
      - .actual_access:  read_only
        .address_space:  global
        .offset:         64
        .size:           8
        .value_kind:     global_buffer
      - .offset:         72
        .size:           4
        .value_kind:     by_value
      - .actual_access:  read_only
        .address_space:  global
        .offset:         80
        .size:           8
        .value_kind:     global_buffer
      - .offset:         88
        .size:           8
        .value_kind:     by_value
      - .offset:         96
        .size:           8
        .value_kind:     by_value
      - .offset:         104
        .size:           16
        .value_kind:     by_value
      - .address_space:  global
        .offset:         120
        .size:           8
        .value_kind:     global_buffer
      - .offset:         128
        .size:           8
        .value_kind:     by_value
      - .offset:         136
        .size:           8
        .value_kind:     by_value
      - .offset:         144
        .size:           4
        .value_kind:     by_value
      - .offset:         148
        .size:           4
        .value_kind:     by_value
      - .offset:         152
        .size:           1
        .value_kind:     by_value
    .group_segment_fixed_size: 16384
    .kernarg_segment_align: 8
    .kernarg_segment_size: 156
    .language:       OpenCL C
    .language_version:
      - 2
      - 0
    .max_flat_workgroup_size: 256
    .name:           _ZN9rocsparseL31bsrmm_large_blockdim_kernel_extILj16ELj16ELj2Eii21rocsparse_complex_numIdES2_S2_S2_EEvb20rocsparse_direction_T3_S4_llNS_24const_host_device_scalarIT7_EEPKT2_PKS4_PKT4_S4_PKT5_llS7_PT6_ll16rocsparse_order_21rocsparse_index_base_b
    .private_segment_fixed_size: 0
    .sgpr_count:     38
    .sgpr_spill_count: 0
    .symbol:         _ZN9rocsparseL31bsrmm_large_blockdim_kernel_extILj16ELj16ELj2Eii21rocsparse_complex_numIdES2_S2_S2_EEvb20rocsparse_direction_T3_S4_llNS_24const_host_device_scalarIT7_EEPKT2_PKS4_PKT4_S4_PKT5_llS7_PT6_ll16rocsparse_order_21rocsparse_index_base_b.kd
    .uniform_work_group_size: 1
    .uses_dynamic_stack: false
    .vgpr_count:     52
    .vgpr_spill_count: 0
    .wavefront_size: 32
    .workgroup_processor_mode: 1
  - .args:
      - .offset:         0
        .size:           1
        .value_kind:     by_value
      - .offset:         4
        .size:           4
        .value_kind:     by_value
      - .offset:         8
        .size:           4
        .value_kind:     by_value
      - .offset:         12
        .size:           4
        .value_kind:     by_value
      - .offset:         16
        .size:           8
        .value_kind:     by_value
      - .offset:         24
        .size:           8
        .value_kind:     by_value
      - .offset:         32
        .size:           16
        .value_kind:     by_value
      - .actual_access:  read_only
        .address_space:  global
        .offset:         48
        .size:           8
        .value_kind:     global_buffer
      - .actual_access:  read_only
        .address_space:  global
        .offset:         56
        .size:           8
        .value_kind:     global_buffer
      - .actual_access:  read_only
        .address_space:  global
        .offset:         64
        .size:           8
        .value_kind:     global_buffer
      - .offset:         72
        .size:           4
        .value_kind:     by_value
      - .actual_access:  read_only
        .address_space:  global
        .offset:         80
        .size:           8
        .value_kind:     global_buffer
      - .offset:         88
        .size:           8
        .value_kind:     by_value
      - .offset:         96
        .size:           8
        .value_kind:     by_value
      - .offset:         104
        .size:           16
        .value_kind:     by_value
      - .address_space:  global
        .offset:         120
        .size:           8
        .value_kind:     global_buffer
      - .offset:         128
        .size:           8
        .value_kind:     by_value
      - .offset:         136
        .size:           8
        .value_kind:     by_value
      - .offset:         144
        .size:           4
        .value_kind:     by_value
      - .offset:         148
        .size:           4
        .value_kind:     by_value
      - .offset:         152
        .size:           1
        .value_kind:     by_value
    .group_segment_fixed_size: 65536
    .kernarg_segment_align: 8
    .kernarg_segment_size: 156
    .language:       OpenCL C
    .language_version:
      - 2
      - 0
    .max_flat_workgroup_size: 1024
    .name:           _ZN9rocsparseL31bsrmm_large_blockdim_kernel_extILj32ELj32ELj2Eii21rocsparse_complex_numIdES2_S2_S2_EEvb20rocsparse_direction_T3_S4_llNS_24const_host_device_scalarIT7_EEPKT2_PKS4_PKT4_S4_PKT5_llS7_PT6_ll16rocsparse_order_21rocsparse_index_base_b
    .private_segment_fixed_size: 0
    .sgpr_count:     38
    .sgpr_spill_count: 0
    .symbol:         _ZN9rocsparseL31bsrmm_large_blockdim_kernel_extILj32ELj32ELj2Eii21rocsparse_complex_numIdES2_S2_S2_EEvb20rocsparse_direction_T3_S4_llNS_24const_host_device_scalarIT7_EEPKT2_PKS4_PKT4_S4_PKT5_llS7_PT6_ll16rocsparse_order_21rocsparse_index_base_b.kd
    .uniform_work_group_size: 1
    .uses_dynamic_stack: false
    .vgpr_count:     52
    .vgpr_spill_count: 0
    .wavefront_size: 32
    .workgroup_processor_mode: 1
  - .args:
      - .offset:         0
        .size:           1
        .value_kind:     by_value
      - .offset:         4
        .size:           4
        .value_kind:     by_value
      - .offset:         8
        .size:           4
        .value_kind:     by_value
      - .offset:         12
        .size:           4
        .value_kind:     by_value
      - .offset:         16
        .size:           8
        .value_kind:     by_value
      - .offset:         24
        .size:           8
        .value_kind:     by_value
      - .offset:         32
        .size:           16
        .value_kind:     by_value
      - .actual_access:  read_only
        .address_space:  global
        .offset:         48
        .size:           8
        .value_kind:     global_buffer
      - .actual_access:  read_only
        .address_space:  global
        .offset:         56
        .size:           8
        .value_kind:     global_buffer
      - .actual_access:  read_only
        .address_space:  global
        .offset:         64
        .size:           8
        .value_kind:     global_buffer
      - .offset:         72
        .size:           4
        .value_kind:     by_value
      - .actual_access:  read_only
        .address_space:  global
        .offset:         80
        .size:           8
        .value_kind:     global_buffer
      - .offset:         88
        .size:           8
        .value_kind:     by_value
      - .offset:         96
        .size:           8
        .value_kind:     by_value
      - .offset:         104
        .size:           16
        .value_kind:     by_value
      - .address_space:  global
        .offset:         120
        .size:           8
        .value_kind:     global_buffer
      - .offset:         128
        .size:           8
        .value_kind:     by_value
      - .offset:         136
        .size:           8
        .value_kind:     by_value
      - .offset:         144
        .size:           4
        .value_kind:     by_value
      - .offset:         148
        .size:           4
        .value_kind:     by_value
      - .offset:         152
        .size:           1
        .value_kind:     by_value
    .group_segment_fixed_size: 4096
    .kernarg_segment_align: 8
    .kernarg_segment_size: 156
    .language:       OpenCL C
    .language_version:
      - 2
      - 0
    .max_flat_workgroup_size: 64
    .name:           _ZN9rocsparseL31bsrmm_large_blockdim_kernel_extILj8ELj8ELj2Eli21rocsparse_complex_numIdES2_S2_S2_EEvb20rocsparse_direction_T3_S4_llNS_24const_host_device_scalarIT7_EEPKT2_PKS4_PKT4_S4_PKT5_llS7_PT6_ll16rocsparse_order_21rocsparse_index_base_b
    .private_segment_fixed_size: 0
    .sgpr_count:     38
    .sgpr_spill_count: 0
    .symbol:         _ZN9rocsparseL31bsrmm_large_blockdim_kernel_extILj8ELj8ELj2Eli21rocsparse_complex_numIdES2_S2_S2_EEvb20rocsparse_direction_T3_S4_llNS_24const_host_device_scalarIT7_EEPKT2_PKS4_PKT4_S4_PKT5_llS7_PT6_ll16rocsparse_order_21rocsparse_index_base_b.kd
    .uniform_work_group_size: 1
    .uses_dynamic_stack: false
    .vgpr_count:     53
    .vgpr_spill_count: 0
    .wavefront_size: 32
    .workgroup_processor_mode: 1
  - .args:
      - .offset:         0
        .size:           1
        .value_kind:     by_value
      - .offset:         4
        .size:           4
        .value_kind:     by_value
      - .offset:         8
        .size:           4
        .value_kind:     by_value
      - .offset:         12
        .size:           4
        .value_kind:     by_value
      - .offset:         16
        .size:           8
        .value_kind:     by_value
      - .offset:         24
        .size:           8
        .value_kind:     by_value
      - .offset:         32
        .size:           16
        .value_kind:     by_value
      - .actual_access:  read_only
        .address_space:  global
        .offset:         48
        .size:           8
        .value_kind:     global_buffer
      - .actual_access:  read_only
        .address_space:  global
        .offset:         56
        .size:           8
        .value_kind:     global_buffer
      - .actual_access:  read_only
        .address_space:  global
        .offset:         64
        .size:           8
        .value_kind:     global_buffer
      - .offset:         72
        .size:           4
        .value_kind:     by_value
      - .actual_access:  read_only
        .address_space:  global
        .offset:         80
        .size:           8
        .value_kind:     global_buffer
      - .offset:         88
        .size:           8
        .value_kind:     by_value
      - .offset:         96
        .size:           8
        .value_kind:     by_value
      - .offset:         104
        .size:           16
        .value_kind:     by_value
      - .address_space:  global
        .offset:         120
        .size:           8
        .value_kind:     global_buffer
      - .offset:         128
        .size:           8
        .value_kind:     by_value
      - .offset:         136
        .size:           8
        .value_kind:     by_value
      - .offset:         144
        .size:           4
        .value_kind:     by_value
      - .offset:         148
        .size:           4
        .value_kind:     by_value
      - .offset:         152
        .size:           1
        .value_kind:     by_value
    .group_segment_fixed_size: 3328
    .kernarg_segment_align: 8
    .kernarg_segment_size: 156
    .language:       OpenCL C
    .language_version:
      - 2
      - 0
    .max_flat_workgroup_size: 64
    .name:           _ZN9rocsparseL31bsrmm_large_blockdim_kernel_extILj4ELj16ELj2Eli21rocsparse_complex_numIdES2_S2_S2_EEvb20rocsparse_direction_T3_S4_llNS_24const_host_device_scalarIT7_EEPKT2_PKS4_PKT4_S4_PKT5_llS7_PT6_ll16rocsparse_order_21rocsparse_index_base_b
    .private_segment_fixed_size: 0
    .sgpr_count:     38
    .sgpr_spill_count: 0
    .symbol:         _ZN9rocsparseL31bsrmm_large_blockdim_kernel_extILj4ELj16ELj2Eli21rocsparse_complex_numIdES2_S2_S2_EEvb20rocsparse_direction_T3_S4_llNS_24const_host_device_scalarIT7_EEPKT2_PKS4_PKT4_S4_PKT5_llS7_PT6_ll16rocsparse_order_21rocsparse_index_base_b.kd
    .uniform_work_group_size: 1
    .uses_dynamic_stack: false
    .vgpr_count:     53
    .vgpr_spill_count: 0
    .wavefront_size: 32
    .workgroup_processor_mode: 1
  - .args:
      - .offset:         0
        .size:           1
        .value_kind:     by_value
      - .offset:         4
        .size:           4
        .value_kind:     by_value
      - .offset:         8
        .size:           4
        .value_kind:     by_value
      - .offset:         12
        .size:           4
        .value_kind:     by_value
      - .offset:         16
        .size:           8
        .value_kind:     by_value
      - .offset:         24
        .size:           8
        .value_kind:     by_value
      - .offset:         32
        .size:           16
        .value_kind:     by_value
      - .actual_access:  read_only
        .address_space:  global
        .offset:         48
        .size:           8
        .value_kind:     global_buffer
      - .actual_access:  read_only
        .address_space:  global
        .offset:         56
        .size:           8
        .value_kind:     global_buffer
      - .actual_access:  read_only
        .address_space:  global
        .offset:         64
        .size:           8
        .value_kind:     global_buffer
      - .offset:         72
        .size:           4
        .value_kind:     by_value
      - .actual_access:  read_only
        .address_space:  global
        .offset:         80
        .size:           8
        .value_kind:     global_buffer
      - .offset:         88
        .size:           8
        .value_kind:     by_value
      - .offset:         96
        .size:           8
        .value_kind:     by_value
      - .offset:         104
        .size:           16
        .value_kind:     by_value
      - .address_space:  global
        .offset:         120
        .size:           8
        .value_kind:     global_buffer
      - .offset:         128
        .size:           8
        .value_kind:     by_value
      - .offset:         136
        .size:           8
        .value_kind:     by_value
      - .offset:         144
        .size:           4
        .value_kind:     by_value
      - .offset:         148
        .size:           4
        .value_kind:     by_value
      - .offset:         152
        .size:           1
        .value_kind:     by_value
    .group_segment_fixed_size: 16384
    .kernarg_segment_align: 8
    .kernarg_segment_size: 156
    .language:       OpenCL C
    .language_version:
      - 2
      - 0
    .max_flat_workgroup_size: 256
    .name:           _ZN9rocsparseL31bsrmm_large_blockdim_kernel_extILj16ELj16ELj2Eli21rocsparse_complex_numIdES2_S2_S2_EEvb20rocsparse_direction_T3_S4_llNS_24const_host_device_scalarIT7_EEPKT2_PKS4_PKT4_S4_PKT5_llS7_PT6_ll16rocsparse_order_21rocsparse_index_base_b
    .private_segment_fixed_size: 0
    .sgpr_count:     38
    .sgpr_spill_count: 0
    .symbol:         _ZN9rocsparseL31bsrmm_large_blockdim_kernel_extILj16ELj16ELj2Eli21rocsparse_complex_numIdES2_S2_S2_EEvb20rocsparse_direction_T3_S4_llNS_24const_host_device_scalarIT7_EEPKT2_PKS4_PKT4_S4_PKT5_llS7_PT6_ll16rocsparse_order_21rocsparse_index_base_b.kd
    .uniform_work_group_size: 1
    .uses_dynamic_stack: false
    .vgpr_count:     53
    .vgpr_spill_count: 0
    .wavefront_size: 32
    .workgroup_processor_mode: 1
  - .args:
      - .offset:         0
        .size:           1
        .value_kind:     by_value
      - .offset:         4
        .size:           4
        .value_kind:     by_value
      - .offset:         8
        .size:           4
        .value_kind:     by_value
      - .offset:         12
        .size:           4
        .value_kind:     by_value
      - .offset:         16
        .size:           8
        .value_kind:     by_value
      - .offset:         24
        .size:           8
        .value_kind:     by_value
      - .offset:         32
        .size:           16
        .value_kind:     by_value
      - .actual_access:  read_only
        .address_space:  global
        .offset:         48
        .size:           8
        .value_kind:     global_buffer
      - .actual_access:  read_only
        .address_space:  global
        .offset:         56
        .size:           8
        .value_kind:     global_buffer
      - .actual_access:  read_only
        .address_space:  global
        .offset:         64
        .size:           8
        .value_kind:     global_buffer
      - .offset:         72
        .size:           4
        .value_kind:     by_value
      - .actual_access:  read_only
        .address_space:  global
        .offset:         80
        .size:           8
        .value_kind:     global_buffer
      - .offset:         88
        .size:           8
        .value_kind:     by_value
      - .offset:         96
        .size:           8
        .value_kind:     by_value
      - .offset:         104
        .size:           16
        .value_kind:     by_value
      - .address_space:  global
        .offset:         120
        .size:           8
        .value_kind:     global_buffer
      - .offset:         128
        .size:           8
        .value_kind:     by_value
      - .offset:         136
        .size:           8
        .value_kind:     by_value
      - .offset:         144
        .size:           4
        .value_kind:     by_value
      - .offset:         148
        .size:           4
        .value_kind:     by_value
      - .offset:         152
        .size:           1
        .value_kind:     by_value
    .group_segment_fixed_size: 65536
    .kernarg_segment_align: 8
    .kernarg_segment_size: 156
    .language:       OpenCL C
    .language_version:
      - 2
      - 0
    .max_flat_workgroup_size: 1024
    .name:           _ZN9rocsparseL31bsrmm_large_blockdim_kernel_extILj32ELj32ELj2Eli21rocsparse_complex_numIdES2_S2_S2_EEvb20rocsparse_direction_T3_S4_llNS_24const_host_device_scalarIT7_EEPKT2_PKS4_PKT4_S4_PKT5_llS7_PT6_ll16rocsparse_order_21rocsparse_index_base_b
    .private_segment_fixed_size: 0
    .sgpr_count:     38
    .sgpr_spill_count: 0
    .symbol:         _ZN9rocsparseL31bsrmm_large_blockdim_kernel_extILj32ELj32ELj2Eli21rocsparse_complex_numIdES2_S2_S2_EEvb20rocsparse_direction_T3_S4_llNS_24const_host_device_scalarIT7_EEPKT2_PKS4_PKT4_S4_PKT5_llS7_PT6_ll16rocsparse_order_21rocsparse_index_base_b.kd
    .uniform_work_group_size: 1
    .uses_dynamic_stack: false
    .vgpr_count:     53
    .vgpr_spill_count: 0
    .wavefront_size: 32
    .workgroup_processor_mode: 1
  - .args:
      - .offset:         0
        .size:           1
        .value_kind:     by_value
      - .offset:         4
        .size:           4
        .value_kind:     by_value
      - .offset:         8
        .size:           8
        .value_kind:     by_value
      - .offset:         16
        .size:           8
        .value_kind:     by_value
      - .offset:         24
        .size:           8
        .value_kind:     by_value
      - .offset:         32
        .size:           8
        .value_kind:     by_value
      - .offset:         40
        .size:           16
        .value_kind:     by_value
      - .actual_access:  read_only
        .address_space:  global
        .offset:         56
        .size:           8
        .value_kind:     global_buffer
      - .actual_access:  read_only
        .address_space:  global
        .offset:         64
        .size:           8
        .value_kind:     global_buffer
      - .actual_access:  read_only
        .address_space:  global
        .offset:         72
        .size:           8
        .value_kind:     global_buffer
      - .offset:         80
        .size:           8
        .value_kind:     by_value
      - .actual_access:  read_only
        .address_space:  global
        .offset:         88
        .size:           8
        .value_kind:     global_buffer
      - .offset:         96
        .size:           8
        .value_kind:     by_value
      - .offset:         104
        .size:           8
        .value_kind:     by_value
      - .offset:         112
        .size:           16
        .value_kind:     by_value
      - .address_space:  global
        .offset:         128
        .size:           8
        .value_kind:     global_buffer
      - .offset:         136
        .size:           8
        .value_kind:     by_value
      - .offset:         144
        .size:           8
        .value_kind:     by_value
      - .offset:         152
        .size:           4
        .value_kind:     by_value
      - .offset:         156
        .size:           4
        .value_kind:     by_value
      - .offset:         160
        .size:           1
        .value_kind:     by_value
    .group_segment_fixed_size: 4096
    .kernarg_segment_align: 8
    .kernarg_segment_size: 164
    .language:       OpenCL C
    .language_version:
      - 2
      - 0
    .max_flat_workgroup_size: 64
    .name:           _ZN9rocsparseL31bsrmm_large_blockdim_kernel_extILj8ELj8ELj2Ell21rocsparse_complex_numIdES2_S2_S2_EEvb20rocsparse_direction_T3_S4_llNS_24const_host_device_scalarIT7_EEPKT2_PKS4_PKT4_S4_PKT5_llS7_PT6_ll16rocsparse_order_21rocsparse_index_base_b
    .private_segment_fixed_size: 0
    .sgpr_count:     46
    .sgpr_spill_count: 0
    .symbol:         _ZN9rocsparseL31bsrmm_large_blockdim_kernel_extILj8ELj8ELj2Ell21rocsparse_complex_numIdES2_S2_S2_EEvb20rocsparse_direction_T3_S4_llNS_24const_host_device_scalarIT7_EEPKT2_PKS4_PKT4_S4_PKT5_llS7_PT6_ll16rocsparse_order_21rocsparse_index_base_b.kd
    .uniform_work_group_size: 1
    .uses_dynamic_stack: false
    .vgpr_count:     58
    .vgpr_spill_count: 0
    .wavefront_size: 32
    .workgroup_processor_mode: 1
  - .args:
      - .offset:         0
        .size:           1
        .value_kind:     by_value
      - .offset:         4
        .size:           4
        .value_kind:     by_value
      - .offset:         8
        .size:           8
        .value_kind:     by_value
      - .offset:         16
        .size:           8
        .value_kind:     by_value
      - .offset:         24
        .size:           8
        .value_kind:     by_value
      - .offset:         32
        .size:           8
        .value_kind:     by_value
      - .offset:         40
        .size:           16
        .value_kind:     by_value
      - .actual_access:  read_only
        .address_space:  global
        .offset:         56
        .size:           8
        .value_kind:     global_buffer
      - .actual_access:  read_only
        .address_space:  global
        .offset:         64
        .size:           8
        .value_kind:     global_buffer
      - .actual_access:  read_only
        .address_space:  global
        .offset:         72
        .size:           8
        .value_kind:     global_buffer
      - .offset:         80
        .size:           8
        .value_kind:     by_value
      - .actual_access:  read_only
        .address_space:  global
        .offset:         88
        .size:           8
        .value_kind:     global_buffer
      - .offset:         96
        .size:           8
        .value_kind:     by_value
      - .offset:         104
        .size:           8
        .value_kind:     by_value
      - .offset:         112
        .size:           16
        .value_kind:     by_value
      - .address_space:  global
        .offset:         128
        .size:           8
        .value_kind:     global_buffer
      - .offset:         136
        .size:           8
        .value_kind:     by_value
      - .offset:         144
        .size:           8
        .value_kind:     by_value
      - .offset:         152
        .size:           4
        .value_kind:     by_value
      - .offset:         156
        .size:           4
        .value_kind:     by_value
      - .offset:         160
        .size:           1
        .value_kind:     by_value
    .group_segment_fixed_size: 3328
    .kernarg_segment_align: 8
    .kernarg_segment_size: 164
    .language:       OpenCL C
    .language_version:
      - 2
      - 0
    .max_flat_workgroup_size: 64
    .name:           _ZN9rocsparseL31bsrmm_large_blockdim_kernel_extILj4ELj16ELj2Ell21rocsparse_complex_numIdES2_S2_S2_EEvb20rocsparse_direction_T3_S4_llNS_24const_host_device_scalarIT7_EEPKT2_PKS4_PKT4_S4_PKT5_llS7_PT6_ll16rocsparse_order_21rocsparse_index_base_b
    .private_segment_fixed_size: 0
    .sgpr_count:     46
    .sgpr_spill_count: 0
    .symbol:         _ZN9rocsparseL31bsrmm_large_blockdim_kernel_extILj4ELj16ELj2Ell21rocsparse_complex_numIdES2_S2_S2_EEvb20rocsparse_direction_T3_S4_llNS_24const_host_device_scalarIT7_EEPKT2_PKS4_PKT4_S4_PKT5_llS7_PT6_ll16rocsparse_order_21rocsparse_index_base_b.kd
    .uniform_work_group_size: 1
    .uses_dynamic_stack: false
    .vgpr_count:     58
    .vgpr_spill_count: 0
    .wavefront_size: 32
    .workgroup_processor_mode: 1
  - .args:
      - .offset:         0
        .size:           1
        .value_kind:     by_value
      - .offset:         4
        .size:           4
        .value_kind:     by_value
      - .offset:         8
        .size:           8
        .value_kind:     by_value
      - .offset:         16
        .size:           8
        .value_kind:     by_value
      - .offset:         24
        .size:           8
        .value_kind:     by_value
      - .offset:         32
        .size:           8
        .value_kind:     by_value
      - .offset:         40
        .size:           16
        .value_kind:     by_value
      - .actual_access:  read_only
        .address_space:  global
        .offset:         56
        .size:           8
        .value_kind:     global_buffer
      - .actual_access:  read_only
        .address_space:  global
        .offset:         64
        .size:           8
        .value_kind:     global_buffer
      - .actual_access:  read_only
        .address_space:  global
        .offset:         72
        .size:           8
        .value_kind:     global_buffer
      - .offset:         80
        .size:           8
        .value_kind:     by_value
      - .actual_access:  read_only
        .address_space:  global
        .offset:         88
        .size:           8
        .value_kind:     global_buffer
      - .offset:         96
        .size:           8
        .value_kind:     by_value
      - .offset:         104
        .size:           8
        .value_kind:     by_value
      - .offset:         112
        .size:           16
        .value_kind:     by_value
      - .address_space:  global
        .offset:         128
        .size:           8
        .value_kind:     global_buffer
      - .offset:         136
        .size:           8
        .value_kind:     by_value
      - .offset:         144
        .size:           8
        .value_kind:     by_value
      - .offset:         152
        .size:           4
        .value_kind:     by_value
      - .offset:         156
        .size:           4
        .value_kind:     by_value
      - .offset:         160
        .size:           1
        .value_kind:     by_value
    .group_segment_fixed_size: 16384
    .kernarg_segment_align: 8
    .kernarg_segment_size: 164
    .language:       OpenCL C
    .language_version:
      - 2
      - 0
    .max_flat_workgroup_size: 256
    .name:           _ZN9rocsparseL31bsrmm_large_blockdim_kernel_extILj16ELj16ELj2Ell21rocsparse_complex_numIdES2_S2_S2_EEvb20rocsparse_direction_T3_S4_llNS_24const_host_device_scalarIT7_EEPKT2_PKS4_PKT4_S4_PKT5_llS7_PT6_ll16rocsparse_order_21rocsparse_index_base_b
    .private_segment_fixed_size: 0
    .sgpr_count:     46
    .sgpr_spill_count: 0
    .symbol:         _ZN9rocsparseL31bsrmm_large_blockdim_kernel_extILj16ELj16ELj2Ell21rocsparse_complex_numIdES2_S2_S2_EEvb20rocsparse_direction_T3_S4_llNS_24const_host_device_scalarIT7_EEPKT2_PKS4_PKT4_S4_PKT5_llS7_PT6_ll16rocsparse_order_21rocsparse_index_base_b.kd
    .uniform_work_group_size: 1
    .uses_dynamic_stack: false
    .vgpr_count:     58
    .vgpr_spill_count: 0
    .wavefront_size: 32
    .workgroup_processor_mode: 1
  - .args:
      - .offset:         0
        .size:           1
        .value_kind:     by_value
      - .offset:         4
        .size:           4
        .value_kind:     by_value
      - .offset:         8
        .size:           8
        .value_kind:     by_value
      - .offset:         16
        .size:           8
        .value_kind:     by_value
      - .offset:         24
        .size:           8
        .value_kind:     by_value
      - .offset:         32
        .size:           8
        .value_kind:     by_value
      - .offset:         40
        .size:           16
        .value_kind:     by_value
      - .actual_access:  read_only
        .address_space:  global
        .offset:         56
        .size:           8
        .value_kind:     global_buffer
      - .actual_access:  read_only
        .address_space:  global
        .offset:         64
        .size:           8
        .value_kind:     global_buffer
      - .actual_access:  read_only
        .address_space:  global
        .offset:         72
        .size:           8
        .value_kind:     global_buffer
      - .offset:         80
        .size:           8
        .value_kind:     by_value
      - .actual_access:  read_only
        .address_space:  global
        .offset:         88
        .size:           8
        .value_kind:     global_buffer
      - .offset:         96
        .size:           8
        .value_kind:     by_value
      - .offset:         104
        .size:           8
        .value_kind:     by_value
      - .offset:         112
        .size:           16
        .value_kind:     by_value
      - .address_space:  global
        .offset:         128
        .size:           8
        .value_kind:     global_buffer
      - .offset:         136
        .size:           8
        .value_kind:     by_value
      - .offset:         144
        .size:           8
        .value_kind:     by_value
      - .offset:         152
        .size:           4
        .value_kind:     by_value
      - .offset:         156
        .size:           4
        .value_kind:     by_value
      - .offset:         160
        .size:           1
        .value_kind:     by_value
    .group_segment_fixed_size: 65536
    .kernarg_segment_align: 8
    .kernarg_segment_size: 164
    .language:       OpenCL C
    .language_version:
      - 2
      - 0
    .max_flat_workgroup_size: 1024
    .name:           _ZN9rocsparseL31bsrmm_large_blockdim_kernel_extILj32ELj32ELj2Ell21rocsparse_complex_numIdES2_S2_S2_EEvb20rocsparse_direction_T3_S4_llNS_24const_host_device_scalarIT7_EEPKT2_PKS4_PKT4_S4_PKT5_llS7_PT6_ll16rocsparse_order_21rocsparse_index_base_b
    .private_segment_fixed_size: 0
    .sgpr_count:     46
    .sgpr_spill_count: 0
    .symbol:         _ZN9rocsparseL31bsrmm_large_blockdim_kernel_extILj32ELj32ELj2Ell21rocsparse_complex_numIdES2_S2_S2_EEvb20rocsparse_direction_T3_S4_llNS_24const_host_device_scalarIT7_EEPKT2_PKS4_PKT4_S4_PKT5_llS7_PT6_ll16rocsparse_order_21rocsparse_index_base_b.kd
    .uniform_work_group_size: 1
    .uses_dynamic_stack: false
    .vgpr_count:     58
    .vgpr_spill_count: 0
    .wavefront_size: 32
    .workgroup_processor_mode: 1
  - .args:
      - .offset:         0
        .size:           1
        .value_kind:     by_value
      - .offset:         4
        .size:           4
        .value_kind:     by_value
      - .offset:         8
        .size:           4
        .value_kind:     by_value
      - .offset:         12
        .size:           4
        .value_kind:     by_value
      - .offset:         16
        .size:           8
        .value_kind:     by_value
      - .offset:         24
        .size:           8
        .value_kind:     by_value
      - .offset:         32
        .size:           8
        .value_kind:     by_value
      - .actual_access:  read_only
        .address_space:  global
        .offset:         40
        .size:           8
        .value_kind:     global_buffer
      - .actual_access:  read_only
        .address_space:  global
        .offset:         48
        .size:           8
        .value_kind:     global_buffer
      - .actual_access:  read_only
        .address_space:  global
        .offset:         56
        .size:           8
        .value_kind:     global_buffer
      - .offset:         64
        .size:           4
        .value_kind:     by_value
      - .actual_access:  read_only
        .address_space:  global
        .offset:         72
        .size:           8
        .value_kind:     global_buffer
      - .offset:         80
        .size:           8
        .value_kind:     by_value
      - .offset:         88
        .size:           8
        .value_kind:     by_value
      - .offset:         96
        .size:           8
        .value_kind:     by_value
      - .address_space:  global
        .offset:         104
        .size:           8
        .value_kind:     global_buffer
      - .offset:         112
        .size:           8
        .value_kind:     by_value
      - .offset:         120
        .size:           8
        .value_kind:     by_value
      - .offset:         128
        .size:           4
        .value_kind:     by_value
      - .offset:         132
        .size:           4
        .value_kind:     by_value
      - .offset:         136
        .size:           1
        .value_kind:     by_value
    .group_segment_fixed_size: 768
    .kernarg_segment_align: 8
    .kernarg_segment_size: 140
    .language:       OpenCL C
    .language_version:
      - 2
      - 0
    .max_flat_workgroup_size: 64
    .name:           _ZN9rocsparseL31bsrmm_large_blockdim_kernel_extILj8ELj8ELj2EiiDF16_DF16_ffEEvb20rocsparse_direction_T3_S2_llNS_24const_host_device_scalarIT7_EEPKT2_PKS2_PKT4_S2_PKT5_llS5_PT6_ll16rocsparse_order_21rocsparse_index_base_b
    .private_segment_fixed_size: 0
    .sgpr_count:     40
    .sgpr_spill_count: 0
    .symbol:         _ZN9rocsparseL31bsrmm_large_blockdim_kernel_extILj8ELj8ELj2EiiDF16_DF16_ffEEvb20rocsparse_direction_T3_S2_llNS_24const_host_device_scalarIT7_EEPKT2_PKS2_PKT4_S2_PKT5_llS5_PT6_ll16rocsparse_order_21rocsparse_index_base_b.kd
    .uniform_work_group_size: 1
    .uses_dynamic_stack: false
    .vgpr_count:     37
    .vgpr_spill_count: 0
    .wavefront_size: 32
    .workgroup_processor_mode: 1
  - .args:
      - .offset:         0
        .size:           1
        .value_kind:     by_value
      - .offset:         4
        .size:           4
        .value_kind:     by_value
      - .offset:         8
        .size:           4
        .value_kind:     by_value
      - .offset:         12
        .size:           4
        .value_kind:     by_value
      - .offset:         16
        .size:           8
        .value_kind:     by_value
      - .offset:         24
        .size:           8
        .value_kind:     by_value
      - .offset:         32
        .size:           8
        .value_kind:     by_value
      - .actual_access:  read_only
        .address_space:  global
        .offset:         40
        .size:           8
        .value_kind:     global_buffer
      - .actual_access:  read_only
        .address_space:  global
        .offset:         48
        .size:           8
        .value_kind:     global_buffer
      - .actual_access:  read_only
        .address_space:  global
        .offset:         56
        .size:           8
        .value_kind:     global_buffer
      - .offset:         64
        .size:           4
        .value_kind:     by_value
      - .actual_access:  read_only
        .address_space:  global
        .offset:         72
        .size:           8
        .value_kind:     global_buffer
      - .offset:         80
        .size:           8
        .value_kind:     by_value
      - .offset:         88
        .size:           8
        .value_kind:     by_value
      - .offset:         96
        .size:           8
        .value_kind:     by_value
      - .address_space:  global
        .offset:         104
        .size:           8
        .value_kind:     global_buffer
      - .offset:         112
        .size:           8
        .value_kind:     by_value
      - .offset:         120
        .size:           8
        .value_kind:     by_value
      - .offset:         128
        .size:           4
        .value_kind:     by_value
      - .offset:         132
        .size:           4
        .value_kind:     by_value
      - .offset:         136
        .size:           1
        .value_kind:     by_value
    .group_segment_fixed_size: 576
    .kernarg_segment_align: 8
    .kernarg_segment_size: 140
    .language:       OpenCL C
    .language_version:
      - 2
      - 0
    .max_flat_workgroup_size: 64
    .name:           _ZN9rocsparseL31bsrmm_large_blockdim_kernel_extILj4ELj16ELj2EiiDF16_DF16_ffEEvb20rocsparse_direction_T3_S2_llNS_24const_host_device_scalarIT7_EEPKT2_PKS2_PKT4_S2_PKT5_llS5_PT6_ll16rocsparse_order_21rocsparse_index_base_b
    .private_segment_fixed_size: 0
    .sgpr_count:     40
    .sgpr_spill_count: 0
    .symbol:         _ZN9rocsparseL31bsrmm_large_blockdim_kernel_extILj4ELj16ELj2EiiDF16_DF16_ffEEvb20rocsparse_direction_T3_S2_llNS_24const_host_device_scalarIT7_EEPKT2_PKS2_PKT4_S2_PKT5_llS5_PT6_ll16rocsparse_order_21rocsparse_index_base_b.kd
    .uniform_work_group_size: 1
    .uses_dynamic_stack: false
    .vgpr_count:     37
    .vgpr_spill_count: 0
    .wavefront_size: 32
    .workgroup_processor_mode: 1
  - .args:
      - .offset:         0
        .size:           1
        .value_kind:     by_value
      - .offset:         4
        .size:           4
        .value_kind:     by_value
      - .offset:         8
        .size:           4
        .value_kind:     by_value
      - .offset:         12
        .size:           4
        .value_kind:     by_value
      - .offset:         16
        .size:           8
        .value_kind:     by_value
      - .offset:         24
        .size:           8
        .value_kind:     by_value
      - .offset:         32
        .size:           8
        .value_kind:     by_value
      - .actual_access:  read_only
        .address_space:  global
        .offset:         40
        .size:           8
        .value_kind:     global_buffer
      - .actual_access:  read_only
        .address_space:  global
        .offset:         48
        .size:           8
        .value_kind:     global_buffer
      - .actual_access:  read_only
        .address_space:  global
        .offset:         56
        .size:           8
        .value_kind:     global_buffer
      - .offset:         64
        .size:           4
        .value_kind:     by_value
      - .actual_access:  read_only
        .address_space:  global
        .offset:         72
        .size:           8
        .value_kind:     global_buffer
      - .offset:         80
        .size:           8
        .value_kind:     by_value
      - .offset:         88
        .size:           8
        .value_kind:     by_value
      - .offset:         96
        .size:           8
        .value_kind:     by_value
      - .address_space:  global
        .offset:         104
        .size:           8
        .value_kind:     global_buffer
      - .offset:         112
        .size:           8
        .value_kind:     by_value
      - .offset:         120
        .size:           8
        .value_kind:     by_value
      - .offset:         128
        .size:           4
        .value_kind:     by_value
      - .offset:         132
        .size:           4
        .value_kind:     by_value
      - .offset:         136
        .size:           1
        .value_kind:     by_value
    .group_segment_fixed_size: 3072
    .kernarg_segment_align: 8
    .kernarg_segment_size: 140
    .language:       OpenCL C
    .language_version:
      - 2
      - 0
    .max_flat_workgroup_size: 256
    .name:           _ZN9rocsparseL31bsrmm_large_blockdim_kernel_extILj16ELj16ELj2EiiDF16_DF16_ffEEvb20rocsparse_direction_T3_S2_llNS_24const_host_device_scalarIT7_EEPKT2_PKS2_PKT4_S2_PKT5_llS5_PT6_ll16rocsparse_order_21rocsparse_index_base_b
    .private_segment_fixed_size: 0
    .sgpr_count:     40
    .sgpr_spill_count: 0
    .symbol:         _ZN9rocsparseL31bsrmm_large_blockdim_kernel_extILj16ELj16ELj2EiiDF16_DF16_ffEEvb20rocsparse_direction_T3_S2_llNS_24const_host_device_scalarIT7_EEPKT2_PKS2_PKT4_S2_PKT5_llS5_PT6_ll16rocsparse_order_21rocsparse_index_base_b.kd
    .uniform_work_group_size: 1
    .uses_dynamic_stack: false
    .vgpr_count:     37
    .vgpr_spill_count: 0
    .wavefront_size: 32
    .workgroup_processor_mode: 1
  - .args:
      - .offset:         0
        .size:           1
        .value_kind:     by_value
      - .offset:         4
        .size:           4
        .value_kind:     by_value
      - .offset:         8
        .size:           4
        .value_kind:     by_value
      - .offset:         12
        .size:           4
        .value_kind:     by_value
      - .offset:         16
        .size:           8
        .value_kind:     by_value
      - .offset:         24
        .size:           8
        .value_kind:     by_value
      - .offset:         32
        .size:           8
        .value_kind:     by_value
      - .actual_access:  read_only
        .address_space:  global
        .offset:         40
        .size:           8
        .value_kind:     global_buffer
      - .actual_access:  read_only
        .address_space:  global
        .offset:         48
        .size:           8
        .value_kind:     global_buffer
      - .actual_access:  read_only
        .address_space:  global
        .offset:         56
        .size:           8
        .value_kind:     global_buffer
      - .offset:         64
        .size:           4
        .value_kind:     by_value
      - .actual_access:  read_only
        .address_space:  global
        .offset:         72
        .size:           8
        .value_kind:     global_buffer
      - .offset:         80
        .size:           8
        .value_kind:     by_value
      - .offset:         88
        .size:           8
        .value_kind:     by_value
      - .offset:         96
        .size:           8
        .value_kind:     by_value
      - .address_space:  global
        .offset:         104
        .size:           8
        .value_kind:     global_buffer
      - .offset:         112
        .size:           8
        .value_kind:     by_value
      - .offset:         120
        .size:           8
        .value_kind:     by_value
      - .offset:         128
        .size:           4
        .value_kind:     by_value
      - .offset:         132
        .size:           4
        .value_kind:     by_value
      - .offset:         136
        .size:           1
        .value_kind:     by_value
    .group_segment_fixed_size: 12288
    .kernarg_segment_align: 8
    .kernarg_segment_size: 140
    .language:       OpenCL C
    .language_version:
      - 2
      - 0
    .max_flat_workgroup_size: 1024
    .name:           _ZN9rocsparseL31bsrmm_large_blockdim_kernel_extILj32ELj32ELj2EiiDF16_DF16_ffEEvb20rocsparse_direction_T3_S2_llNS_24const_host_device_scalarIT7_EEPKT2_PKS2_PKT4_S2_PKT5_llS5_PT6_ll16rocsparse_order_21rocsparse_index_base_b
    .private_segment_fixed_size: 0
    .sgpr_count:     40
    .sgpr_spill_count: 0
    .symbol:         _ZN9rocsparseL31bsrmm_large_blockdim_kernel_extILj32ELj32ELj2EiiDF16_DF16_ffEEvb20rocsparse_direction_T3_S2_llNS_24const_host_device_scalarIT7_EEPKT2_PKS2_PKT4_S2_PKT5_llS5_PT6_ll16rocsparse_order_21rocsparse_index_base_b.kd
    .uniform_work_group_size: 1
    .uses_dynamic_stack: false
    .vgpr_count:     37
    .vgpr_spill_count: 0
    .wavefront_size: 32
    .workgroup_processor_mode: 1
  - .args:
      - .offset:         0
        .size:           1
        .value_kind:     by_value
      - .offset:         4
        .size:           4
        .value_kind:     by_value
      - .offset:         8
        .size:           4
        .value_kind:     by_value
      - .offset:         12
        .size:           4
        .value_kind:     by_value
      - .offset:         16
        .size:           8
        .value_kind:     by_value
      - .offset:         24
        .size:           8
        .value_kind:     by_value
      - .offset:         32
        .size:           8
        .value_kind:     by_value
      - .actual_access:  read_only
        .address_space:  global
        .offset:         40
        .size:           8
        .value_kind:     global_buffer
      - .actual_access:  read_only
        .address_space:  global
        .offset:         48
        .size:           8
        .value_kind:     global_buffer
      - .actual_access:  read_only
        .address_space:  global
        .offset:         56
        .size:           8
        .value_kind:     global_buffer
      - .offset:         64
        .size:           4
        .value_kind:     by_value
      - .actual_access:  read_only
        .address_space:  global
        .offset:         72
        .size:           8
        .value_kind:     global_buffer
      - .offset:         80
        .size:           8
        .value_kind:     by_value
      - .offset:         88
        .size:           8
        .value_kind:     by_value
      - .offset:         96
        .size:           8
        .value_kind:     by_value
      - .address_space:  global
        .offset:         104
        .size:           8
        .value_kind:     global_buffer
      - .offset:         112
        .size:           8
        .value_kind:     by_value
      - .offset:         120
        .size:           8
        .value_kind:     by_value
      - .offset:         128
        .size:           4
        .value_kind:     by_value
      - .offset:         132
        .size:           4
        .value_kind:     by_value
      - .offset:         136
        .size:           1
        .value_kind:     by_value
    .group_segment_fixed_size: 768
    .kernarg_segment_align: 8
    .kernarg_segment_size: 140
    .language:       OpenCL C
    .language_version:
      - 2
      - 0
    .max_flat_workgroup_size: 64
    .name:           _ZN9rocsparseL31bsrmm_large_blockdim_kernel_extILj8ELj8ELj2EliDF16_DF16_ffEEvb20rocsparse_direction_T3_S2_llNS_24const_host_device_scalarIT7_EEPKT2_PKS2_PKT4_S2_PKT5_llS5_PT6_ll16rocsparse_order_21rocsparse_index_base_b
    .private_segment_fixed_size: 0
    .sgpr_count:     39
    .sgpr_spill_count: 0
    .symbol:         _ZN9rocsparseL31bsrmm_large_blockdim_kernel_extILj8ELj8ELj2EliDF16_DF16_ffEEvb20rocsparse_direction_T3_S2_llNS_24const_host_device_scalarIT7_EEPKT2_PKS2_PKT4_S2_PKT5_llS5_PT6_ll16rocsparse_order_21rocsparse_index_base_b.kd
    .uniform_work_group_size: 1
    .uses_dynamic_stack: false
    .vgpr_count:     38
    .vgpr_spill_count: 0
    .wavefront_size: 32
    .workgroup_processor_mode: 1
  - .args:
      - .offset:         0
        .size:           1
        .value_kind:     by_value
      - .offset:         4
        .size:           4
        .value_kind:     by_value
      - .offset:         8
        .size:           4
        .value_kind:     by_value
      - .offset:         12
        .size:           4
        .value_kind:     by_value
      - .offset:         16
        .size:           8
        .value_kind:     by_value
      - .offset:         24
        .size:           8
        .value_kind:     by_value
      - .offset:         32
        .size:           8
        .value_kind:     by_value
      - .actual_access:  read_only
        .address_space:  global
        .offset:         40
        .size:           8
        .value_kind:     global_buffer
      - .actual_access:  read_only
        .address_space:  global
        .offset:         48
        .size:           8
        .value_kind:     global_buffer
      - .actual_access:  read_only
        .address_space:  global
        .offset:         56
        .size:           8
        .value_kind:     global_buffer
      - .offset:         64
        .size:           4
        .value_kind:     by_value
      - .actual_access:  read_only
        .address_space:  global
        .offset:         72
        .size:           8
        .value_kind:     global_buffer
      - .offset:         80
        .size:           8
        .value_kind:     by_value
      - .offset:         88
        .size:           8
        .value_kind:     by_value
      - .offset:         96
        .size:           8
        .value_kind:     by_value
      - .address_space:  global
        .offset:         104
        .size:           8
        .value_kind:     global_buffer
      - .offset:         112
        .size:           8
        .value_kind:     by_value
      - .offset:         120
        .size:           8
        .value_kind:     by_value
      - .offset:         128
        .size:           4
        .value_kind:     by_value
      - .offset:         132
        .size:           4
        .value_kind:     by_value
      - .offset:         136
        .size:           1
        .value_kind:     by_value
    .group_segment_fixed_size: 576
    .kernarg_segment_align: 8
    .kernarg_segment_size: 140
    .language:       OpenCL C
    .language_version:
      - 2
      - 0
    .max_flat_workgroup_size: 64
    .name:           _ZN9rocsparseL31bsrmm_large_blockdim_kernel_extILj4ELj16ELj2EliDF16_DF16_ffEEvb20rocsparse_direction_T3_S2_llNS_24const_host_device_scalarIT7_EEPKT2_PKS2_PKT4_S2_PKT5_llS5_PT6_ll16rocsparse_order_21rocsparse_index_base_b
    .private_segment_fixed_size: 0
    .sgpr_count:     39
    .sgpr_spill_count: 0
    .symbol:         _ZN9rocsparseL31bsrmm_large_blockdim_kernel_extILj4ELj16ELj2EliDF16_DF16_ffEEvb20rocsparse_direction_T3_S2_llNS_24const_host_device_scalarIT7_EEPKT2_PKS2_PKT4_S2_PKT5_llS5_PT6_ll16rocsparse_order_21rocsparse_index_base_b.kd
    .uniform_work_group_size: 1
    .uses_dynamic_stack: false
    .vgpr_count:     38
    .vgpr_spill_count: 0
    .wavefront_size: 32
    .workgroup_processor_mode: 1
  - .args:
      - .offset:         0
        .size:           1
        .value_kind:     by_value
      - .offset:         4
        .size:           4
        .value_kind:     by_value
      - .offset:         8
        .size:           4
        .value_kind:     by_value
      - .offset:         12
        .size:           4
        .value_kind:     by_value
      - .offset:         16
        .size:           8
        .value_kind:     by_value
      - .offset:         24
        .size:           8
        .value_kind:     by_value
      - .offset:         32
        .size:           8
        .value_kind:     by_value
      - .actual_access:  read_only
        .address_space:  global
        .offset:         40
        .size:           8
        .value_kind:     global_buffer
      - .actual_access:  read_only
        .address_space:  global
        .offset:         48
        .size:           8
        .value_kind:     global_buffer
      - .actual_access:  read_only
        .address_space:  global
        .offset:         56
        .size:           8
        .value_kind:     global_buffer
      - .offset:         64
        .size:           4
        .value_kind:     by_value
      - .actual_access:  read_only
        .address_space:  global
        .offset:         72
        .size:           8
        .value_kind:     global_buffer
      - .offset:         80
        .size:           8
        .value_kind:     by_value
      - .offset:         88
        .size:           8
        .value_kind:     by_value
      - .offset:         96
        .size:           8
        .value_kind:     by_value
      - .address_space:  global
        .offset:         104
        .size:           8
        .value_kind:     global_buffer
      - .offset:         112
        .size:           8
        .value_kind:     by_value
      - .offset:         120
        .size:           8
        .value_kind:     by_value
      - .offset:         128
        .size:           4
        .value_kind:     by_value
      - .offset:         132
        .size:           4
        .value_kind:     by_value
      - .offset:         136
        .size:           1
        .value_kind:     by_value
    .group_segment_fixed_size: 3072
    .kernarg_segment_align: 8
    .kernarg_segment_size: 140
    .language:       OpenCL C
    .language_version:
      - 2
      - 0
    .max_flat_workgroup_size: 256
    .name:           _ZN9rocsparseL31bsrmm_large_blockdim_kernel_extILj16ELj16ELj2EliDF16_DF16_ffEEvb20rocsparse_direction_T3_S2_llNS_24const_host_device_scalarIT7_EEPKT2_PKS2_PKT4_S2_PKT5_llS5_PT6_ll16rocsparse_order_21rocsparse_index_base_b
    .private_segment_fixed_size: 0
    .sgpr_count:     39
    .sgpr_spill_count: 0
    .symbol:         _ZN9rocsparseL31bsrmm_large_blockdim_kernel_extILj16ELj16ELj2EliDF16_DF16_ffEEvb20rocsparse_direction_T3_S2_llNS_24const_host_device_scalarIT7_EEPKT2_PKS2_PKT4_S2_PKT5_llS5_PT6_ll16rocsparse_order_21rocsparse_index_base_b.kd
    .uniform_work_group_size: 1
    .uses_dynamic_stack: false
    .vgpr_count:     38
    .vgpr_spill_count: 0
    .wavefront_size: 32
    .workgroup_processor_mode: 1
  - .args:
      - .offset:         0
        .size:           1
        .value_kind:     by_value
      - .offset:         4
        .size:           4
        .value_kind:     by_value
      - .offset:         8
        .size:           4
        .value_kind:     by_value
      - .offset:         12
        .size:           4
        .value_kind:     by_value
      - .offset:         16
        .size:           8
        .value_kind:     by_value
      - .offset:         24
        .size:           8
        .value_kind:     by_value
      - .offset:         32
        .size:           8
        .value_kind:     by_value
      - .actual_access:  read_only
        .address_space:  global
        .offset:         40
        .size:           8
        .value_kind:     global_buffer
      - .actual_access:  read_only
        .address_space:  global
        .offset:         48
        .size:           8
        .value_kind:     global_buffer
      - .actual_access:  read_only
        .address_space:  global
        .offset:         56
        .size:           8
        .value_kind:     global_buffer
      - .offset:         64
        .size:           4
        .value_kind:     by_value
      - .actual_access:  read_only
        .address_space:  global
        .offset:         72
        .size:           8
        .value_kind:     global_buffer
      - .offset:         80
        .size:           8
        .value_kind:     by_value
      - .offset:         88
        .size:           8
        .value_kind:     by_value
      - .offset:         96
        .size:           8
        .value_kind:     by_value
      - .address_space:  global
        .offset:         104
        .size:           8
        .value_kind:     global_buffer
      - .offset:         112
        .size:           8
        .value_kind:     by_value
      - .offset:         120
        .size:           8
        .value_kind:     by_value
      - .offset:         128
        .size:           4
        .value_kind:     by_value
      - .offset:         132
        .size:           4
        .value_kind:     by_value
      - .offset:         136
        .size:           1
        .value_kind:     by_value
    .group_segment_fixed_size: 12288
    .kernarg_segment_align: 8
    .kernarg_segment_size: 140
    .language:       OpenCL C
    .language_version:
      - 2
      - 0
    .max_flat_workgroup_size: 1024
    .name:           _ZN9rocsparseL31bsrmm_large_blockdim_kernel_extILj32ELj32ELj2EliDF16_DF16_ffEEvb20rocsparse_direction_T3_S2_llNS_24const_host_device_scalarIT7_EEPKT2_PKS2_PKT4_S2_PKT5_llS5_PT6_ll16rocsparse_order_21rocsparse_index_base_b
    .private_segment_fixed_size: 0
    .sgpr_count:     39
    .sgpr_spill_count: 0
    .symbol:         _ZN9rocsparseL31bsrmm_large_blockdim_kernel_extILj32ELj32ELj2EliDF16_DF16_ffEEvb20rocsparse_direction_T3_S2_llNS_24const_host_device_scalarIT7_EEPKT2_PKS2_PKT4_S2_PKT5_llS5_PT6_ll16rocsparse_order_21rocsparse_index_base_b.kd
    .uniform_work_group_size: 1
    .uses_dynamic_stack: false
    .vgpr_count:     38
    .vgpr_spill_count: 0
    .wavefront_size: 32
    .workgroup_processor_mode: 1
  - .args:
      - .offset:         0
        .size:           1
        .value_kind:     by_value
      - .offset:         4
        .size:           4
        .value_kind:     by_value
      - .offset:         8
        .size:           8
        .value_kind:     by_value
      - .offset:         16
        .size:           8
        .value_kind:     by_value
      - .offset:         24
        .size:           8
        .value_kind:     by_value
      - .offset:         32
        .size:           8
        .value_kind:     by_value
      - .offset:         40
        .size:           8
        .value_kind:     by_value
      - .actual_access:  read_only
        .address_space:  global
        .offset:         48
        .size:           8
        .value_kind:     global_buffer
      - .actual_access:  read_only
        .address_space:  global
        .offset:         56
        .size:           8
        .value_kind:     global_buffer
      - .actual_access:  read_only
        .address_space:  global
        .offset:         64
        .size:           8
        .value_kind:     global_buffer
      - .offset:         72
        .size:           8
        .value_kind:     by_value
      - .actual_access:  read_only
        .address_space:  global
        .offset:         80
        .size:           8
        .value_kind:     global_buffer
      - .offset:         88
        .size:           8
        .value_kind:     by_value
      - .offset:         96
        .size:           8
        .value_kind:     by_value
      - .offset:         104
        .size:           8
        .value_kind:     by_value
      - .address_space:  global
        .offset:         112
        .size:           8
        .value_kind:     global_buffer
      - .offset:         120
        .size:           8
        .value_kind:     by_value
      - .offset:         128
        .size:           8
        .value_kind:     by_value
      - .offset:         136
        .size:           4
        .value_kind:     by_value
      - .offset:         140
        .size:           4
        .value_kind:     by_value
      - .offset:         144
        .size:           1
        .value_kind:     by_value
    .group_segment_fixed_size: 768
    .kernarg_segment_align: 8
    .kernarg_segment_size: 148
    .language:       OpenCL C
    .language_version:
      - 2
      - 0
    .max_flat_workgroup_size: 64
    .name:           _ZN9rocsparseL31bsrmm_large_blockdim_kernel_extILj8ELj8ELj2EllDF16_DF16_ffEEvb20rocsparse_direction_T3_S2_llNS_24const_host_device_scalarIT7_EEPKT2_PKS2_PKT4_S2_PKT5_llS5_PT6_ll16rocsparse_order_21rocsparse_index_base_b
    .private_segment_fixed_size: 0
    .sgpr_count:     48
    .sgpr_spill_count: 0
    .symbol:         _ZN9rocsparseL31bsrmm_large_blockdim_kernel_extILj8ELj8ELj2EllDF16_DF16_ffEEvb20rocsparse_direction_T3_S2_llNS_24const_host_device_scalarIT7_EEPKT2_PKS2_PKT4_S2_PKT5_llS5_PT6_ll16rocsparse_order_21rocsparse_index_base_b.kd
    .uniform_work_group_size: 1
    .uses_dynamic_stack: false
    .vgpr_count:     43
    .vgpr_spill_count: 0
    .wavefront_size: 32
    .workgroup_processor_mode: 1
  - .args:
      - .offset:         0
        .size:           1
        .value_kind:     by_value
      - .offset:         4
        .size:           4
        .value_kind:     by_value
      - .offset:         8
        .size:           8
        .value_kind:     by_value
      - .offset:         16
        .size:           8
        .value_kind:     by_value
      - .offset:         24
        .size:           8
        .value_kind:     by_value
      - .offset:         32
        .size:           8
        .value_kind:     by_value
      - .offset:         40
        .size:           8
        .value_kind:     by_value
      - .actual_access:  read_only
        .address_space:  global
        .offset:         48
        .size:           8
        .value_kind:     global_buffer
      - .actual_access:  read_only
        .address_space:  global
        .offset:         56
        .size:           8
        .value_kind:     global_buffer
      - .actual_access:  read_only
        .address_space:  global
        .offset:         64
        .size:           8
        .value_kind:     global_buffer
      - .offset:         72
        .size:           8
        .value_kind:     by_value
      - .actual_access:  read_only
        .address_space:  global
        .offset:         80
        .size:           8
        .value_kind:     global_buffer
      - .offset:         88
        .size:           8
        .value_kind:     by_value
      - .offset:         96
        .size:           8
        .value_kind:     by_value
      - .offset:         104
        .size:           8
        .value_kind:     by_value
      - .address_space:  global
        .offset:         112
        .size:           8
        .value_kind:     global_buffer
      - .offset:         120
        .size:           8
        .value_kind:     by_value
      - .offset:         128
        .size:           8
        .value_kind:     by_value
      - .offset:         136
        .size:           4
        .value_kind:     by_value
      - .offset:         140
        .size:           4
        .value_kind:     by_value
      - .offset:         144
        .size:           1
        .value_kind:     by_value
    .group_segment_fixed_size: 576
    .kernarg_segment_align: 8
    .kernarg_segment_size: 148
    .language:       OpenCL C
    .language_version:
      - 2
      - 0
    .max_flat_workgroup_size: 64
    .name:           _ZN9rocsparseL31bsrmm_large_blockdim_kernel_extILj4ELj16ELj2EllDF16_DF16_ffEEvb20rocsparse_direction_T3_S2_llNS_24const_host_device_scalarIT7_EEPKT2_PKS2_PKT4_S2_PKT5_llS5_PT6_ll16rocsparse_order_21rocsparse_index_base_b
    .private_segment_fixed_size: 0
    .sgpr_count:     48
    .sgpr_spill_count: 0
    .symbol:         _ZN9rocsparseL31bsrmm_large_blockdim_kernel_extILj4ELj16ELj2EllDF16_DF16_ffEEvb20rocsparse_direction_T3_S2_llNS_24const_host_device_scalarIT7_EEPKT2_PKS2_PKT4_S2_PKT5_llS5_PT6_ll16rocsparse_order_21rocsparse_index_base_b.kd
    .uniform_work_group_size: 1
    .uses_dynamic_stack: false
    .vgpr_count:     43
    .vgpr_spill_count: 0
    .wavefront_size: 32
    .workgroup_processor_mode: 1
  - .args:
      - .offset:         0
        .size:           1
        .value_kind:     by_value
      - .offset:         4
        .size:           4
        .value_kind:     by_value
      - .offset:         8
        .size:           8
        .value_kind:     by_value
      - .offset:         16
        .size:           8
        .value_kind:     by_value
      - .offset:         24
        .size:           8
        .value_kind:     by_value
      - .offset:         32
        .size:           8
        .value_kind:     by_value
      - .offset:         40
        .size:           8
        .value_kind:     by_value
      - .actual_access:  read_only
        .address_space:  global
        .offset:         48
        .size:           8
        .value_kind:     global_buffer
      - .actual_access:  read_only
        .address_space:  global
        .offset:         56
        .size:           8
        .value_kind:     global_buffer
      - .actual_access:  read_only
        .address_space:  global
        .offset:         64
        .size:           8
        .value_kind:     global_buffer
      - .offset:         72
        .size:           8
        .value_kind:     by_value
      - .actual_access:  read_only
        .address_space:  global
        .offset:         80
        .size:           8
        .value_kind:     global_buffer
      - .offset:         88
        .size:           8
        .value_kind:     by_value
      - .offset:         96
        .size:           8
        .value_kind:     by_value
      - .offset:         104
        .size:           8
        .value_kind:     by_value
      - .address_space:  global
        .offset:         112
        .size:           8
        .value_kind:     global_buffer
      - .offset:         120
        .size:           8
        .value_kind:     by_value
      - .offset:         128
        .size:           8
        .value_kind:     by_value
      - .offset:         136
        .size:           4
        .value_kind:     by_value
      - .offset:         140
        .size:           4
        .value_kind:     by_value
      - .offset:         144
        .size:           1
        .value_kind:     by_value
    .group_segment_fixed_size: 3072
    .kernarg_segment_align: 8
    .kernarg_segment_size: 148
    .language:       OpenCL C
    .language_version:
      - 2
      - 0
    .max_flat_workgroup_size: 256
    .name:           _ZN9rocsparseL31bsrmm_large_blockdim_kernel_extILj16ELj16ELj2EllDF16_DF16_ffEEvb20rocsparse_direction_T3_S2_llNS_24const_host_device_scalarIT7_EEPKT2_PKS2_PKT4_S2_PKT5_llS5_PT6_ll16rocsparse_order_21rocsparse_index_base_b
    .private_segment_fixed_size: 0
    .sgpr_count:     48
    .sgpr_spill_count: 0
    .symbol:         _ZN9rocsparseL31bsrmm_large_blockdim_kernel_extILj16ELj16ELj2EllDF16_DF16_ffEEvb20rocsparse_direction_T3_S2_llNS_24const_host_device_scalarIT7_EEPKT2_PKS2_PKT4_S2_PKT5_llS5_PT6_ll16rocsparse_order_21rocsparse_index_base_b.kd
    .uniform_work_group_size: 1
    .uses_dynamic_stack: false
    .vgpr_count:     43
    .vgpr_spill_count: 0
    .wavefront_size: 32
    .workgroup_processor_mode: 1
  - .args:
      - .offset:         0
        .size:           1
        .value_kind:     by_value
      - .offset:         4
        .size:           4
        .value_kind:     by_value
      - .offset:         8
        .size:           8
        .value_kind:     by_value
      - .offset:         16
        .size:           8
        .value_kind:     by_value
      - .offset:         24
        .size:           8
        .value_kind:     by_value
      - .offset:         32
        .size:           8
        .value_kind:     by_value
      - .offset:         40
        .size:           8
        .value_kind:     by_value
      - .actual_access:  read_only
        .address_space:  global
        .offset:         48
        .size:           8
        .value_kind:     global_buffer
      - .actual_access:  read_only
        .address_space:  global
        .offset:         56
        .size:           8
        .value_kind:     global_buffer
      - .actual_access:  read_only
        .address_space:  global
        .offset:         64
        .size:           8
        .value_kind:     global_buffer
      - .offset:         72
        .size:           8
        .value_kind:     by_value
      - .actual_access:  read_only
        .address_space:  global
        .offset:         80
        .size:           8
        .value_kind:     global_buffer
      - .offset:         88
        .size:           8
        .value_kind:     by_value
      - .offset:         96
        .size:           8
        .value_kind:     by_value
      - .offset:         104
        .size:           8
        .value_kind:     by_value
      - .address_space:  global
        .offset:         112
        .size:           8
        .value_kind:     global_buffer
      - .offset:         120
        .size:           8
        .value_kind:     by_value
      - .offset:         128
        .size:           8
        .value_kind:     by_value
      - .offset:         136
        .size:           4
        .value_kind:     by_value
      - .offset:         140
        .size:           4
        .value_kind:     by_value
      - .offset:         144
        .size:           1
        .value_kind:     by_value
    .group_segment_fixed_size: 12288
    .kernarg_segment_align: 8
    .kernarg_segment_size: 148
    .language:       OpenCL C
    .language_version:
      - 2
      - 0
    .max_flat_workgroup_size: 1024
    .name:           _ZN9rocsparseL31bsrmm_large_blockdim_kernel_extILj32ELj32ELj2EllDF16_DF16_ffEEvb20rocsparse_direction_T3_S2_llNS_24const_host_device_scalarIT7_EEPKT2_PKS2_PKT4_S2_PKT5_llS5_PT6_ll16rocsparse_order_21rocsparse_index_base_b
    .private_segment_fixed_size: 0
    .sgpr_count:     48
    .sgpr_spill_count: 0
    .symbol:         _ZN9rocsparseL31bsrmm_large_blockdim_kernel_extILj32ELj32ELj2EllDF16_DF16_ffEEvb20rocsparse_direction_T3_S2_llNS_24const_host_device_scalarIT7_EEPKT2_PKS2_PKT4_S2_PKT5_llS5_PT6_ll16rocsparse_order_21rocsparse_index_base_b.kd
    .uniform_work_group_size: 1
    .uses_dynamic_stack: false
    .vgpr_count:     43
    .vgpr_spill_count: 0
    .wavefront_size: 32
    .workgroup_processor_mode: 1
  - .args:
      - .offset:         0
        .size:           1
        .value_kind:     by_value
      - .offset:         4
        .size:           4
        .value_kind:     by_value
      - .offset:         8
        .size:           4
        .value_kind:     by_value
      - .offset:         12
        .size:           4
        .value_kind:     by_value
      - .offset:         16
        .size:           8
        .value_kind:     by_value
      - .offset:         24
        .size:           8
        .value_kind:     by_value
      - .offset:         32
        .size:           8
        .value_kind:     by_value
      - .actual_access:  read_only
        .address_space:  global
        .offset:         40
        .size:           8
        .value_kind:     global_buffer
      - .actual_access:  read_only
        .address_space:  global
        .offset:         48
        .size:           8
        .value_kind:     global_buffer
      - .actual_access:  read_only
        .address_space:  global
        .offset:         56
        .size:           8
        .value_kind:     global_buffer
      - .offset:         64
        .size:           4
        .value_kind:     by_value
      - .actual_access:  read_only
        .address_space:  global
        .offset:         72
        .size:           8
        .value_kind:     global_buffer
      - .offset:         80
        .size:           8
        .value_kind:     by_value
      - .offset:         88
        .size:           8
        .value_kind:     by_value
      - .offset:         96
        .size:           8
        .value_kind:     by_value
      - .address_space:  global
        .offset:         104
        .size:           8
        .value_kind:     global_buffer
      - .offset:         112
        .size:           8
        .value_kind:     by_value
      - .offset:         120
        .size:           8
        .value_kind:     by_value
      - .offset:         128
        .size:           4
        .value_kind:     by_value
      - .offset:         132
        .size:           4
        .value_kind:     by_value
      - .offset:         136
        .size:           1
        .value_kind:     by_value
    .group_segment_fixed_size: 768
    .kernarg_segment_align: 8
    .kernarg_segment_size: 140
    .language:       OpenCL C
    .language_version:
      - 2
      - 0
    .max_flat_workgroup_size: 64
    .name:           _ZN9rocsparseL31bsrmm_large_blockdim_kernel_extILj8ELj8ELj2EiiaaiiEEvb20rocsparse_direction_T3_S2_llNS_24const_host_device_scalarIT7_EEPKT2_PKS2_PKT4_S2_PKT5_llS5_PT6_ll16rocsparse_order_21rocsparse_index_base_b
    .private_segment_fixed_size: 0
    .sgpr_count:     40
    .sgpr_spill_count: 0
    .symbol:         _ZN9rocsparseL31bsrmm_large_blockdim_kernel_extILj8ELj8ELj2EiiaaiiEEvb20rocsparse_direction_T3_S2_llNS_24const_host_device_scalarIT7_EEPKT2_PKS2_PKT4_S2_PKT5_llS5_PT6_ll16rocsparse_order_21rocsparse_index_base_b.kd
    .uniform_work_group_size: 1
    .uses_dynamic_stack: false
    .vgpr_count:     35
    .vgpr_spill_count: 0
    .wavefront_size: 32
    .workgroup_processor_mode: 1
  - .args:
      - .offset:         0
        .size:           1
        .value_kind:     by_value
      - .offset:         4
        .size:           4
        .value_kind:     by_value
      - .offset:         8
        .size:           4
        .value_kind:     by_value
      - .offset:         12
        .size:           4
        .value_kind:     by_value
      - .offset:         16
        .size:           8
        .value_kind:     by_value
      - .offset:         24
        .size:           8
        .value_kind:     by_value
      - .offset:         32
        .size:           8
        .value_kind:     by_value
      - .actual_access:  read_only
        .address_space:  global
        .offset:         40
        .size:           8
        .value_kind:     global_buffer
      - .actual_access:  read_only
        .address_space:  global
        .offset:         48
        .size:           8
        .value_kind:     global_buffer
      - .actual_access:  read_only
        .address_space:  global
        .offset:         56
        .size:           8
        .value_kind:     global_buffer
      - .offset:         64
        .size:           4
        .value_kind:     by_value
      - .actual_access:  read_only
        .address_space:  global
        .offset:         72
        .size:           8
        .value_kind:     global_buffer
      - .offset:         80
        .size:           8
        .value_kind:     by_value
      - .offset:         88
        .size:           8
        .value_kind:     by_value
      - .offset:         96
        .size:           8
        .value_kind:     by_value
      - .address_space:  global
        .offset:         104
        .size:           8
        .value_kind:     global_buffer
      - .offset:         112
        .size:           8
        .value_kind:     by_value
      - .offset:         120
        .size:           8
        .value_kind:     by_value
      - .offset:         128
        .size:           4
        .value_kind:     by_value
      - .offset:         132
        .size:           4
        .value_kind:     by_value
      - .offset:         136
        .size:           1
        .value_kind:     by_value
    .group_segment_fixed_size: 576
    .kernarg_segment_align: 8
    .kernarg_segment_size: 140
    .language:       OpenCL C
    .language_version:
      - 2
      - 0
    .max_flat_workgroup_size: 64
    .name:           _ZN9rocsparseL31bsrmm_large_blockdim_kernel_extILj4ELj16ELj2EiiaaiiEEvb20rocsparse_direction_T3_S2_llNS_24const_host_device_scalarIT7_EEPKT2_PKS2_PKT4_S2_PKT5_llS5_PT6_ll16rocsparse_order_21rocsparse_index_base_b
    .private_segment_fixed_size: 0
    .sgpr_count:     40
    .sgpr_spill_count: 0
    .symbol:         _ZN9rocsparseL31bsrmm_large_blockdim_kernel_extILj4ELj16ELj2EiiaaiiEEvb20rocsparse_direction_T3_S2_llNS_24const_host_device_scalarIT7_EEPKT2_PKS2_PKT4_S2_PKT5_llS5_PT6_ll16rocsparse_order_21rocsparse_index_base_b.kd
    .uniform_work_group_size: 1
    .uses_dynamic_stack: false
    .vgpr_count:     35
    .vgpr_spill_count: 0
    .wavefront_size: 32
    .workgroup_processor_mode: 1
  - .args:
      - .offset:         0
        .size:           1
        .value_kind:     by_value
      - .offset:         4
        .size:           4
        .value_kind:     by_value
      - .offset:         8
        .size:           4
        .value_kind:     by_value
      - .offset:         12
        .size:           4
        .value_kind:     by_value
      - .offset:         16
        .size:           8
        .value_kind:     by_value
      - .offset:         24
        .size:           8
        .value_kind:     by_value
      - .offset:         32
        .size:           8
        .value_kind:     by_value
      - .actual_access:  read_only
        .address_space:  global
        .offset:         40
        .size:           8
        .value_kind:     global_buffer
      - .actual_access:  read_only
        .address_space:  global
        .offset:         48
        .size:           8
        .value_kind:     global_buffer
      - .actual_access:  read_only
        .address_space:  global
        .offset:         56
        .size:           8
        .value_kind:     global_buffer
      - .offset:         64
        .size:           4
        .value_kind:     by_value
      - .actual_access:  read_only
        .address_space:  global
        .offset:         72
        .size:           8
        .value_kind:     global_buffer
      - .offset:         80
        .size:           8
        .value_kind:     by_value
      - .offset:         88
        .size:           8
        .value_kind:     by_value
      - .offset:         96
        .size:           8
        .value_kind:     by_value
      - .address_space:  global
        .offset:         104
        .size:           8
        .value_kind:     global_buffer
      - .offset:         112
        .size:           8
        .value_kind:     by_value
      - .offset:         120
        .size:           8
        .value_kind:     by_value
      - .offset:         128
        .size:           4
        .value_kind:     by_value
      - .offset:         132
        .size:           4
        .value_kind:     by_value
      - .offset:         136
        .size:           1
        .value_kind:     by_value
    .group_segment_fixed_size: 3072
    .kernarg_segment_align: 8
    .kernarg_segment_size: 140
    .language:       OpenCL C
    .language_version:
      - 2
      - 0
    .max_flat_workgroup_size: 256
    .name:           _ZN9rocsparseL31bsrmm_large_blockdim_kernel_extILj16ELj16ELj2EiiaaiiEEvb20rocsparse_direction_T3_S2_llNS_24const_host_device_scalarIT7_EEPKT2_PKS2_PKT4_S2_PKT5_llS5_PT6_ll16rocsparse_order_21rocsparse_index_base_b
    .private_segment_fixed_size: 0
    .sgpr_count:     40
    .sgpr_spill_count: 0
    .symbol:         _ZN9rocsparseL31bsrmm_large_blockdim_kernel_extILj16ELj16ELj2EiiaaiiEEvb20rocsparse_direction_T3_S2_llNS_24const_host_device_scalarIT7_EEPKT2_PKS2_PKT4_S2_PKT5_llS5_PT6_ll16rocsparse_order_21rocsparse_index_base_b.kd
    .uniform_work_group_size: 1
    .uses_dynamic_stack: false
    .vgpr_count:     35
    .vgpr_spill_count: 0
    .wavefront_size: 32
    .workgroup_processor_mode: 1
  - .args:
      - .offset:         0
        .size:           1
        .value_kind:     by_value
      - .offset:         4
        .size:           4
        .value_kind:     by_value
      - .offset:         8
        .size:           4
        .value_kind:     by_value
      - .offset:         12
        .size:           4
        .value_kind:     by_value
      - .offset:         16
        .size:           8
        .value_kind:     by_value
      - .offset:         24
        .size:           8
        .value_kind:     by_value
      - .offset:         32
        .size:           8
        .value_kind:     by_value
      - .actual_access:  read_only
        .address_space:  global
        .offset:         40
        .size:           8
        .value_kind:     global_buffer
      - .actual_access:  read_only
        .address_space:  global
        .offset:         48
        .size:           8
        .value_kind:     global_buffer
      - .actual_access:  read_only
        .address_space:  global
        .offset:         56
        .size:           8
        .value_kind:     global_buffer
      - .offset:         64
        .size:           4
        .value_kind:     by_value
      - .actual_access:  read_only
        .address_space:  global
        .offset:         72
        .size:           8
        .value_kind:     global_buffer
      - .offset:         80
        .size:           8
        .value_kind:     by_value
      - .offset:         88
        .size:           8
        .value_kind:     by_value
      - .offset:         96
        .size:           8
        .value_kind:     by_value
      - .address_space:  global
        .offset:         104
        .size:           8
        .value_kind:     global_buffer
      - .offset:         112
        .size:           8
        .value_kind:     by_value
      - .offset:         120
        .size:           8
        .value_kind:     by_value
      - .offset:         128
        .size:           4
        .value_kind:     by_value
      - .offset:         132
        .size:           4
        .value_kind:     by_value
      - .offset:         136
        .size:           1
        .value_kind:     by_value
    .group_segment_fixed_size: 12288
    .kernarg_segment_align: 8
    .kernarg_segment_size: 140
    .language:       OpenCL C
    .language_version:
      - 2
      - 0
    .max_flat_workgroup_size: 1024
    .name:           _ZN9rocsparseL31bsrmm_large_blockdim_kernel_extILj32ELj32ELj2EiiaaiiEEvb20rocsparse_direction_T3_S2_llNS_24const_host_device_scalarIT7_EEPKT2_PKS2_PKT4_S2_PKT5_llS5_PT6_ll16rocsparse_order_21rocsparse_index_base_b
    .private_segment_fixed_size: 0
    .sgpr_count:     40
    .sgpr_spill_count: 0
    .symbol:         _ZN9rocsparseL31bsrmm_large_blockdim_kernel_extILj32ELj32ELj2EiiaaiiEEvb20rocsparse_direction_T3_S2_llNS_24const_host_device_scalarIT7_EEPKT2_PKS2_PKT4_S2_PKT5_llS5_PT6_ll16rocsparse_order_21rocsparse_index_base_b.kd
    .uniform_work_group_size: 1
    .uses_dynamic_stack: false
    .vgpr_count:     35
    .vgpr_spill_count: 0
    .wavefront_size: 32
    .workgroup_processor_mode: 1
  - .args:
      - .offset:         0
        .size:           1
        .value_kind:     by_value
      - .offset:         4
        .size:           4
        .value_kind:     by_value
      - .offset:         8
        .size:           4
        .value_kind:     by_value
      - .offset:         12
        .size:           4
        .value_kind:     by_value
      - .offset:         16
        .size:           8
        .value_kind:     by_value
      - .offset:         24
        .size:           8
        .value_kind:     by_value
      - .offset:         32
        .size:           8
        .value_kind:     by_value
      - .actual_access:  read_only
        .address_space:  global
        .offset:         40
        .size:           8
        .value_kind:     global_buffer
      - .actual_access:  read_only
        .address_space:  global
        .offset:         48
        .size:           8
        .value_kind:     global_buffer
      - .actual_access:  read_only
        .address_space:  global
        .offset:         56
        .size:           8
        .value_kind:     global_buffer
      - .offset:         64
        .size:           4
        .value_kind:     by_value
      - .actual_access:  read_only
        .address_space:  global
        .offset:         72
        .size:           8
        .value_kind:     global_buffer
      - .offset:         80
        .size:           8
        .value_kind:     by_value
      - .offset:         88
        .size:           8
        .value_kind:     by_value
      - .offset:         96
        .size:           8
        .value_kind:     by_value
      - .address_space:  global
        .offset:         104
        .size:           8
        .value_kind:     global_buffer
      - .offset:         112
        .size:           8
        .value_kind:     by_value
      - .offset:         120
        .size:           8
        .value_kind:     by_value
      - .offset:         128
        .size:           4
        .value_kind:     by_value
      - .offset:         132
        .size:           4
        .value_kind:     by_value
      - .offset:         136
        .size:           1
        .value_kind:     by_value
    .group_segment_fixed_size: 768
    .kernarg_segment_align: 8
    .kernarg_segment_size: 140
    .language:       OpenCL C
    .language_version:
      - 2
      - 0
    .max_flat_workgroup_size: 64
    .name:           _ZN9rocsparseL31bsrmm_large_blockdim_kernel_extILj8ELj8ELj2EliaaiiEEvb20rocsparse_direction_T3_S2_llNS_24const_host_device_scalarIT7_EEPKT2_PKS2_PKT4_S2_PKT5_llS5_PT6_ll16rocsparse_order_21rocsparse_index_base_b
    .private_segment_fixed_size: 0
    .sgpr_count:     38
    .sgpr_spill_count: 0
    .symbol:         _ZN9rocsparseL31bsrmm_large_blockdim_kernel_extILj8ELj8ELj2EliaaiiEEvb20rocsparse_direction_T3_S2_llNS_24const_host_device_scalarIT7_EEPKT2_PKS2_PKT4_S2_PKT5_llS5_PT6_ll16rocsparse_order_21rocsparse_index_base_b.kd
    .uniform_work_group_size: 1
    .uses_dynamic_stack: false
    .vgpr_count:     36
    .vgpr_spill_count: 0
    .wavefront_size: 32
    .workgroup_processor_mode: 1
  - .args:
      - .offset:         0
        .size:           1
        .value_kind:     by_value
      - .offset:         4
        .size:           4
        .value_kind:     by_value
      - .offset:         8
        .size:           4
        .value_kind:     by_value
      - .offset:         12
        .size:           4
        .value_kind:     by_value
      - .offset:         16
        .size:           8
        .value_kind:     by_value
      - .offset:         24
        .size:           8
        .value_kind:     by_value
      - .offset:         32
        .size:           8
        .value_kind:     by_value
      - .actual_access:  read_only
        .address_space:  global
        .offset:         40
        .size:           8
        .value_kind:     global_buffer
      - .actual_access:  read_only
        .address_space:  global
        .offset:         48
        .size:           8
        .value_kind:     global_buffer
      - .actual_access:  read_only
        .address_space:  global
        .offset:         56
        .size:           8
        .value_kind:     global_buffer
      - .offset:         64
        .size:           4
        .value_kind:     by_value
      - .actual_access:  read_only
        .address_space:  global
        .offset:         72
        .size:           8
        .value_kind:     global_buffer
      - .offset:         80
        .size:           8
        .value_kind:     by_value
      - .offset:         88
        .size:           8
        .value_kind:     by_value
      - .offset:         96
        .size:           8
        .value_kind:     by_value
      - .address_space:  global
        .offset:         104
        .size:           8
        .value_kind:     global_buffer
      - .offset:         112
        .size:           8
        .value_kind:     by_value
      - .offset:         120
        .size:           8
        .value_kind:     by_value
      - .offset:         128
        .size:           4
        .value_kind:     by_value
      - .offset:         132
        .size:           4
        .value_kind:     by_value
      - .offset:         136
        .size:           1
        .value_kind:     by_value
    .group_segment_fixed_size: 576
    .kernarg_segment_align: 8
    .kernarg_segment_size: 140
    .language:       OpenCL C
    .language_version:
      - 2
      - 0
    .max_flat_workgroup_size: 64
    .name:           _ZN9rocsparseL31bsrmm_large_blockdim_kernel_extILj4ELj16ELj2EliaaiiEEvb20rocsparse_direction_T3_S2_llNS_24const_host_device_scalarIT7_EEPKT2_PKS2_PKT4_S2_PKT5_llS5_PT6_ll16rocsparse_order_21rocsparse_index_base_b
    .private_segment_fixed_size: 0
    .sgpr_count:     38
    .sgpr_spill_count: 0
    .symbol:         _ZN9rocsparseL31bsrmm_large_blockdim_kernel_extILj4ELj16ELj2EliaaiiEEvb20rocsparse_direction_T3_S2_llNS_24const_host_device_scalarIT7_EEPKT2_PKS2_PKT4_S2_PKT5_llS5_PT6_ll16rocsparse_order_21rocsparse_index_base_b.kd
    .uniform_work_group_size: 1
    .uses_dynamic_stack: false
    .vgpr_count:     36
    .vgpr_spill_count: 0
    .wavefront_size: 32
    .workgroup_processor_mode: 1
  - .args:
      - .offset:         0
        .size:           1
        .value_kind:     by_value
      - .offset:         4
        .size:           4
        .value_kind:     by_value
      - .offset:         8
        .size:           4
        .value_kind:     by_value
      - .offset:         12
        .size:           4
        .value_kind:     by_value
      - .offset:         16
        .size:           8
        .value_kind:     by_value
      - .offset:         24
        .size:           8
        .value_kind:     by_value
      - .offset:         32
        .size:           8
        .value_kind:     by_value
      - .actual_access:  read_only
        .address_space:  global
        .offset:         40
        .size:           8
        .value_kind:     global_buffer
      - .actual_access:  read_only
        .address_space:  global
        .offset:         48
        .size:           8
        .value_kind:     global_buffer
      - .actual_access:  read_only
        .address_space:  global
        .offset:         56
        .size:           8
        .value_kind:     global_buffer
      - .offset:         64
        .size:           4
        .value_kind:     by_value
      - .actual_access:  read_only
        .address_space:  global
        .offset:         72
        .size:           8
        .value_kind:     global_buffer
      - .offset:         80
        .size:           8
        .value_kind:     by_value
      - .offset:         88
        .size:           8
        .value_kind:     by_value
      - .offset:         96
        .size:           8
        .value_kind:     by_value
      - .address_space:  global
        .offset:         104
        .size:           8
        .value_kind:     global_buffer
      - .offset:         112
        .size:           8
        .value_kind:     by_value
      - .offset:         120
        .size:           8
        .value_kind:     by_value
      - .offset:         128
        .size:           4
        .value_kind:     by_value
      - .offset:         132
        .size:           4
        .value_kind:     by_value
      - .offset:         136
        .size:           1
        .value_kind:     by_value
    .group_segment_fixed_size: 3072
    .kernarg_segment_align: 8
    .kernarg_segment_size: 140
    .language:       OpenCL C
    .language_version:
      - 2
      - 0
    .max_flat_workgroup_size: 256
    .name:           _ZN9rocsparseL31bsrmm_large_blockdim_kernel_extILj16ELj16ELj2EliaaiiEEvb20rocsparse_direction_T3_S2_llNS_24const_host_device_scalarIT7_EEPKT2_PKS2_PKT4_S2_PKT5_llS5_PT6_ll16rocsparse_order_21rocsparse_index_base_b
    .private_segment_fixed_size: 0
    .sgpr_count:     38
    .sgpr_spill_count: 0
    .symbol:         _ZN9rocsparseL31bsrmm_large_blockdim_kernel_extILj16ELj16ELj2EliaaiiEEvb20rocsparse_direction_T3_S2_llNS_24const_host_device_scalarIT7_EEPKT2_PKS2_PKT4_S2_PKT5_llS5_PT6_ll16rocsparse_order_21rocsparse_index_base_b.kd
    .uniform_work_group_size: 1
    .uses_dynamic_stack: false
    .vgpr_count:     36
    .vgpr_spill_count: 0
    .wavefront_size: 32
    .workgroup_processor_mode: 1
  - .args:
      - .offset:         0
        .size:           1
        .value_kind:     by_value
      - .offset:         4
        .size:           4
        .value_kind:     by_value
      - .offset:         8
        .size:           4
        .value_kind:     by_value
      - .offset:         12
        .size:           4
        .value_kind:     by_value
      - .offset:         16
        .size:           8
        .value_kind:     by_value
      - .offset:         24
        .size:           8
        .value_kind:     by_value
      - .offset:         32
        .size:           8
        .value_kind:     by_value
      - .actual_access:  read_only
        .address_space:  global
        .offset:         40
        .size:           8
        .value_kind:     global_buffer
      - .actual_access:  read_only
        .address_space:  global
        .offset:         48
        .size:           8
        .value_kind:     global_buffer
      - .actual_access:  read_only
        .address_space:  global
        .offset:         56
        .size:           8
        .value_kind:     global_buffer
      - .offset:         64
        .size:           4
        .value_kind:     by_value
      - .actual_access:  read_only
        .address_space:  global
        .offset:         72
        .size:           8
        .value_kind:     global_buffer
      - .offset:         80
        .size:           8
        .value_kind:     by_value
      - .offset:         88
        .size:           8
        .value_kind:     by_value
      - .offset:         96
        .size:           8
        .value_kind:     by_value
      - .address_space:  global
        .offset:         104
        .size:           8
        .value_kind:     global_buffer
      - .offset:         112
        .size:           8
        .value_kind:     by_value
      - .offset:         120
        .size:           8
        .value_kind:     by_value
      - .offset:         128
        .size:           4
        .value_kind:     by_value
      - .offset:         132
        .size:           4
        .value_kind:     by_value
      - .offset:         136
        .size:           1
        .value_kind:     by_value
    .group_segment_fixed_size: 12288
    .kernarg_segment_align: 8
    .kernarg_segment_size: 140
    .language:       OpenCL C
    .language_version:
      - 2
      - 0
    .max_flat_workgroup_size: 1024
    .name:           _ZN9rocsparseL31bsrmm_large_blockdim_kernel_extILj32ELj32ELj2EliaaiiEEvb20rocsparse_direction_T3_S2_llNS_24const_host_device_scalarIT7_EEPKT2_PKS2_PKT4_S2_PKT5_llS5_PT6_ll16rocsparse_order_21rocsparse_index_base_b
    .private_segment_fixed_size: 0
    .sgpr_count:     38
    .sgpr_spill_count: 0
    .symbol:         _ZN9rocsparseL31bsrmm_large_blockdim_kernel_extILj32ELj32ELj2EliaaiiEEvb20rocsparse_direction_T3_S2_llNS_24const_host_device_scalarIT7_EEPKT2_PKS2_PKT4_S2_PKT5_llS5_PT6_ll16rocsparse_order_21rocsparse_index_base_b.kd
    .uniform_work_group_size: 1
    .uses_dynamic_stack: false
    .vgpr_count:     36
    .vgpr_spill_count: 0
    .wavefront_size: 32
    .workgroup_processor_mode: 1
  - .args:
      - .offset:         0
        .size:           1
        .value_kind:     by_value
      - .offset:         4
        .size:           4
        .value_kind:     by_value
      - .offset:         8
        .size:           8
        .value_kind:     by_value
      - .offset:         16
        .size:           8
        .value_kind:     by_value
      - .offset:         24
        .size:           8
        .value_kind:     by_value
      - .offset:         32
        .size:           8
        .value_kind:     by_value
      - .offset:         40
        .size:           8
        .value_kind:     by_value
      - .actual_access:  read_only
        .address_space:  global
        .offset:         48
        .size:           8
        .value_kind:     global_buffer
      - .actual_access:  read_only
        .address_space:  global
        .offset:         56
        .size:           8
        .value_kind:     global_buffer
      - .actual_access:  read_only
        .address_space:  global
        .offset:         64
        .size:           8
        .value_kind:     global_buffer
      - .offset:         72
        .size:           8
        .value_kind:     by_value
      - .actual_access:  read_only
        .address_space:  global
        .offset:         80
        .size:           8
        .value_kind:     global_buffer
      - .offset:         88
        .size:           8
        .value_kind:     by_value
      - .offset:         96
        .size:           8
        .value_kind:     by_value
      - .offset:         104
        .size:           8
        .value_kind:     by_value
      - .address_space:  global
        .offset:         112
        .size:           8
        .value_kind:     global_buffer
      - .offset:         120
        .size:           8
        .value_kind:     by_value
      - .offset:         128
        .size:           8
        .value_kind:     by_value
      - .offset:         136
        .size:           4
        .value_kind:     by_value
      - .offset:         140
        .size:           4
        .value_kind:     by_value
      - .offset:         144
        .size:           1
        .value_kind:     by_value
    .group_segment_fixed_size: 768
    .kernarg_segment_align: 8
    .kernarg_segment_size: 148
    .language:       OpenCL C
    .language_version:
      - 2
      - 0
    .max_flat_workgroup_size: 64
    .name:           _ZN9rocsparseL31bsrmm_large_blockdim_kernel_extILj8ELj8ELj2EllaaiiEEvb20rocsparse_direction_T3_S2_llNS_24const_host_device_scalarIT7_EEPKT2_PKS2_PKT4_S2_PKT5_llS5_PT6_ll16rocsparse_order_21rocsparse_index_base_b
    .private_segment_fixed_size: 0
    .sgpr_count:     46
    .sgpr_spill_count: 0
    .symbol:         _ZN9rocsparseL31bsrmm_large_blockdim_kernel_extILj8ELj8ELj2EllaaiiEEvb20rocsparse_direction_T3_S2_llNS_24const_host_device_scalarIT7_EEPKT2_PKS2_PKT4_S2_PKT5_llS5_PT6_ll16rocsparse_order_21rocsparse_index_base_b.kd
    .uniform_work_group_size: 1
    .uses_dynamic_stack: false
    .vgpr_count:     41
    .vgpr_spill_count: 0
    .wavefront_size: 32
    .workgroup_processor_mode: 1
  - .args:
      - .offset:         0
        .size:           1
        .value_kind:     by_value
      - .offset:         4
        .size:           4
        .value_kind:     by_value
      - .offset:         8
        .size:           8
        .value_kind:     by_value
      - .offset:         16
        .size:           8
        .value_kind:     by_value
      - .offset:         24
        .size:           8
        .value_kind:     by_value
      - .offset:         32
        .size:           8
        .value_kind:     by_value
      - .offset:         40
        .size:           8
        .value_kind:     by_value
      - .actual_access:  read_only
        .address_space:  global
        .offset:         48
        .size:           8
        .value_kind:     global_buffer
      - .actual_access:  read_only
        .address_space:  global
        .offset:         56
        .size:           8
        .value_kind:     global_buffer
      - .actual_access:  read_only
        .address_space:  global
        .offset:         64
        .size:           8
        .value_kind:     global_buffer
      - .offset:         72
        .size:           8
        .value_kind:     by_value
      - .actual_access:  read_only
        .address_space:  global
        .offset:         80
        .size:           8
        .value_kind:     global_buffer
      - .offset:         88
        .size:           8
        .value_kind:     by_value
      - .offset:         96
        .size:           8
        .value_kind:     by_value
      - .offset:         104
        .size:           8
        .value_kind:     by_value
      - .address_space:  global
        .offset:         112
        .size:           8
        .value_kind:     global_buffer
      - .offset:         120
        .size:           8
        .value_kind:     by_value
      - .offset:         128
        .size:           8
        .value_kind:     by_value
      - .offset:         136
        .size:           4
        .value_kind:     by_value
      - .offset:         140
        .size:           4
        .value_kind:     by_value
      - .offset:         144
        .size:           1
        .value_kind:     by_value
    .group_segment_fixed_size: 576
    .kernarg_segment_align: 8
    .kernarg_segment_size: 148
    .language:       OpenCL C
    .language_version:
      - 2
      - 0
    .max_flat_workgroup_size: 64
    .name:           _ZN9rocsparseL31bsrmm_large_blockdim_kernel_extILj4ELj16ELj2EllaaiiEEvb20rocsparse_direction_T3_S2_llNS_24const_host_device_scalarIT7_EEPKT2_PKS2_PKT4_S2_PKT5_llS5_PT6_ll16rocsparse_order_21rocsparse_index_base_b
    .private_segment_fixed_size: 0
    .sgpr_count:     46
    .sgpr_spill_count: 0
    .symbol:         _ZN9rocsparseL31bsrmm_large_blockdim_kernel_extILj4ELj16ELj2EllaaiiEEvb20rocsparse_direction_T3_S2_llNS_24const_host_device_scalarIT7_EEPKT2_PKS2_PKT4_S2_PKT5_llS5_PT6_ll16rocsparse_order_21rocsparse_index_base_b.kd
    .uniform_work_group_size: 1
    .uses_dynamic_stack: false
    .vgpr_count:     41
    .vgpr_spill_count: 0
    .wavefront_size: 32
    .workgroup_processor_mode: 1
  - .args:
      - .offset:         0
        .size:           1
        .value_kind:     by_value
      - .offset:         4
        .size:           4
        .value_kind:     by_value
      - .offset:         8
        .size:           8
        .value_kind:     by_value
      - .offset:         16
        .size:           8
        .value_kind:     by_value
      - .offset:         24
        .size:           8
        .value_kind:     by_value
      - .offset:         32
        .size:           8
        .value_kind:     by_value
      - .offset:         40
        .size:           8
        .value_kind:     by_value
      - .actual_access:  read_only
        .address_space:  global
        .offset:         48
        .size:           8
        .value_kind:     global_buffer
      - .actual_access:  read_only
        .address_space:  global
        .offset:         56
        .size:           8
        .value_kind:     global_buffer
      - .actual_access:  read_only
        .address_space:  global
        .offset:         64
        .size:           8
        .value_kind:     global_buffer
      - .offset:         72
        .size:           8
        .value_kind:     by_value
      - .actual_access:  read_only
        .address_space:  global
        .offset:         80
        .size:           8
        .value_kind:     global_buffer
      - .offset:         88
        .size:           8
        .value_kind:     by_value
      - .offset:         96
        .size:           8
        .value_kind:     by_value
      - .offset:         104
        .size:           8
        .value_kind:     by_value
      - .address_space:  global
        .offset:         112
        .size:           8
        .value_kind:     global_buffer
      - .offset:         120
        .size:           8
        .value_kind:     by_value
      - .offset:         128
        .size:           8
        .value_kind:     by_value
      - .offset:         136
        .size:           4
        .value_kind:     by_value
      - .offset:         140
        .size:           4
        .value_kind:     by_value
      - .offset:         144
        .size:           1
        .value_kind:     by_value
    .group_segment_fixed_size: 3072
    .kernarg_segment_align: 8
    .kernarg_segment_size: 148
    .language:       OpenCL C
    .language_version:
      - 2
      - 0
    .max_flat_workgroup_size: 256
    .name:           _ZN9rocsparseL31bsrmm_large_blockdim_kernel_extILj16ELj16ELj2EllaaiiEEvb20rocsparse_direction_T3_S2_llNS_24const_host_device_scalarIT7_EEPKT2_PKS2_PKT4_S2_PKT5_llS5_PT6_ll16rocsparse_order_21rocsparse_index_base_b
    .private_segment_fixed_size: 0
    .sgpr_count:     46
    .sgpr_spill_count: 0
    .symbol:         _ZN9rocsparseL31bsrmm_large_blockdim_kernel_extILj16ELj16ELj2EllaaiiEEvb20rocsparse_direction_T3_S2_llNS_24const_host_device_scalarIT7_EEPKT2_PKS2_PKT4_S2_PKT5_llS5_PT6_ll16rocsparse_order_21rocsparse_index_base_b.kd
    .uniform_work_group_size: 1
    .uses_dynamic_stack: false
    .vgpr_count:     41
    .vgpr_spill_count: 0
    .wavefront_size: 32
    .workgroup_processor_mode: 1
  - .args:
      - .offset:         0
        .size:           1
        .value_kind:     by_value
      - .offset:         4
        .size:           4
        .value_kind:     by_value
      - .offset:         8
        .size:           8
        .value_kind:     by_value
      - .offset:         16
        .size:           8
        .value_kind:     by_value
      - .offset:         24
        .size:           8
        .value_kind:     by_value
      - .offset:         32
        .size:           8
        .value_kind:     by_value
      - .offset:         40
        .size:           8
        .value_kind:     by_value
      - .actual_access:  read_only
        .address_space:  global
        .offset:         48
        .size:           8
        .value_kind:     global_buffer
      - .actual_access:  read_only
        .address_space:  global
        .offset:         56
        .size:           8
        .value_kind:     global_buffer
      - .actual_access:  read_only
        .address_space:  global
        .offset:         64
        .size:           8
        .value_kind:     global_buffer
      - .offset:         72
        .size:           8
        .value_kind:     by_value
      - .actual_access:  read_only
        .address_space:  global
        .offset:         80
        .size:           8
        .value_kind:     global_buffer
      - .offset:         88
        .size:           8
        .value_kind:     by_value
      - .offset:         96
        .size:           8
        .value_kind:     by_value
      - .offset:         104
        .size:           8
        .value_kind:     by_value
      - .address_space:  global
        .offset:         112
        .size:           8
        .value_kind:     global_buffer
      - .offset:         120
        .size:           8
        .value_kind:     by_value
      - .offset:         128
        .size:           8
        .value_kind:     by_value
      - .offset:         136
        .size:           4
        .value_kind:     by_value
      - .offset:         140
        .size:           4
        .value_kind:     by_value
      - .offset:         144
        .size:           1
        .value_kind:     by_value
    .group_segment_fixed_size: 12288
    .kernarg_segment_align: 8
    .kernarg_segment_size: 148
    .language:       OpenCL C
    .language_version:
      - 2
      - 0
    .max_flat_workgroup_size: 1024
    .name:           _ZN9rocsparseL31bsrmm_large_blockdim_kernel_extILj32ELj32ELj2EllaaiiEEvb20rocsparse_direction_T3_S2_llNS_24const_host_device_scalarIT7_EEPKT2_PKS2_PKT4_S2_PKT5_llS5_PT6_ll16rocsparse_order_21rocsparse_index_base_b
    .private_segment_fixed_size: 0
    .sgpr_count:     46
    .sgpr_spill_count: 0
    .symbol:         _ZN9rocsparseL31bsrmm_large_blockdim_kernel_extILj32ELj32ELj2EllaaiiEEvb20rocsparse_direction_T3_S2_llNS_24const_host_device_scalarIT7_EEPKT2_PKS2_PKT4_S2_PKT5_llS5_PT6_ll16rocsparse_order_21rocsparse_index_base_b.kd
    .uniform_work_group_size: 1
    .uses_dynamic_stack: false
    .vgpr_count:     41
    .vgpr_spill_count: 0
    .wavefront_size: 32
    .workgroup_processor_mode: 1
  - .args:
      - .offset:         0
        .size:           1
        .value_kind:     by_value
      - .offset:         4
        .size:           4
        .value_kind:     by_value
      - .offset:         8
        .size:           4
        .value_kind:     by_value
      - .offset:         12
        .size:           4
        .value_kind:     by_value
      - .offset:         16
        .size:           8
        .value_kind:     by_value
      - .offset:         24
        .size:           8
        .value_kind:     by_value
      - .offset:         32
        .size:           8
        .value_kind:     by_value
      - .actual_access:  read_only
        .address_space:  global
        .offset:         40
        .size:           8
        .value_kind:     global_buffer
      - .actual_access:  read_only
        .address_space:  global
        .offset:         48
        .size:           8
        .value_kind:     global_buffer
      - .actual_access:  read_only
        .address_space:  global
        .offset:         56
        .size:           8
        .value_kind:     global_buffer
      - .offset:         64
        .size:           4
        .value_kind:     by_value
      - .actual_access:  read_only
        .address_space:  global
        .offset:         72
        .size:           8
        .value_kind:     global_buffer
      - .offset:         80
        .size:           8
        .value_kind:     by_value
      - .offset:         88
        .size:           8
        .value_kind:     by_value
      - .offset:         96
        .size:           8
        .value_kind:     by_value
      - .address_space:  global
        .offset:         104
        .size:           8
        .value_kind:     global_buffer
      - .offset:         112
        .size:           8
        .value_kind:     by_value
      - .offset:         120
        .size:           8
        .value_kind:     by_value
      - .offset:         128
        .size:           4
        .value_kind:     by_value
      - .offset:         132
        .size:           4
        .value_kind:     by_value
      - .offset:         136
        .size:           1
        .value_kind:     by_value
    .group_segment_fixed_size: 768
    .kernarg_segment_align: 8
    .kernarg_segment_size: 140
    .language:       OpenCL C
    .language_version:
      - 2
      - 0
    .max_flat_workgroup_size: 64
    .name:           _ZN9rocsparseL31bsrmm_large_blockdim_kernel_extILj8ELj8ELj2EiiaaffEEvb20rocsparse_direction_T3_S2_llNS_24const_host_device_scalarIT7_EEPKT2_PKS2_PKT4_S2_PKT5_llS5_PT6_ll16rocsparse_order_21rocsparse_index_base_b
    .private_segment_fixed_size: 0
    .sgpr_count:     40
    .sgpr_spill_count: 0
    .symbol:         _ZN9rocsparseL31bsrmm_large_blockdim_kernel_extILj8ELj8ELj2EiiaaffEEvb20rocsparse_direction_T3_S2_llNS_24const_host_device_scalarIT7_EEPKT2_PKS2_PKT4_S2_PKT5_llS5_PT6_ll16rocsparse_order_21rocsparse_index_base_b.kd
    .uniform_work_group_size: 1
    .uses_dynamic_stack: false
    .vgpr_count:     35
    .vgpr_spill_count: 0
    .wavefront_size: 32
    .workgroup_processor_mode: 1
  - .args:
      - .offset:         0
        .size:           1
        .value_kind:     by_value
      - .offset:         4
        .size:           4
        .value_kind:     by_value
      - .offset:         8
        .size:           4
        .value_kind:     by_value
      - .offset:         12
        .size:           4
        .value_kind:     by_value
      - .offset:         16
        .size:           8
        .value_kind:     by_value
      - .offset:         24
        .size:           8
        .value_kind:     by_value
      - .offset:         32
        .size:           8
        .value_kind:     by_value
      - .actual_access:  read_only
        .address_space:  global
        .offset:         40
        .size:           8
        .value_kind:     global_buffer
      - .actual_access:  read_only
        .address_space:  global
        .offset:         48
        .size:           8
        .value_kind:     global_buffer
      - .actual_access:  read_only
        .address_space:  global
        .offset:         56
        .size:           8
        .value_kind:     global_buffer
      - .offset:         64
        .size:           4
        .value_kind:     by_value
      - .actual_access:  read_only
        .address_space:  global
        .offset:         72
        .size:           8
        .value_kind:     global_buffer
      - .offset:         80
        .size:           8
        .value_kind:     by_value
      - .offset:         88
        .size:           8
        .value_kind:     by_value
      - .offset:         96
        .size:           8
        .value_kind:     by_value
      - .address_space:  global
        .offset:         104
        .size:           8
        .value_kind:     global_buffer
      - .offset:         112
        .size:           8
        .value_kind:     by_value
      - .offset:         120
        .size:           8
        .value_kind:     by_value
      - .offset:         128
        .size:           4
        .value_kind:     by_value
      - .offset:         132
        .size:           4
        .value_kind:     by_value
      - .offset:         136
        .size:           1
        .value_kind:     by_value
    .group_segment_fixed_size: 576
    .kernarg_segment_align: 8
    .kernarg_segment_size: 140
    .language:       OpenCL C
    .language_version:
      - 2
      - 0
    .max_flat_workgroup_size: 64
    .name:           _ZN9rocsparseL31bsrmm_large_blockdim_kernel_extILj4ELj16ELj2EiiaaffEEvb20rocsparse_direction_T3_S2_llNS_24const_host_device_scalarIT7_EEPKT2_PKS2_PKT4_S2_PKT5_llS5_PT6_ll16rocsparse_order_21rocsparse_index_base_b
    .private_segment_fixed_size: 0
    .sgpr_count:     40
    .sgpr_spill_count: 0
    .symbol:         _ZN9rocsparseL31bsrmm_large_blockdim_kernel_extILj4ELj16ELj2EiiaaffEEvb20rocsparse_direction_T3_S2_llNS_24const_host_device_scalarIT7_EEPKT2_PKS2_PKT4_S2_PKT5_llS5_PT6_ll16rocsparse_order_21rocsparse_index_base_b.kd
    .uniform_work_group_size: 1
    .uses_dynamic_stack: false
    .vgpr_count:     35
    .vgpr_spill_count: 0
    .wavefront_size: 32
    .workgroup_processor_mode: 1
  - .args:
      - .offset:         0
        .size:           1
        .value_kind:     by_value
      - .offset:         4
        .size:           4
        .value_kind:     by_value
      - .offset:         8
        .size:           4
        .value_kind:     by_value
      - .offset:         12
        .size:           4
        .value_kind:     by_value
      - .offset:         16
        .size:           8
        .value_kind:     by_value
      - .offset:         24
        .size:           8
        .value_kind:     by_value
      - .offset:         32
        .size:           8
        .value_kind:     by_value
      - .actual_access:  read_only
        .address_space:  global
        .offset:         40
        .size:           8
        .value_kind:     global_buffer
      - .actual_access:  read_only
        .address_space:  global
        .offset:         48
        .size:           8
        .value_kind:     global_buffer
      - .actual_access:  read_only
        .address_space:  global
        .offset:         56
        .size:           8
        .value_kind:     global_buffer
      - .offset:         64
        .size:           4
        .value_kind:     by_value
      - .actual_access:  read_only
        .address_space:  global
        .offset:         72
        .size:           8
        .value_kind:     global_buffer
      - .offset:         80
        .size:           8
        .value_kind:     by_value
      - .offset:         88
        .size:           8
        .value_kind:     by_value
      - .offset:         96
        .size:           8
        .value_kind:     by_value
      - .address_space:  global
        .offset:         104
        .size:           8
        .value_kind:     global_buffer
      - .offset:         112
        .size:           8
        .value_kind:     by_value
      - .offset:         120
        .size:           8
        .value_kind:     by_value
      - .offset:         128
        .size:           4
        .value_kind:     by_value
      - .offset:         132
        .size:           4
        .value_kind:     by_value
      - .offset:         136
        .size:           1
        .value_kind:     by_value
    .group_segment_fixed_size: 3072
    .kernarg_segment_align: 8
    .kernarg_segment_size: 140
    .language:       OpenCL C
    .language_version:
      - 2
      - 0
    .max_flat_workgroup_size: 256
    .name:           _ZN9rocsparseL31bsrmm_large_blockdim_kernel_extILj16ELj16ELj2EiiaaffEEvb20rocsparse_direction_T3_S2_llNS_24const_host_device_scalarIT7_EEPKT2_PKS2_PKT4_S2_PKT5_llS5_PT6_ll16rocsparse_order_21rocsparse_index_base_b
    .private_segment_fixed_size: 0
    .sgpr_count:     40
    .sgpr_spill_count: 0
    .symbol:         _ZN9rocsparseL31bsrmm_large_blockdim_kernel_extILj16ELj16ELj2EiiaaffEEvb20rocsparse_direction_T3_S2_llNS_24const_host_device_scalarIT7_EEPKT2_PKS2_PKT4_S2_PKT5_llS5_PT6_ll16rocsparse_order_21rocsparse_index_base_b.kd
    .uniform_work_group_size: 1
    .uses_dynamic_stack: false
    .vgpr_count:     35
    .vgpr_spill_count: 0
    .wavefront_size: 32
    .workgroup_processor_mode: 1
  - .args:
      - .offset:         0
        .size:           1
        .value_kind:     by_value
      - .offset:         4
        .size:           4
        .value_kind:     by_value
      - .offset:         8
        .size:           4
        .value_kind:     by_value
      - .offset:         12
        .size:           4
        .value_kind:     by_value
      - .offset:         16
        .size:           8
        .value_kind:     by_value
      - .offset:         24
        .size:           8
        .value_kind:     by_value
      - .offset:         32
        .size:           8
        .value_kind:     by_value
      - .actual_access:  read_only
        .address_space:  global
        .offset:         40
        .size:           8
        .value_kind:     global_buffer
      - .actual_access:  read_only
        .address_space:  global
        .offset:         48
        .size:           8
        .value_kind:     global_buffer
      - .actual_access:  read_only
        .address_space:  global
        .offset:         56
        .size:           8
        .value_kind:     global_buffer
      - .offset:         64
        .size:           4
        .value_kind:     by_value
      - .actual_access:  read_only
        .address_space:  global
        .offset:         72
        .size:           8
        .value_kind:     global_buffer
      - .offset:         80
        .size:           8
        .value_kind:     by_value
      - .offset:         88
        .size:           8
        .value_kind:     by_value
      - .offset:         96
        .size:           8
        .value_kind:     by_value
      - .address_space:  global
        .offset:         104
        .size:           8
        .value_kind:     global_buffer
      - .offset:         112
        .size:           8
        .value_kind:     by_value
      - .offset:         120
        .size:           8
        .value_kind:     by_value
      - .offset:         128
        .size:           4
        .value_kind:     by_value
      - .offset:         132
        .size:           4
        .value_kind:     by_value
      - .offset:         136
        .size:           1
        .value_kind:     by_value
    .group_segment_fixed_size: 12288
    .kernarg_segment_align: 8
    .kernarg_segment_size: 140
    .language:       OpenCL C
    .language_version:
      - 2
      - 0
    .max_flat_workgroup_size: 1024
    .name:           _ZN9rocsparseL31bsrmm_large_blockdim_kernel_extILj32ELj32ELj2EiiaaffEEvb20rocsparse_direction_T3_S2_llNS_24const_host_device_scalarIT7_EEPKT2_PKS2_PKT4_S2_PKT5_llS5_PT6_ll16rocsparse_order_21rocsparse_index_base_b
    .private_segment_fixed_size: 0
    .sgpr_count:     40
    .sgpr_spill_count: 0
    .symbol:         _ZN9rocsparseL31bsrmm_large_blockdim_kernel_extILj32ELj32ELj2EiiaaffEEvb20rocsparse_direction_T3_S2_llNS_24const_host_device_scalarIT7_EEPKT2_PKS2_PKT4_S2_PKT5_llS5_PT6_ll16rocsparse_order_21rocsparse_index_base_b.kd
    .uniform_work_group_size: 1
    .uses_dynamic_stack: false
    .vgpr_count:     35
    .vgpr_spill_count: 0
    .wavefront_size: 32
    .workgroup_processor_mode: 1
  - .args:
      - .offset:         0
        .size:           1
        .value_kind:     by_value
      - .offset:         4
        .size:           4
        .value_kind:     by_value
      - .offset:         8
        .size:           4
        .value_kind:     by_value
      - .offset:         12
        .size:           4
        .value_kind:     by_value
      - .offset:         16
        .size:           8
        .value_kind:     by_value
      - .offset:         24
        .size:           8
        .value_kind:     by_value
      - .offset:         32
        .size:           8
        .value_kind:     by_value
      - .actual_access:  read_only
        .address_space:  global
        .offset:         40
        .size:           8
        .value_kind:     global_buffer
      - .actual_access:  read_only
        .address_space:  global
        .offset:         48
        .size:           8
        .value_kind:     global_buffer
      - .actual_access:  read_only
        .address_space:  global
        .offset:         56
        .size:           8
        .value_kind:     global_buffer
      - .offset:         64
        .size:           4
        .value_kind:     by_value
      - .actual_access:  read_only
        .address_space:  global
        .offset:         72
        .size:           8
        .value_kind:     global_buffer
      - .offset:         80
        .size:           8
        .value_kind:     by_value
      - .offset:         88
        .size:           8
        .value_kind:     by_value
      - .offset:         96
        .size:           8
        .value_kind:     by_value
      - .address_space:  global
        .offset:         104
        .size:           8
        .value_kind:     global_buffer
      - .offset:         112
        .size:           8
        .value_kind:     by_value
      - .offset:         120
        .size:           8
        .value_kind:     by_value
      - .offset:         128
        .size:           4
        .value_kind:     by_value
      - .offset:         132
        .size:           4
        .value_kind:     by_value
      - .offset:         136
        .size:           1
        .value_kind:     by_value
    .group_segment_fixed_size: 768
    .kernarg_segment_align: 8
    .kernarg_segment_size: 140
    .language:       OpenCL C
    .language_version:
      - 2
      - 0
    .max_flat_workgroup_size: 64
    .name:           _ZN9rocsparseL31bsrmm_large_blockdim_kernel_extILj8ELj8ELj2EliaaffEEvb20rocsparse_direction_T3_S2_llNS_24const_host_device_scalarIT7_EEPKT2_PKS2_PKT4_S2_PKT5_llS5_PT6_ll16rocsparse_order_21rocsparse_index_base_b
    .private_segment_fixed_size: 0
    .sgpr_count:     38
    .sgpr_spill_count: 0
    .symbol:         _ZN9rocsparseL31bsrmm_large_blockdim_kernel_extILj8ELj8ELj2EliaaffEEvb20rocsparse_direction_T3_S2_llNS_24const_host_device_scalarIT7_EEPKT2_PKS2_PKT4_S2_PKT5_llS5_PT6_ll16rocsparse_order_21rocsparse_index_base_b.kd
    .uniform_work_group_size: 1
    .uses_dynamic_stack: false
    .vgpr_count:     36
    .vgpr_spill_count: 0
    .wavefront_size: 32
    .workgroup_processor_mode: 1
  - .args:
      - .offset:         0
        .size:           1
        .value_kind:     by_value
      - .offset:         4
        .size:           4
        .value_kind:     by_value
      - .offset:         8
        .size:           4
        .value_kind:     by_value
      - .offset:         12
        .size:           4
        .value_kind:     by_value
      - .offset:         16
        .size:           8
        .value_kind:     by_value
      - .offset:         24
        .size:           8
        .value_kind:     by_value
      - .offset:         32
        .size:           8
        .value_kind:     by_value
      - .actual_access:  read_only
        .address_space:  global
        .offset:         40
        .size:           8
        .value_kind:     global_buffer
      - .actual_access:  read_only
        .address_space:  global
        .offset:         48
        .size:           8
        .value_kind:     global_buffer
      - .actual_access:  read_only
        .address_space:  global
        .offset:         56
        .size:           8
        .value_kind:     global_buffer
      - .offset:         64
        .size:           4
        .value_kind:     by_value
      - .actual_access:  read_only
        .address_space:  global
        .offset:         72
        .size:           8
        .value_kind:     global_buffer
      - .offset:         80
        .size:           8
        .value_kind:     by_value
      - .offset:         88
        .size:           8
        .value_kind:     by_value
      - .offset:         96
        .size:           8
        .value_kind:     by_value
      - .address_space:  global
        .offset:         104
        .size:           8
        .value_kind:     global_buffer
      - .offset:         112
        .size:           8
        .value_kind:     by_value
      - .offset:         120
        .size:           8
        .value_kind:     by_value
      - .offset:         128
        .size:           4
        .value_kind:     by_value
      - .offset:         132
        .size:           4
        .value_kind:     by_value
      - .offset:         136
        .size:           1
        .value_kind:     by_value
    .group_segment_fixed_size: 576
    .kernarg_segment_align: 8
    .kernarg_segment_size: 140
    .language:       OpenCL C
    .language_version:
      - 2
      - 0
    .max_flat_workgroup_size: 64
    .name:           _ZN9rocsparseL31bsrmm_large_blockdim_kernel_extILj4ELj16ELj2EliaaffEEvb20rocsparse_direction_T3_S2_llNS_24const_host_device_scalarIT7_EEPKT2_PKS2_PKT4_S2_PKT5_llS5_PT6_ll16rocsparse_order_21rocsparse_index_base_b
    .private_segment_fixed_size: 0
    .sgpr_count:     38
    .sgpr_spill_count: 0
    .symbol:         _ZN9rocsparseL31bsrmm_large_blockdim_kernel_extILj4ELj16ELj2EliaaffEEvb20rocsparse_direction_T3_S2_llNS_24const_host_device_scalarIT7_EEPKT2_PKS2_PKT4_S2_PKT5_llS5_PT6_ll16rocsparse_order_21rocsparse_index_base_b.kd
    .uniform_work_group_size: 1
    .uses_dynamic_stack: false
    .vgpr_count:     36
    .vgpr_spill_count: 0
    .wavefront_size: 32
    .workgroup_processor_mode: 1
  - .args:
      - .offset:         0
        .size:           1
        .value_kind:     by_value
      - .offset:         4
        .size:           4
        .value_kind:     by_value
      - .offset:         8
        .size:           4
        .value_kind:     by_value
      - .offset:         12
        .size:           4
        .value_kind:     by_value
      - .offset:         16
        .size:           8
        .value_kind:     by_value
      - .offset:         24
        .size:           8
        .value_kind:     by_value
      - .offset:         32
        .size:           8
        .value_kind:     by_value
      - .actual_access:  read_only
        .address_space:  global
        .offset:         40
        .size:           8
        .value_kind:     global_buffer
      - .actual_access:  read_only
        .address_space:  global
        .offset:         48
        .size:           8
        .value_kind:     global_buffer
      - .actual_access:  read_only
        .address_space:  global
        .offset:         56
        .size:           8
        .value_kind:     global_buffer
      - .offset:         64
        .size:           4
        .value_kind:     by_value
      - .actual_access:  read_only
        .address_space:  global
        .offset:         72
        .size:           8
        .value_kind:     global_buffer
      - .offset:         80
        .size:           8
        .value_kind:     by_value
      - .offset:         88
        .size:           8
        .value_kind:     by_value
      - .offset:         96
        .size:           8
        .value_kind:     by_value
      - .address_space:  global
        .offset:         104
        .size:           8
        .value_kind:     global_buffer
      - .offset:         112
        .size:           8
        .value_kind:     by_value
      - .offset:         120
        .size:           8
        .value_kind:     by_value
      - .offset:         128
        .size:           4
        .value_kind:     by_value
      - .offset:         132
        .size:           4
        .value_kind:     by_value
      - .offset:         136
        .size:           1
        .value_kind:     by_value
    .group_segment_fixed_size: 3072
    .kernarg_segment_align: 8
    .kernarg_segment_size: 140
    .language:       OpenCL C
    .language_version:
      - 2
      - 0
    .max_flat_workgroup_size: 256
    .name:           _ZN9rocsparseL31bsrmm_large_blockdim_kernel_extILj16ELj16ELj2EliaaffEEvb20rocsparse_direction_T3_S2_llNS_24const_host_device_scalarIT7_EEPKT2_PKS2_PKT4_S2_PKT5_llS5_PT6_ll16rocsparse_order_21rocsparse_index_base_b
    .private_segment_fixed_size: 0
    .sgpr_count:     38
    .sgpr_spill_count: 0
    .symbol:         _ZN9rocsparseL31bsrmm_large_blockdim_kernel_extILj16ELj16ELj2EliaaffEEvb20rocsparse_direction_T3_S2_llNS_24const_host_device_scalarIT7_EEPKT2_PKS2_PKT4_S2_PKT5_llS5_PT6_ll16rocsparse_order_21rocsparse_index_base_b.kd
    .uniform_work_group_size: 1
    .uses_dynamic_stack: false
    .vgpr_count:     36
    .vgpr_spill_count: 0
    .wavefront_size: 32
    .workgroup_processor_mode: 1
  - .args:
      - .offset:         0
        .size:           1
        .value_kind:     by_value
      - .offset:         4
        .size:           4
        .value_kind:     by_value
      - .offset:         8
        .size:           4
        .value_kind:     by_value
      - .offset:         12
        .size:           4
        .value_kind:     by_value
      - .offset:         16
        .size:           8
        .value_kind:     by_value
      - .offset:         24
        .size:           8
        .value_kind:     by_value
      - .offset:         32
        .size:           8
        .value_kind:     by_value
      - .actual_access:  read_only
        .address_space:  global
        .offset:         40
        .size:           8
        .value_kind:     global_buffer
      - .actual_access:  read_only
        .address_space:  global
        .offset:         48
        .size:           8
        .value_kind:     global_buffer
      - .actual_access:  read_only
        .address_space:  global
        .offset:         56
        .size:           8
        .value_kind:     global_buffer
      - .offset:         64
        .size:           4
        .value_kind:     by_value
      - .actual_access:  read_only
        .address_space:  global
        .offset:         72
        .size:           8
        .value_kind:     global_buffer
      - .offset:         80
        .size:           8
        .value_kind:     by_value
      - .offset:         88
        .size:           8
        .value_kind:     by_value
      - .offset:         96
        .size:           8
        .value_kind:     by_value
      - .address_space:  global
        .offset:         104
        .size:           8
        .value_kind:     global_buffer
      - .offset:         112
        .size:           8
        .value_kind:     by_value
      - .offset:         120
        .size:           8
        .value_kind:     by_value
      - .offset:         128
        .size:           4
        .value_kind:     by_value
      - .offset:         132
        .size:           4
        .value_kind:     by_value
      - .offset:         136
        .size:           1
        .value_kind:     by_value
    .group_segment_fixed_size: 12288
    .kernarg_segment_align: 8
    .kernarg_segment_size: 140
    .language:       OpenCL C
    .language_version:
      - 2
      - 0
    .max_flat_workgroup_size: 1024
    .name:           _ZN9rocsparseL31bsrmm_large_blockdim_kernel_extILj32ELj32ELj2EliaaffEEvb20rocsparse_direction_T3_S2_llNS_24const_host_device_scalarIT7_EEPKT2_PKS2_PKT4_S2_PKT5_llS5_PT6_ll16rocsparse_order_21rocsparse_index_base_b
    .private_segment_fixed_size: 0
    .sgpr_count:     38
    .sgpr_spill_count: 0
    .symbol:         _ZN9rocsparseL31bsrmm_large_blockdim_kernel_extILj32ELj32ELj2EliaaffEEvb20rocsparse_direction_T3_S2_llNS_24const_host_device_scalarIT7_EEPKT2_PKS2_PKT4_S2_PKT5_llS5_PT6_ll16rocsparse_order_21rocsparse_index_base_b.kd
    .uniform_work_group_size: 1
    .uses_dynamic_stack: false
    .vgpr_count:     36
    .vgpr_spill_count: 0
    .wavefront_size: 32
    .workgroup_processor_mode: 1
  - .args:
      - .offset:         0
        .size:           1
        .value_kind:     by_value
      - .offset:         4
        .size:           4
        .value_kind:     by_value
      - .offset:         8
        .size:           8
        .value_kind:     by_value
      - .offset:         16
        .size:           8
        .value_kind:     by_value
      - .offset:         24
        .size:           8
        .value_kind:     by_value
      - .offset:         32
        .size:           8
        .value_kind:     by_value
      - .offset:         40
        .size:           8
        .value_kind:     by_value
      - .actual_access:  read_only
        .address_space:  global
        .offset:         48
        .size:           8
        .value_kind:     global_buffer
      - .actual_access:  read_only
        .address_space:  global
        .offset:         56
        .size:           8
        .value_kind:     global_buffer
      - .actual_access:  read_only
        .address_space:  global
        .offset:         64
        .size:           8
        .value_kind:     global_buffer
      - .offset:         72
        .size:           8
        .value_kind:     by_value
      - .actual_access:  read_only
        .address_space:  global
        .offset:         80
        .size:           8
        .value_kind:     global_buffer
      - .offset:         88
        .size:           8
        .value_kind:     by_value
      - .offset:         96
        .size:           8
        .value_kind:     by_value
      - .offset:         104
        .size:           8
        .value_kind:     by_value
      - .address_space:  global
        .offset:         112
        .size:           8
        .value_kind:     global_buffer
      - .offset:         120
        .size:           8
        .value_kind:     by_value
      - .offset:         128
        .size:           8
        .value_kind:     by_value
      - .offset:         136
        .size:           4
        .value_kind:     by_value
      - .offset:         140
        .size:           4
        .value_kind:     by_value
      - .offset:         144
        .size:           1
        .value_kind:     by_value
    .group_segment_fixed_size: 768
    .kernarg_segment_align: 8
    .kernarg_segment_size: 148
    .language:       OpenCL C
    .language_version:
      - 2
      - 0
    .max_flat_workgroup_size: 64
    .name:           _ZN9rocsparseL31bsrmm_large_blockdim_kernel_extILj8ELj8ELj2EllaaffEEvb20rocsparse_direction_T3_S2_llNS_24const_host_device_scalarIT7_EEPKT2_PKS2_PKT4_S2_PKT5_llS5_PT6_ll16rocsparse_order_21rocsparse_index_base_b
    .private_segment_fixed_size: 0
    .sgpr_count:     46
    .sgpr_spill_count: 0
    .symbol:         _ZN9rocsparseL31bsrmm_large_blockdim_kernel_extILj8ELj8ELj2EllaaffEEvb20rocsparse_direction_T3_S2_llNS_24const_host_device_scalarIT7_EEPKT2_PKS2_PKT4_S2_PKT5_llS5_PT6_ll16rocsparse_order_21rocsparse_index_base_b.kd
    .uniform_work_group_size: 1
    .uses_dynamic_stack: false
    .vgpr_count:     41
    .vgpr_spill_count: 0
    .wavefront_size: 32
    .workgroup_processor_mode: 1
  - .args:
      - .offset:         0
        .size:           1
        .value_kind:     by_value
      - .offset:         4
        .size:           4
        .value_kind:     by_value
      - .offset:         8
        .size:           8
        .value_kind:     by_value
      - .offset:         16
        .size:           8
        .value_kind:     by_value
      - .offset:         24
        .size:           8
        .value_kind:     by_value
      - .offset:         32
        .size:           8
        .value_kind:     by_value
      - .offset:         40
        .size:           8
        .value_kind:     by_value
      - .actual_access:  read_only
        .address_space:  global
        .offset:         48
        .size:           8
        .value_kind:     global_buffer
      - .actual_access:  read_only
        .address_space:  global
        .offset:         56
        .size:           8
        .value_kind:     global_buffer
      - .actual_access:  read_only
        .address_space:  global
        .offset:         64
        .size:           8
        .value_kind:     global_buffer
      - .offset:         72
        .size:           8
        .value_kind:     by_value
      - .actual_access:  read_only
        .address_space:  global
        .offset:         80
        .size:           8
        .value_kind:     global_buffer
      - .offset:         88
        .size:           8
        .value_kind:     by_value
      - .offset:         96
        .size:           8
        .value_kind:     by_value
      - .offset:         104
        .size:           8
        .value_kind:     by_value
      - .address_space:  global
        .offset:         112
        .size:           8
        .value_kind:     global_buffer
      - .offset:         120
        .size:           8
        .value_kind:     by_value
      - .offset:         128
        .size:           8
        .value_kind:     by_value
      - .offset:         136
        .size:           4
        .value_kind:     by_value
      - .offset:         140
        .size:           4
        .value_kind:     by_value
      - .offset:         144
        .size:           1
        .value_kind:     by_value
    .group_segment_fixed_size: 576
    .kernarg_segment_align: 8
    .kernarg_segment_size: 148
    .language:       OpenCL C
    .language_version:
      - 2
      - 0
    .max_flat_workgroup_size: 64
    .name:           _ZN9rocsparseL31bsrmm_large_blockdim_kernel_extILj4ELj16ELj2EllaaffEEvb20rocsparse_direction_T3_S2_llNS_24const_host_device_scalarIT7_EEPKT2_PKS2_PKT4_S2_PKT5_llS5_PT6_ll16rocsparse_order_21rocsparse_index_base_b
    .private_segment_fixed_size: 0
    .sgpr_count:     46
    .sgpr_spill_count: 0
    .symbol:         _ZN9rocsparseL31bsrmm_large_blockdim_kernel_extILj4ELj16ELj2EllaaffEEvb20rocsparse_direction_T3_S2_llNS_24const_host_device_scalarIT7_EEPKT2_PKS2_PKT4_S2_PKT5_llS5_PT6_ll16rocsparse_order_21rocsparse_index_base_b.kd
    .uniform_work_group_size: 1
    .uses_dynamic_stack: false
    .vgpr_count:     41
    .vgpr_spill_count: 0
    .wavefront_size: 32
    .workgroup_processor_mode: 1
  - .args:
      - .offset:         0
        .size:           1
        .value_kind:     by_value
      - .offset:         4
        .size:           4
        .value_kind:     by_value
      - .offset:         8
        .size:           8
        .value_kind:     by_value
      - .offset:         16
        .size:           8
        .value_kind:     by_value
      - .offset:         24
        .size:           8
        .value_kind:     by_value
      - .offset:         32
        .size:           8
        .value_kind:     by_value
      - .offset:         40
        .size:           8
        .value_kind:     by_value
      - .actual_access:  read_only
        .address_space:  global
        .offset:         48
        .size:           8
        .value_kind:     global_buffer
      - .actual_access:  read_only
        .address_space:  global
        .offset:         56
        .size:           8
        .value_kind:     global_buffer
      - .actual_access:  read_only
        .address_space:  global
        .offset:         64
        .size:           8
        .value_kind:     global_buffer
      - .offset:         72
        .size:           8
        .value_kind:     by_value
      - .actual_access:  read_only
        .address_space:  global
        .offset:         80
        .size:           8
        .value_kind:     global_buffer
      - .offset:         88
        .size:           8
        .value_kind:     by_value
      - .offset:         96
        .size:           8
        .value_kind:     by_value
      - .offset:         104
        .size:           8
        .value_kind:     by_value
      - .address_space:  global
        .offset:         112
        .size:           8
        .value_kind:     global_buffer
      - .offset:         120
        .size:           8
        .value_kind:     by_value
      - .offset:         128
        .size:           8
        .value_kind:     by_value
      - .offset:         136
        .size:           4
        .value_kind:     by_value
      - .offset:         140
        .size:           4
        .value_kind:     by_value
      - .offset:         144
        .size:           1
        .value_kind:     by_value
    .group_segment_fixed_size: 3072
    .kernarg_segment_align: 8
    .kernarg_segment_size: 148
    .language:       OpenCL C
    .language_version:
      - 2
      - 0
    .max_flat_workgroup_size: 256
    .name:           _ZN9rocsparseL31bsrmm_large_blockdim_kernel_extILj16ELj16ELj2EllaaffEEvb20rocsparse_direction_T3_S2_llNS_24const_host_device_scalarIT7_EEPKT2_PKS2_PKT4_S2_PKT5_llS5_PT6_ll16rocsparse_order_21rocsparse_index_base_b
    .private_segment_fixed_size: 0
    .sgpr_count:     46
    .sgpr_spill_count: 0
    .symbol:         _ZN9rocsparseL31bsrmm_large_blockdim_kernel_extILj16ELj16ELj2EllaaffEEvb20rocsparse_direction_T3_S2_llNS_24const_host_device_scalarIT7_EEPKT2_PKS2_PKT4_S2_PKT5_llS5_PT6_ll16rocsparse_order_21rocsparse_index_base_b.kd
    .uniform_work_group_size: 1
    .uses_dynamic_stack: false
    .vgpr_count:     41
    .vgpr_spill_count: 0
    .wavefront_size: 32
    .workgroup_processor_mode: 1
  - .args:
      - .offset:         0
        .size:           1
        .value_kind:     by_value
      - .offset:         4
        .size:           4
        .value_kind:     by_value
      - .offset:         8
        .size:           8
        .value_kind:     by_value
      - .offset:         16
        .size:           8
        .value_kind:     by_value
      - .offset:         24
        .size:           8
        .value_kind:     by_value
      - .offset:         32
        .size:           8
        .value_kind:     by_value
      - .offset:         40
        .size:           8
        .value_kind:     by_value
      - .actual_access:  read_only
        .address_space:  global
        .offset:         48
        .size:           8
        .value_kind:     global_buffer
      - .actual_access:  read_only
        .address_space:  global
        .offset:         56
        .size:           8
        .value_kind:     global_buffer
      - .actual_access:  read_only
        .address_space:  global
        .offset:         64
        .size:           8
        .value_kind:     global_buffer
      - .offset:         72
        .size:           8
        .value_kind:     by_value
      - .actual_access:  read_only
        .address_space:  global
        .offset:         80
        .size:           8
        .value_kind:     global_buffer
      - .offset:         88
        .size:           8
        .value_kind:     by_value
      - .offset:         96
        .size:           8
        .value_kind:     by_value
      - .offset:         104
        .size:           8
        .value_kind:     by_value
      - .address_space:  global
        .offset:         112
        .size:           8
        .value_kind:     global_buffer
      - .offset:         120
        .size:           8
        .value_kind:     by_value
      - .offset:         128
        .size:           8
        .value_kind:     by_value
      - .offset:         136
        .size:           4
        .value_kind:     by_value
      - .offset:         140
        .size:           4
        .value_kind:     by_value
      - .offset:         144
        .size:           1
        .value_kind:     by_value
    .group_segment_fixed_size: 12288
    .kernarg_segment_align: 8
    .kernarg_segment_size: 148
    .language:       OpenCL C
    .language_version:
      - 2
      - 0
    .max_flat_workgroup_size: 1024
    .name:           _ZN9rocsparseL31bsrmm_large_blockdim_kernel_extILj32ELj32ELj2EllaaffEEvb20rocsparse_direction_T3_S2_llNS_24const_host_device_scalarIT7_EEPKT2_PKS2_PKT4_S2_PKT5_llS5_PT6_ll16rocsparse_order_21rocsparse_index_base_b
    .private_segment_fixed_size: 0
    .sgpr_count:     46
    .sgpr_spill_count: 0
    .symbol:         _ZN9rocsparseL31bsrmm_large_blockdim_kernel_extILj32ELj32ELj2EllaaffEEvb20rocsparse_direction_T3_S2_llNS_24const_host_device_scalarIT7_EEPKT2_PKS2_PKT4_S2_PKT5_llS5_PT6_ll16rocsparse_order_21rocsparse_index_base_b.kd
    .uniform_work_group_size: 1
    .uses_dynamic_stack: false
    .vgpr_count:     41
    .vgpr_spill_count: 0
    .wavefront_size: 32
    .workgroup_processor_mode: 1
amdhsa.target:   amdgcn-amd-amdhsa--gfx1100
amdhsa.version:
  - 1
  - 2
...

	.end_amdgpu_metadata
